;; amdgpu-corpus repo=ROCm/rccl kind=compiled arch=gfx1250 opt=O3
	.amdgcn_target "amdgcn-amd-amdhsa--gfx1250"
	.amdhsa_code_object_version 6
	.text
	.p2align	2                               ; -- Begin function __ockl_fprintf_append_string_n
	.type	__ockl_fprintf_append_string_n,@function
__ockl_fprintf_append_string_n:         ; @__ockl_fprintf_append_string_n
; %bb.0:
	s_wait_loadcnt_dscnt 0x0
	s_wait_kmcnt 0x0
	v_or_b32_e32 v2, 2, v0
	v_cmp_eq_u32_e32 vcc_lo, 0, v6
	v_mbcnt_lo_u32_b32 v30, -1, 0
	s_get_pc_i64 s[0:1]
	s_add_nc_u64 s[0:1], s[0:1], .str.3@rel64+4
	s_mov_b32 s6, 0
	s_cmp_lg_u64 s[0:1], 0
	v_cndmask_b32_e32 v3, v2, v0, vcc_lo
	s_cbranch_scc0 .LBB0_113
; %bb.1:
	s_load_b64 s[2:3], s[8:9], 0x50
	s_delay_alu instid0(VALU_DEP_1) | instskip(SKIP_3) | instid1(VALU_DEP_4)
	v_dual_mov_b32 v7, 0 :: v_dual_bitop2_b32 v0, -3, v3 bitop3:0x40
	v_mov_b64_e32 v[8:9], 0x100000002
	v_mov_b64_e32 v[32:33], s[0:1]
	v_and_b32_e32 v2, 2, v3
	v_mov_b64_e32 v[10:11], v[0:1]
	s_mov_b32 s7, 0
	s_branch .LBB0_3
.LBB0_2:                                ;   in Loop: Header=BB0_3 Depth=1
	s_or_b32 exec_lo, exec_lo, s10
	v_sub_nc_u64_e32 v[4:5], v[4:5], v[34:35]
	v_add_nc_u64_e32 v[32:33], v[32:33], v[34:35]
	s_delay_alu instid0(VALU_DEP_2) | instskip(SKIP_1) | instid1(SALU_CYCLE_1)
	v_cmp_eq_u64_e32 vcc_lo, 0, v[4:5]
	s_or_b32 s7, vcc_lo, s7
	s_and_not1_b32 exec_lo, exec_lo, s7
	s_cbranch_execz .LBB0_85
.LBB0_3:                                ; =>This Loop Header: Depth=1
                                        ;     Child Loop BB0_6 Depth 2
                                        ;     Child Loop BB0_14 Depth 2
	;; [unrolled: 1-line block ×11, first 2 shown]
	v_min_u64 v[34:35], v[4:5], 56
	s_delay_alu instid0(VALU_DEP_3)
	v_add_nc_u64_e32 v[16:17], 8, v[32:33]
	s_mov_b32 s0, exec_lo
	v_cmpx_gt_u64_e32 8, v[4:5]
	s_xor_b32 s4, exec_lo, s0
	s_cbranch_execz .LBB0_9
; %bb.4:                                ;   in Loop: Header=BB0_3 Depth=1
	s_wait_loadcnt 0x0
	v_mov_b64_e32 v[12:13], 0
	s_mov_b32 s5, exec_lo
	v_cmpx_ne_u64_e32 0, v[4:5]
	s_cbranch_execz .LBB0_8
; %bb.5:                                ;   in Loop: Header=BB0_3 Depth=1
	v_mov_b64_e32 v[12:13], 0
	v_mov_b64_e32 v[14:15], v[32:33]
	v_lshlrev_b32_e32 v0, 3, v34
	s_mov_b64 s[0:1], 0
	s_mov_b32 s10, 0
.LBB0_6:                                ;   Parent Loop BB0_3 Depth=1
                                        ; =>  This Inner Loop Header: Depth=2
	global_load_u8 v6, v[14:15], off
	v_mov_b32_e32 v17, s6
	s_wait_xcnt 0x0
	v_add_nc_u64_e32 v[14:15], 1, v[14:15]
	s_wait_loadcnt 0x0
	v_and_b32_e32 v16, 0xffff, v6
	s_delay_alu instid0(VALU_DEP_1) | instskip(SKIP_1) | instid1(SALU_CYCLE_1)
	v_lshlrev_b64_e32 v[16:17], s0, v[16:17]
	s_add_nc_u64 s[0:1], s[0:1], 8
	v_cmp_eq_u32_e32 vcc_lo, s0, v0
	s_delay_alu instid0(VALU_DEP_2) | instskip(NEXT) | instid1(VALU_DEP_3)
	v_or_b32_e32 v13, v17, v13
	v_or_b32_e32 v12, v16, v12
	s_or_b32 s10, vcc_lo, s10
	s_delay_alu instid0(SALU_CYCLE_1)
	s_and_not1_b32 exec_lo, exec_lo, s10
	s_cbranch_execnz .LBB0_6
; %bb.7:                                ;   in Loop: Header=BB0_3 Depth=1
	s_or_b32 exec_lo, exec_lo, s10
.LBB0_8:                                ;   in Loop: Header=BB0_3 Depth=1
	s_delay_alu instid0(SALU_CYCLE_1)
	s_or_b32 exec_lo, exec_lo, s5
	v_mov_b64_e32 v[16:17], v[32:33]
.LBB0_9:                                ;   in Loop: Header=BB0_3 Depth=1
	s_or_saveexec_b32 s0, s4
	v_mov_b32_e32 v0, 0
	s_xor_b32 exec_lo, exec_lo, s0
	s_cbranch_execz .LBB0_11
; %bb.10:                               ;   in Loop: Header=BB0_3 Depth=1
	s_wait_loadcnt 0x0
	global_load_b64 v[12:13], v[32:33], off
	v_add_nc_u32_e32 v0, -8, v34
.LBB0_11:                               ;   in Loop: Header=BB0_3 Depth=1
	s_wait_xcnt 0x0
	s_or_b32 exec_lo, exec_lo, s0
	v_add_nc_u64_e32 v[18:19], 8, v[16:17]
                                        ; implicit-def: $vgpr14_vgpr15
	s_mov_b32 s0, exec_lo
	v_cmpx_gt_u32_e32 8, v0
	s_xor_b32 s10, exec_lo, s0
	s_cbranch_execz .LBB0_17
; %bb.12:                               ;   in Loop: Header=BB0_3 Depth=1
	v_mov_b64_e32 v[14:15], 0
	s_mov_b32 s11, exec_lo
	v_cmpx_ne_u32_e32 0, v0
	s_cbranch_execz .LBB0_16
; %bb.13:                               ;   in Loop: Header=BB0_3 Depth=1
	v_mov_b64_e32 v[14:15], 0
	s_mov_b64 s[0:1], 0
	s_mov_b32 s12, 0
	s_mov_b64 s[4:5], 0
.LBB0_14:                               ;   Parent Loop BB0_3 Depth=1
                                        ; =>  This Inner Loop Header: Depth=2
	s_delay_alu instid0(SALU_CYCLE_1) | instskip(SKIP_1) | instid1(SALU_CYCLE_1)
	v_add_nc_u64_e32 v[18:19], s[4:5], v[16:17]
	s_add_nc_u64 s[4:5], s[4:5], 1
	v_cmp_eq_u32_e32 vcc_lo, s4, v0
	global_load_u8 v6, v[18:19], off
	s_wait_xcnt 0x0
	v_mov_b32_e32 v19, s6
	s_or_b32 s12, vcc_lo, s12
	s_wait_loadcnt 0x0
	v_and_b32_e32 v18, 0xffff, v6
	s_delay_alu instid0(VALU_DEP_1) | instskip(SKIP_1) | instid1(VALU_DEP_1)
	v_lshlrev_b64_e32 v[18:19], s0, v[18:19]
	s_add_nc_u64 s[0:1], s[0:1], 8
	v_or_b32_e32 v15, v19, v15
	s_delay_alu instid0(VALU_DEP_2)
	v_or_b32_e32 v14, v18, v14
	s_and_not1_b32 exec_lo, exec_lo, s12
	s_cbranch_execnz .LBB0_14
; %bb.15:                               ;   in Loop: Header=BB0_3 Depth=1
	s_or_b32 exec_lo, exec_lo, s12
.LBB0_16:                               ;   in Loop: Header=BB0_3 Depth=1
	s_delay_alu instid0(SALU_CYCLE_1)
	s_or_b32 exec_lo, exec_lo, s11
	v_mov_b64_e32 v[18:19], v[16:17]
                                        ; implicit-def: $vgpr0
.LBB0_17:                               ;   in Loop: Header=BB0_3 Depth=1
	s_or_saveexec_b32 s0, s10
	v_mov_b32_e32 v6, 0
	s_xor_b32 exec_lo, exec_lo, s0
	s_cbranch_execz .LBB0_19
; %bb.18:                               ;   in Loop: Header=BB0_3 Depth=1
	global_load_b64 v[14:15], v[16:17], off
	v_add_nc_u32_e32 v6, -8, v0
.LBB0_19:                               ;   in Loop: Header=BB0_3 Depth=1
	s_wait_xcnt 0x0
	s_or_b32 exec_lo, exec_lo, s0
	v_add_nc_u64_e32 v[20:21], 8, v[18:19]
	s_mov_b32 s0, exec_lo
	v_cmpx_gt_u32_e32 8, v6
	s_xor_b32 s10, exec_lo, s0
	s_cbranch_execz .LBB0_25
; %bb.20:                               ;   in Loop: Header=BB0_3 Depth=1
	v_mov_b64_e32 v[16:17], 0
	s_mov_b32 s11, exec_lo
	v_cmpx_ne_u32_e32 0, v6
	s_cbranch_execz .LBB0_24
; %bb.21:                               ;   in Loop: Header=BB0_3 Depth=1
	v_mov_b64_e32 v[16:17], 0
	s_mov_b64 s[0:1], 0
	s_mov_b32 s12, 0
	s_mov_b64 s[4:5], 0
.LBB0_22:                               ;   Parent Loop BB0_3 Depth=1
                                        ; =>  This Inner Loop Header: Depth=2
	s_delay_alu instid0(SALU_CYCLE_1) | instskip(SKIP_1) | instid1(SALU_CYCLE_1)
	v_add_nc_u64_e32 v[20:21], s[4:5], v[18:19]
	s_add_nc_u64 s[4:5], s[4:5], 1
	v_cmp_eq_u32_e32 vcc_lo, s4, v6
	global_load_u8 v0, v[20:21], off
	s_wait_xcnt 0x0
	v_mov_b32_e32 v21, s6
	s_or_b32 s12, vcc_lo, s12
	s_wait_loadcnt 0x0
	v_and_b32_e32 v20, 0xffff, v0
	s_delay_alu instid0(VALU_DEP_1) | instskip(SKIP_1) | instid1(VALU_DEP_1)
	v_lshlrev_b64_e32 v[20:21], s0, v[20:21]
	s_add_nc_u64 s[0:1], s[0:1], 8
	v_or_b32_e32 v17, v21, v17
	s_delay_alu instid0(VALU_DEP_2)
	v_or_b32_e32 v16, v20, v16
	s_and_not1_b32 exec_lo, exec_lo, s12
	s_cbranch_execnz .LBB0_22
; %bb.23:                               ;   in Loop: Header=BB0_3 Depth=1
	s_or_b32 exec_lo, exec_lo, s12
.LBB0_24:                               ;   in Loop: Header=BB0_3 Depth=1
	s_delay_alu instid0(SALU_CYCLE_1)
	s_or_b32 exec_lo, exec_lo, s11
	v_mov_b64_e32 v[20:21], v[18:19]
                                        ; implicit-def: $vgpr6
.LBB0_25:                               ;   in Loop: Header=BB0_3 Depth=1
	s_or_saveexec_b32 s0, s10
	v_mov_b32_e32 v0, 0
	s_xor_b32 exec_lo, exec_lo, s0
	s_cbranch_execz .LBB0_27
; %bb.26:                               ;   in Loop: Header=BB0_3 Depth=1
	global_load_b64 v[16:17], v[18:19], off
	v_add_nc_u32_e32 v0, -8, v6
.LBB0_27:                               ;   in Loop: Header=BB0_3 Depth=1
	s_wait_xcnt 0x0
	s_or_b32 exec_lo, exec_lo, s0
	v_add_nc_u64_e32 v[22:23], 8, v[20:21]
                                        ; implicit-def: $vgpr18_vgpr19
	s_mov_b32 s0, exec_lo
	v_cmpx_gt_u32_e32 8, v0
	s_xor_b32 s10, exec_lo, s0
	s_cbranch_execz .LBB0_33
; %bb.28:                               ;   in Loop: Header=BB0_3 Depth=1
	v_mov_b64_e32 v[18:19], 0
	s_mov_b32 s11, exec_lo
	v_cmpx_ne_u32_e32 0, v0
	s_cbranch_execz .LBB0_32
; %bb.29:                               ;   in Loop: Header=BB0_3 Depth=1
	v_mov_b64_e32 v[18:19], 0
	s_mov_b64 s[0:1], 0
	s_mov_b32 s12, 0
	s_mov_b64 s[4:5], 0
.LBB0_30:                               ;   Parent Loop BB0_3 Depth=1
                                        ; =>  This Inner Loop Header: Depth=2
	s_delay_alu instid0(SALU_CYCLE_1) | instskip(SKIP_1) | instid1(SALU_CYCLE_1)
	v_add_nc_u64_e32 v[22:23], s[4:5], v[20:21]
	s_add_nc_u64 s[4:5], s[4:5], 1
	v_cmp_eq_u32_e32 vcc_lo, s4, v0
	global_load_u8 v6, v[22:23], off
	s_wait_xcnt 0x0
	v_mov_b32_e32 v23, s6
	s_or_b32 s12, vcc_lo, s12
	s_wait_loadcnt 0x0
	v_and_b32_e32 v22, 0xffff, v6
	s_delay_alu instid0(VALU_DEP_1) | instskip(SKIP_1) | instid1(VALU_DEP_1)
	v_lshlrev_b64_e32 v[22:23], s0, v[22:23]
	s_add_nc_u64 s[0:1], s[0:1], 8
	v_or_b32_e32 v19, v23, v19
	s_delay_alu instid0(VALU_DEP_2)
	v_or_b32_e32 v18, v22, v18
	s_and_not1_b32 exec_lo, exec_lo, s12
	s_cbranch_execnz .LBB0_30
; %bb.31:                               ;   in Loop: Header=BB0_3 Depth=1
	s_or_b32 exec_lo, exec_lo, s12
.LBB0_32:                               ;   in Loop: Header=BB0_3 Depth=1
	s_delay_alu instid0(SALU_CYCLE_1)
	s_or_b32 exec_lo, exec_lo, s11
	v_mov_b64_e32 v[22:23], v[20:21]
                                        ; implicit-def: $vgpr0
.LBB0_33:                               ;   in Loop: Header=BB0_3 Depth=1
	s_or_saveexec_b32 s0, s10
	v_mov_b32_e32 v6, 0
	s_xor_b32 exec_lo, exec_lo, s0
	s_cbranch_execz .LBB0_35
; %bb.34:                               ;   in Loop: Header=BB0_3 Depth=1
	global_load_b64 v[18:19], v[20:21], off
	v_add_nc_u32_e32 v6, -8, v0
.LBB0_35:                               ;   in Loop: Header=BB0_3 Depth=1
	s_wait_xcnt 0x0
	s_or_b32 exec_lo, exec_lo, s0
	v_add_nc_u64_e32 v[24:25], 8, v[22:23]
	s_mov_b32 s0, exec_lo
	v_cmpx_gt_u32_e32 8, v6
	s_xor_b32 s10, exec_lo, s0
	s_cbranch_execz .LBB0_41
; %bb.36:                               ;   in Loop: Header=BB0_3 Depth=1
	v_mov_b64_e32 v[20:21], 0
	s_mov_b32 s11, exec_lo
	v_cmpx_ne_u32_e32 0, v6
	s_cbranch_execz .LBB0_40
; %bb.37:                               ;   in Loop: Header=BB0_3 Depth=1
	v_mov_b64_e32 v[20:21], 0
	s_mov_b64 s[0:1], 0
	s_mov_b32 s12, 0
	s_mov_b64 s[4:5], 0
.LBB0_38:                               ;   Parent Loop BB0_3 Depth=1
                                        ; =>  This Inner Loop Header: Depth=2
	s_delay_alu instid0(SALU_CYCLE_1) | instskip(SKIP_1) | instid1(SALU_CYCLE_1)
	v_add_nc_u64_e32 v[24:25], s[4:5], v[22:23]
	s_add_nc_u64 s[4:5], s[4:5], 1
	v_cmp_eq_u32_e32 vcc_lo, s4, v6
	global_load_u8 v0, v[24:25], off
	s_wait_xcnt 0x0
	v_mov_b32_e32 v25, s6
	s_or_b32 s12, vcc_lo, s12
	s_wait_loadcnt 0x0
	v_and_b32_e32 v24, 0xffff, v0
	s_delay_alu instid0(VALU_DEP_1) | instskip(SKIP_1) | instid1(VALU_DEP_1)
	v_lshlrev_b64_e32 v[24:25], s0, v[24:25]
	s_add_nc_u64 s[0:1], s[0:1], 8
	v_or_b32_e32 v21, v25, v21
	s_delay_alu instid0(VALU_DEP_2)
	v_or_b32_e32 v20, v24, v20
	s_and_not1_b32 exec_lo, exec_lo, s12
	s_cbranch_execnz .LBB0_38
; %bb.39:                               ;   in Loop: Header=BB0_3 Depth=1
	s_or_b32 exec_lo, exec_lo, s12
.LBB0_40:                               ;   in Loop: Header=BB0_3 Depth=1
	s_delay_alu instid0(SALU_CYCLE_1)
	s_or_b32 exec_lo, exec_lo, s11
	v_mov_b64_e32 v[24:25], v[22:23]
                                        ; implicit-def: $vgpr6
.LBB0_41:                               ;   in Loop: Header=BB0_3 Depth=1
	s_or_saveexec_b32 s0, s10
	v_mov_b32_e32 v0, 0
	s_xor_b32 exec_lo, exec_lo, s0
	s_cbranch_execz .LBB0_43
; %bb.42:                               ;   in Loop: Header=BB0_3 Depth=1
	global_load_b64 v[20:21], v[22:23], off
	v_add_nc_u32_e32 v0, -8, v6
.LBB0_43:                               ;   in Loop: Header=BB0_3 Depth=1
	s_wait_xcnt 0x0
	s_or_b32 exec_lo, exec_lo, s0
	v_add_nc_u64_e32 v[26:27], 8, v[24:25]
                                        ; implicit-def: $vgpr22_vgpr23
	s_mov_b32 s0, exec_lo
	v_cmpx_gt_u32_e32 8, v0
	s_xor_b32 s10, exec_lo, s0
	s_cbranch_execz .LBB0_49
; %bb.44:                               ;   in Loop: Header=BB0_3 Depth=1
	v_mov_b64_e32 v[22:23], 0
	s_mov_b32 s11, exec_lo
	v_cmpx_ne_u32_e32 0, v0
	s_cbranch_execz .LBB0_48
; %bb.45:                               ;   in Loop: Header=BB0_3 Depth=1
	v_mov_b64_e32 v[22:23], 0
	s_mov_b64 s[0:1], 0
	s_mov_b32 s12, 0
	s_mov_b64 s[4:5], 0
.LBB0_46:                               ;   Parent Loop BB0_3 Depth=1
                                        ; =>  This Inner Loop Header: Depth=2
	s_delay_alu instid0(SALU_CYCLE_1) | instskip(SKIP_1) | instid1(SALU_CYCLE_1)
	v_add_nc_u64_e32 v[26:27], s[4:5], v[24:25]
	s_add_nc_u64 s[4:5], s[4:5], 1
	v_cmp_eq_u32_e32 vcc_lo, s4, v0
	global_load_u8 v6, v[26:27], off
	s_wait_xcnt 0x0
	v_mov_b32_e32 v27, s6
	s_or_b32 s12, vcc_lo, s12
	s_wait_loadcnt 0x0
	v_and_b32_e32 v26, 0xffff, v6
	s_delay_alu instid0(VALU_DEP_1) | instskip(SKIP_1) | instid1(VALU_DEP_1)
	v_lshlrev_b64_e32 v[26:27], s0, v[26:27]
	s_add_nc_u64 s[0:1], s[0:1], 8
	v_or_b32_e32 v23, v27, v23
	s_delay_alu instid0(VALU_DEP_2)
	v_or_b32_e32 v22, v26, v22
	s_and_not1_b32 exec_lo, exec_lo, s12
	s_cbranch_execnz .LBB0_46
; %bb.47:                               ;   in Loop: Header=BB0_3 Depth=1
	s_or_b32 exec_lo, exec_lo, s12
.LBB0_48:                               ;   in Loop: Header=BB0_3 Depth=1
	s_delay_alu instid0(SALU_CYCLE_1)
	s_or_b32 exec_lo, exec_lo, s11
	v_mov_b64_e32 v[26:27], v[24:25]
                                        ; implicit-def: $vgpr0
.LBB0_49:                               ;   in Loop: Header=BB0_3 Depth=1
	s_or_saveexec_b32 s0, s10
	v_mov_b32_e32 v6, 0
	s_xor_b32 exec_lo, exec_lo, s0
	s_cbranch_execz .LBB0_51
; %bb.50:                               ;   in Loop: Header=BB0_3 Depth=1
	global_load_b64 v[22:23], v[24:25], off
	v_add_nc_u32_e32 v6, -8, v0
.LBB0_51:                               ;   in Loop: Header=BB0_3 Depth=1
	s_wait_xcnt 0x0
	s_or_b32 exec_lo, exec_lo, s0
	s_delay_alu instid0(SALU_CYCLE_1) | instskip(NEXT) | instid1(VALU_DEP_1)
	s_mov_b32 s0, exec_lo
	v_cmpx_gt_u32_e32 8, v6
	s_xor_b32 s4, exec_lo, s0
	s_cbranch_execz .LBB0_57
; %bb.52:                               ;   in Loop: Header=BB0_3 Depth=1
	v_mov_b64_e32 v[24:25], 0
	s_mov_b32 s5, exec_lo
	v_cmpx_ne_u32_e32 0, v6
	s_cbranch_execz .LBB0_56
; %bb.53:                               ;   in Loop: Header=BB0_3 Depth=1
	v_mov_b64_e32 v[24:25], 0
	s_mov_b64 s[0:1], 0
	s_mov_b32 s10, 0
.LBB0_54:                               ;   Parent Loop BB0_3 Depth=1
                                        ; =>  This Inner Loop Header: Depth=2
	global_load_u8 v0, v[26:27], off
	v_dual_mov_b32 v29, s6 :: v_dual_add_nc_u32 v6, -1, v6
	s_wait_xcnt 0x0
	v_add_nc_u64_e32 v[26:27], 1, v[26:27]
	s_delay_alu instid0(VALU_DEP_2) | instskip(SKIP_3) | instid1(VALU_DEP_1)
	v_cmp_eq_u32_e32 vcc_lo, 0, v6
	s_or_b32 s10, vcc_lo, s10
	s_wait_loadcnt 0x0
	v_and_b32_e32 v28, 0xffff, v0
	v_lshlrev_b64_e32 v[28:29], s0, v[28:29]
	s_add_nc_u64 s[0:1], s[0:1], 8
	s_delay_alu instid0(VALU_DEP_1) | instskip(NEXT) | instid1(VALU_DEP_2)
	v_or_b32_e32 v25, v29, v25
	v_or_b32_e32 v24, v28, v24
	s_and_not1_b32 exec_lo, exec_lo, s10
	s_cbranch_execnz .LBB0_54
; %bb.55:                               ;   in Loop: Header=BB0_3 Depth=1
	s_or_b32 exec_lo, exec_lo, s10
.LBB0_56:                               ;   in Loop: Header=BB0_3 Depth=1
	s_delay_alu instid0(SALU_CYCLE_1)
	s_or_b32 exec_lo, exec_lo, s5
                                        ; implicit-def: $vgpr26_vgpr27
.LBB0_57:                               ;   in Loop: Header=BB0_3 Depth=1
	s_and_not1_saveexec_b32 s0, s4
	s_cbranch_execz .LBB0_59
; %bb.58:                               ;   in Loop: Header=BB0_3 Depth=1
	global_load_b64 v[24:25], v[26:27], off
.LBB0_59:                               ;   in Loop: Header=BB0_3 Depth=1
	s_wait_xcnt 0x0
	s_or_b32 exec_lo, exec_lo, s0
	v_readfirstlane_b32 s0, v30
	v_mov_b64_e32 v[36:37], 0
	s_delay_alu instid0(VALU_DEP_2)
	v_cmp_eq_u32_e64 s0, s0, v30
	s_and_saveexec_b32 s1, s0
	s_cbranch_execz .LBB0_65
; %bb.60:                               ;   in Loop: Header=BB0_3 Depth=1
	s_wait_kmcnt 0x0
	global_load_b64 v[28:29], v7, s[2:3] offset:24 scope:SCOPE_SYS
	s_wait_loadcnt 0x0
	global_inv scope:SCOPE_SYS
	s_clause 0x1
	global_load_b64 v[26:27], v7, s[2:3] offset:40
	global_load_b64 v[36:37], v7, s[2:3]
	s_mov_b32 s4, exec_lo
	s_wait_loadcnt 0x1
	v_and_b32_e32 v26, v26, v28
	v_and_b32_e32 v27, v27, v29
	s_delay_alu instid0(VALU_DEP_1) | instskip(SKIP_1) | instid1(VALU_DEP_1)
	v_mul_u64_e32 v[26:27], 24, v[26:27]
	s_wait_loadcnt 0x0
	v_add_nc_u64_e32 v[26:27], v[36:37], v[26:27]
	global_load_b64 v[26:27], v[26:27], off scope:SCOPE_SYS
	s_wait_xcnt 0x0
	s_wait_loadcnt 0x0
	global_atomic_cmpswap_b64 v[36:37], v7, v[26:29], s[2:3] offset:24 th:TH_ATOMIC_RETURN scope:SCOPE_SYS
	s_wait_loadcnt 0x0
	global_inv scope:SCOPE_SYS
	s_wait_xcnt 0x0
	v_cmpx_ne_u64_e64 v[36:37], v[28:29]
	s_cbranch_execz .LBB0_64
; %bb.61:                               ;   in Loop: Header=BB0_3 Depth=1
	s_mov_b32 s5, 0
.LBB0_62:                               ;   Parent Loop BB0_3 Depth=1
                                        ; =>  This Inner Loop Header: Depth=2
	s_sleep 1
	s_clause 0x1
	global_load_b64 v[26:27], v7, s[2:3] offset:40
	global_load_b64 v[38:39], v7, s[2:3]
	v_mov_b64_e32 v[28:29], v[36:37]
	s_wait_loadcnt 0x1
	s_delay_alu instid0(VALU_DEP_1) | instskip(SKIP_1) | instid1(VALU_DEP_1)
	v_and_b32_e32 v0, v26, v28
	s_wait_loadcnt 0x0
	v_mad_nc_u64_u32 v[36:37], v0, 24, v[38:39]
	s_delay_alu instid0(VALU_DEP_3) | instskip(NEXT) | instid1(VALU_DEP_1)
	v_and_b32_e32 v0, v27, v29
	v_mad_u32 v37, v0, 24, v37
	global_load_b64 v[26:27], v[36:37], off scope:SCOPE_SYS
	s_wait_xcnt 0x0
	s_wait_loadcnt 0x0
	global_atomic_cmpswap_b64 v[36:37], v7, v[26:29], s[2:3] offset:24 th:TH_ATOMIC_RETURN scope:SCOPE_SYS
	s_wait_loadcnt 0x0
	global_inv scope:SCOPE_SYS
	v_cmp_eq_u64_e32 vcc_lo, v[36:37], v[28:29]
	s_or_b32 s5, vcc_lo, s5
	s_wait_xcnt 0x0
	s_and_not1_b32 exec_lo, exec_lo, s5
	s_cbranch_execnz .LBB0_62
; %bb.63:                               ;   in Loop: Header=BB0_3 Depth=1
	s_or_b32 exec_lo, exec_lo, s5
.LBB0_64:                               ;   in Loop: Header=BB0_3 Depth=1
	s_delay_alu instid0(SALU_CYCLE_1)
	s_or_b32 exec_lo, exec_lo, s4
.LBB0_65:                               ;   in Loop: Header=BB0_3 Depth=1
	s_delay_alu instid0(SALU_CYCLE_1)
	s_or_b32 exec_lo, exec_lo, s1
	s_wait_kmcnt 0x0
	s_clause 0x1
	global_load_b64 v[38:39], v7, s[2:3] offset:40
	global_load_b128 v[26:29], v7, s[2:3]
	v_readfirstlane_b32 s4, v36
	v_readfirstlane_b32 s5, v37
	s_mov_b32 s1, exec_lo
	s_wait_loadcnt 0x1
	v_and_b32_e32 v38, s4, v38
	v_and_b32_e32 v39, s5, v39
	s_delay_alu instid0(VALU_DEP_1) | instskip(SKIP_1) | instid1(VALU_DEP_1)
	v_mul_u64_e32 v[36:37], 24, v[38:39]
	s_wait_loadcnt 0x0
	v_add_nc_u64_e32 v[36:37], v[26:27], v[36:37]
	s_wait_xcnt 0x0
	s_and_saveexec_b32 s10, s0
	s_cbranch_execz .LBB0_67
; %bb.66:                               ;   in Loop: Header=BB0_3 Depth=1
	v_mov_b32_e32 v6, s1
	global_store_b128 v[36:37], v[6:9], off offset:8
.LBB0_67:                               ;   in Loop: Header=BB0_3 Depth=1
	s_wait_xcnt 0x0
	s_or_b32 exec_lo, exec_lo, s10
	v_cmp_gt_u64_e32 vcc_lo, 57, v[4:5]
	v_lshlrev_b64_e32 v[38:39], 12, v[38:39]
	v_and_b32_e32 v6, 0xffffff1f, v10
	v_lshl_add_u32 v10, v34, 2, 28
	v_cndmask_b32_e32 v0, 0, v2, vcc_lo
	s_delay_alu instid0(VALU_DEP_4) | instskip(NEXT) | instid1(VALU_DEP_2)
	v_add_nc_u64_e32 v[28:29], v[28:29], v[38:39]
	v_dual_lshlrev_b32 v6, 6, v30 :: v_dual_bitop2_b32 v0, v6, v0 bitop3:0x54
	s_delay_alu instid0(VALU_DEP_2) | instskip(NEXT) | instid1(VALU_DEP_3)
	v_readfirstlane_b32 s10, v28
	v_readfirstlane_b32 s11, v29
	s_delay_alu instid0(VALU_DEP_3)
	v_and_or_b32 v10, 0x1e0, v10, v0
	s_clause 0x3
	global_store_b128 v6, v[10:13], s[10:11]
	global_store_b128 v6, v[14:17], s[10:11] offset:16
	global_store_b128 v6, v[18:21], s[10:11] offset:32
	;; [unrolled: 1-line block ×3, first 2 shown]
	s_wait_xcnt 0x0
	s_and_saveexec_b32 s1, s0
	s_cbranch_execz .LBB0_75
; %bb.68:                               ;   in Loop: Header=BB0_3 Depth=1
	s_clause 0x1
	global_load_b64 v[18:19], v7, s[2:3] offset:32 scope:SCOPE_SYS
	global_load_b64 v[10:11], v7, s[2:3] offset:40
	s_mov_b32 s10, exec_lo
	v_dual_mov_b32 v16, s4 :: v_dual_mov_b32 v17, s5
	s_wait_loadcnt 0x0
	v_and_b32_e32 v11, s5, v11
	v_and_b32_e32 v10, s4, v10
	s_delay_alu instid0(VALU_DEP_1) | instskip(NEXT) | instid1(VALU_DEP_1)
	v_mul_u64_e32 v[10:11], 24, v[10:11]
	v_add_nc_u64_e32 v[14:15], v[26:27], v[10:11]
	global_store_b64 v[14:15], v[18:19], off
	global_wb scope:SCOPE_SYS
	s_wait_storecnt 0x0
	s_wait_xcnt 0x0
	global_atomic_cmpswap_b64 v[12:13], v7, v[16:19], s[2:3] offset:32 th:TH_ATOMIC_RETURN scope:SCOPE_SYS
	s_wait_loadcnt 0x0
	v_cmpx_ne_u64_e64 v[12:13], v[18:19]
	s_cbranch_execz .LBB0_71
; %bb.69:                               ;   in Loop: Header=BB0_3 Depth=1
	s_mov_b32 s11, 0
.LBB0_70:                               ;   Parent Loop BB0_3 Depth=1
                                        ; =>  This Inner Loop Header: Depth=2
	v_dual_mov_b32 v10, s4 :: v_dual_mov_b32 v11, s5
	s_sleep 1
	global_store_b64 v[14:15], v[12:13], off
	global_wb scope:SCOPE_SYS
	s_wait_storecnt 0x0
	s_wait_xcnt 0x0
	global_atomic_cmpswap_b64 v[10:11], v7, v[10:13], s[2:3] offset:32 th:TH_ATOMIC_RETURN scope:SCOPE_SYS
	s_wait_loadcnt 0x0
	v_cmp_eq_u64_e32 vcc_lo, v[10:11], v[12:13]
	v_mov_b64_e32 v[12:13], v[10:11]
	s_or_b32 s11, vcc_lo, s11
	s_delay_alu instid0(SALU_CYCLE_1)
	s_and_not1_b32 exec_lo, exec_lo, s11
	s_cbranch_execnz .LBB0_70
.LBB0_71:                               ;   in Loop: Header=BB0_3 Depth=1
	s_or_b32 exec_lo, exec_lo, s10
	global_load_b64 v[10:11], v7, s[2:3] offset:16
	s_mov_b32 s11, exec_lo
	s_mov_b32 s10, exec_lo
	v_mbcnt_lo_u32_b32 v0, s11, 0
	s_wait_xcnt 0x0
	s_delay_alu instid0(VALU_DEP_1)
	v_cmpx_eq_u32_e32 0, v0
	s_cbranch_execz .LBB0_73
; %bb.72:                               ;   in Loop: Header=BB0_3 Depth=1
	s_bcnt1_i32_b32 s11, s11
	s_delay_alu instid0(SALU_CYCLE_1)
	v_dual_mov_b32 v13, v7 :: v_dual_mov_b32 v12, s11
	global_wb scope:SCOPE_SYS
	s_wait_loadcnt 0x0
	s_wait_storecnt 0x0
	global_atomic_add_u64 v[10:11], v[12:13], off offset:8 scope:SCOPE_SYS
.LBB0_73:                               ;   in Loop: Header=BB0_3 Depth=1
	s_wait_xcnt 0x0
	s_or_b32 exec_lo, exec_lo, s10
	s_wait_loadcnt 0x0
	global_load_b64 v[12:13], v[10:11], off offset:16
	s_wait_loadcnt 0x0
	v_cmp_eq_u64_e32 vcc_lo, 0, v[12:13]
	s_cbranch_vccnz .LBB0_75
; %bb.74:                               ;   in Loop: Header=BB0_3 Depth=1
	global_load_b32 v10, v[10:11], off offset:24
	s_wait_xcnt 0x0
	v_mov_b32_e32 v11, v7
	s_wait_loadcnt 0x0
	v_readfirstlane_b32 s10, v10
	global_wb scope:SCOPE_SYS
	s_wait_storecnt 0x0
	global_store_b64 v[12:13], v[10:11], off scope:SCOPE_SYS
	s_and_b32 m0, s10, 0xffffff
	s_sendmsg sendmsg(MSG_INTERRUPT)
.LBB0_75:                               ;   in Loop: Header=BB0_3 Depth=1
	s_wait_xcnt 0x0
	s_or_b32 exec_lo, exec_lo, s1
	v_add_nc_u64_e32 v[10:11], v[28:29], v[6:7]
	s_branch .LBB0_79
.LBB0_76:                               ;   in Loop: Header=BB0_79 Depth=2
	s_wait_xcnt 0x0
	s_or_b32 exec_lo, exec_lo, s1
	s_delay_alu instid0(VALU_DEP_1)
	v_readfirstlane_b32 s1, v0
	s_cmp_eq_u32 s1, 0
	s_cbranch_scc1 .LBB0_78
; %bb.77:                               ;   in Loop: Header=BB0_79 Depth=2
	s_sleep 1
	s_cbranch_execnz .LBB0_79
	s_branch .LBB0_81
.LBB0_78:                               ;   in Loop: Header=BB0_3 Depth=1
	s_branch .LBB0_81
.LBB0_79:                               ;   Parent Loop BB0_3 Depth=1
                                        ; =>  This Inner Loop Header: Depth=2
	v_mov_b32_e32 v0, 1
	s_and_saveexec_b32 s1, s0
	s_cbranch_execz .LBB0_76
; %bb.80:                               ;   in Loop: Header=BB0_79 Depth=2
	global_load_b32 v0, v[36:37], off offset:20 scope:SCOPE_SYS
	s_wait_loadcnt 0x0
	global_inv scope:SCOPE_SYS
	v_and_b32_e32 v0, 1, v0
	s_branch .LBB0_76
.LBB0_81:                               ;   in Loop: Header=BB0_3 Depth=1
	global_load_b128 v[10:13], v[10:11], off
	s_wait_xcnt 0x0
	s_and_saveexec_b32 s10, s0
	s_cbranch_execz .LBB0_2
; %bb.82:                               ;   in Loop: Header=BB0_3 Depth=1
	s_wait_loadcnt 0x0
	s_clause 0x2
	global_load_b64 v[12:13], v7, s[2:3] offset:40
	global_load_b64 v[20:21], v7, s[2:3] offset:24 scope:SCOPE_SYS
	global_load_b64 v[14:15], v7, s[2:3]
	s_wait_loadcnt 0x2
	v_readfirstlane_b32 s12, v12
	v_readfirstlane_b32 s13, v13
	s_add_nc_u64 s[0:1], s[12:13], 1
	s_delay_alu instid0(SALU_CYCLE_1) | instskip(NEXT) | instid1(SALU_CYCLE_1)
	s_add_nc_u64 s[4:5], s[0:1], s[4:5]
	s_cmp_eq_u64 s[4:5], 0
	s_cselect_b32 s1, s1, s5
	s_cselect_b32 s0, s0, s4
	s_delay_alu instid0(SALU_CYCLE_1) | instskip(SKIP_1) | instid1(SALU_CYCLE_1)
	v_dual_mov_b32 v19, s1 :: v_dual_mov_b32 v18, s0
	s_and_b64 s[4:5], s[0:1], s[12:13]
	s_mul_u64 s[4:5], s[4:5], 24
	s_wait_loadcnt 0x0
	v_add_nc_u64_e32 v[16:17], s[4:5], v[14:15]
	global_store_b64 v[16:17], v[20:21], off
	global_wb scope:SCOPE_SYS
	s_wait_storecnt 0x0
	s_wait_xcnt 0x0
	global_atomic_cmpswap_b64 v[14:15], v7, v[18:21], s[2:3] offset:24 th:TH_ATOMIC_RETURN scope:SCOPE_SYS
	s_wait_loadcnt 0x0
	v_cmp_ne_u64_e32 vcc_lo, v[14:15], v[20:21]
	s_and_b32 exec_lo, exec_lo, vcc_lo
	s_cbranch_execz .LBB0_2
; %bb.83:                               ;   in Loop: Header=BB0_3 Depth=1
	s_mov_b32 s4, 0
.LBB0_84:                               ;   Parent Loop BB0_3 Depth=1
                                        ; =>  This Inner Loop Header: Depth=2
	v_dual_mov_b32 v12, s0 :: v_dual_mov_b32 v13, s1
	s_sleep 1
	global_store_b64 v[16:17], v[14:15], off
	global_wb scope:SCOPE_SYS
	s_wait_storecnt 0x0
	s_wait_xcnt 0x0
	global_atomic_cmpswap_b64 v[12:13], v7, v[12:15], s[2:3] offset:24 th:TH_ATOMIC_RETURN scope:SCOPE_SYS
	s_wait_loadcnt 0x0
	v_cmp_eq_u64_e32 vcc_lo, v[12:13], v[14:15]
	v_mov_b64_e32 v[14:15], v[12:13]
	s_or_b32 s4, vcc_lo, s4
	s_delay_alu instid0(SALU_CYCLE_1)
	s_and_not1_b32 exec_lo, exec_lo, s4
	s_cbranch_execnz .LBB0_84
	s_branch .LBB0_2
.LBB0_85:
	s_or_b32 exec_lo, exec_lo, s7
	s_branch .LBB0_114
.LBB0_86:
	s_load_b64 s[2:3], s[8:9], 0x50
	v_readfirstlane_b32 s0, v30
	v_mov_b64_e32 v[8:9], 0
	s_delay_alu instid0(VALU_DEP_2)
	v_cmp_eq_u32_e64 s0, s0, v30
	s_and_saveexec_b32 s1, s0
	s_cbranch_execz .LBB0_92
; %bb.87:
	v_mov_b32_e32 v0, 0
	s_mov_b32 s4, exec_lo
	s_wait_kmcnt 0x0
	global_load_b64 v[6:7], v0, s[2:3] offset:24 scope:SCOPE_SYS
	s_wait_loadcnt 0x0
	global_inv scope:SCOPE_SYS
	s_clause 0x1
	global_load_b64 v[4:5], v0, s[2:3] offset:40
	global_load_b64 v[8:9], v0, s[2:3]
	s_wait_loadcnt 0x1
	v_and_b32_e32 v4, v4, v6
	v_and_b32_e32 v5, v5, v7
	s_delay_alu instid0(VALU_DEP_1) | instskip(SKIP_1) | instid1(VALU_DEP_1)
	v_mul_u64_e32 v[4:5], 24, v[4:5]
	s_wait_loadcnt 0x0
	v_add_nc_u64_e32 v[4:5], v[8:9], v[4:5]
	global_load_b64 v[4:5], v[4:5], off scope:SCOPE_SYS
	s_wait_xcnt 0x0
	s_wait_loadcnt 0x0
	global_atomic_cmpswap_b64 v[8:9], v0, v[4:7], s[2:3] offset:24 th:TH_ATOMIC_RETURN scope:SCOPE_SYS
	s_wait_loadcnt 0x0
	global_inv scope:SCOPE_SYS
	s_wait_xcnt 0x0
	v_cmpx_ne_u64_e64 v[8:9], v[6:7]
	s_cbranch_execz .LBB0_91
; %bb.88:
	s_mov_b32 s5, 0
.LBB0_89:                               ; =>This Inner Loop Header: Depth=1
	s_sleep 1
	s_clause 0x1
	global_load_b64 v[4:5], v0, s[2:3] offset:40
	global_load_b64 v[10:11], v0, s[2:3]
	v_mov_b64_e32 v[6:7], v[8:9]
	s_wait_loadcnt 0x1
	s_delay_alu instid0(VALU_DEP_1) | instskip(SKIP_1) | instid1(VALU_DEP_1)
	v_and_b32_e32 v2, v4, v6
	s_wait_loadcnt 0x0
	v_mad_nc_u64_u32 v[8:9], v2, 24, v[10:11]
	s_delay_alu instid0(VALU_DEP_3) | instskip(NEXT) | instid1(VALU_DEP_1)
	v_and_b32_e32 v2, v5, v7
	v_mad_u32 v9, v2, 24, v9
	global_load_b64 v[4:5], v[8:9], off scope:SCOPE_SYS
	s_wait_xcnt 0x0
	s_wait_loadcnt 0x0
	global_atomic_cmpswap_b64 v[8:9], v0, v[4:7], s[2:3] offset:24 th:TH_ATOMIC_RETURN scope:SCOPE_SYS
	s_wait_loadcnt 0x0
	global_inv scope:SCOPE_SYS
	v_cmp_eq_u64_e32 vcc_lo, v[8:9], v[6:7]
	s_or_b32 s5, vcc_lo, s5
	s_wait_xcnt 0x0
	s_and_not1_b32 exec_lo, exec_lo, s5
	s_cbranch_execnz .LBB0_89
; %bb.90:
	s_or_b32 exec_lo, exec_lo, s5
.LBB0_91:
	s_delay_alu instid0(SALU_CYCLE_1)
	s_or_b32 exec_lo, exec_lo, s4
.LBB0_92:
	s_delay_alu instid0(SALU_CYCLE_1)
	s_or_b32 exec_lo, exec_lo, s1
	v_readfirstlane_b32 s4, v8
	v_mov_b32_e32 v2, 0
	v_readfirstlane_b32 s5, v9
	s_mov_b32 s1, exec_lo
	s_wait_loadcnt 0x0
	s_wait_kmcnt 0x0
	s_clause 0x1
	global_load_b64 v[10:11], v2, s[2:3] offset:40
	global_load_b128 v[4:7], v2, s[2:3]
	s_wait_loadcnt 0x1
	v_and_b32_e32 v10, s4, v10
	v_and_b32_e32 v11, s5, v11
	s_delay_alu instid0(VALU_DEP_1) | instskip(SKIP_1) | instid1(VALU_DEP_1)
	v_mul_u64_e32 v[8:9], 24, v[10:11]
	s_wait_loadcnt 0x0
	v_add_nc_u64_e32 v[8:9], v[4:5], v[8:9]
	s_wait_xcnt 0x0
	s_and_saveexec_b32 s6, s0
	s_cbranch_execz .LBB0_94
; %bb.93:
	v_mov_b64_e32 v[14:15], 0x100000002
	v_dual_mov_b32 v12, s1 :: v_dual_mov_b32 v13, v2
	global_store_b128 v[8:9], v[12:15], off offset:8
.LBB0_94:
	s_wait_xcnt 0x0
	s_or_b32 exec_lo, exec_lo, s6
	v_lshlrev_b64_e32 v[10:11], 12, v[10:11]
	s_mov_b32 s8, 0
	v_and_or_b32 v0, 0xffffff1f, v3, 32
	s_mov_b32 s10, s8
	s_mov_b32 s11, s8
	;; [unrolled: 1-line block ×3, first 2 shown]
	v_dual_mov_b32 v3, v2 :: v_dual_lshlrev_b32 v14, 6, v30
	v_add_nc_u64_e32 v[6:7], v[6:7], v[10:11]
	v_mov_b64_e32 v[12:13], s[10:11]
	v_mov_b64_e32 v[10:11], s[8:9]
	s_delay_alu instid0(VALU_DEP_3) | instskip(NEXT) | instid1(VALU_DEP_4)
	v_readfirstlane_b32 s6, v6
	v_readfirstlane_b32 s7, v7
	s_clause 0x3
	global_store_b128 v14, v[0:3], s[6:7]
	global_store_b128 v14, v[10:13], s[6:7] offset:16
	global_store_b128 v14, v[10:13], s[6:7] offset:32
	;; [unrolled: 1-line block ×3, first 2 shown]
	s_wait_xcnt 0x0
	s_and_saveexec_b32 s1, s0
	s_cbranch_execz .LBB0_102
; %bb.95:
	v_dual_mov_b32 v6, 0 :: v_dual_mov_b32 v11, s5
	s_mov_b32 s6, exec_lo
	s_clause 0x1
	global_load_b64 v[12:13], v6, s[2:3] offset:32 scope:SCOPE_SYS
	global_load_b64 v[0:1], v6, s[2:3] offset:40
	s_wait_loadcnt 0x0
	v_dual_mov_b32 v10, s4 :: v_dual_bitop2_b32 v1, s5, v1 bitop3:0x40
	v_and_b32_e32 v0, s4, v0
	s_delay_alu instid0(VALU_DEP_1) | instskip(NEXT) | instid1(VALU_DEP_1)
	v_mul_u64_e32 v[0:1], 24, v[0:1]
	v_add_nc_u64_e32 v[4:5], v[4:5], v[0:1]
	global_store_b64 v[4:5], v[12:13], off
	global_wb scope:SCOPE_SYS
	s_wait_storecnt 0x0
	s_wait_xcnt 0x0
	global_atomic_cmpswap_b64 v[2:3], v6, v[10:13], s[2:3] offset:32 th:TH_ATOMIC_RETURN scope:SCOPE_SYS
	s_wait_loadcnt 0x0
	v_cmpx_ne_u64_e64 v[2:3], v[12:13]
	s_cbranch_execz .LBB0_98
; %bb.96:
	s_mov_b32 s7, 0
.LBB0_97:                               ; =>This Inner Loop Header: Depth=1
	v_dual_mov_b32 v0, s4 :: v_dual_mov_b32 v1, s5
	s_sleep 1
	global_store_b64 v[4:5], v[2:3], off
	global_wb scope:SCOPE_SYS
	s_wait_storecnt 0x0
	s_wait_xcnt 0x0
	global_atomic_cmpswap_b64 v[0:1], v6, v[0:3], s[2:3] offset:32 th:TH_ATOMIC_RETURN scope:SCOPE_SYS
	s_wait_loadcnt 0x0
	v_cmp_eq_u64_e32 vcc_lo, v[0:1], v[2:3]
	v_mov_b64_e32 v[2:3], v[0:1]
	s_or_b32 s7, vcc_lo, s7
	s_delay_alu instid0(SALU_CYCLE_1)
	s_and_not1_b32 exec_lo, exec_lo, s7
	s_cbranch_execnz .LBB0_97
.LBB0_98:
	s_or_b32 exec_lo, exec_lo, s6
	v_mov_b32_e32 v3, 0
	s_mov_b32 s7, exec_lo
	s_mov_b32 s6, exec_lo
	v_mbcnt_lo_u32_b32 v2, s7, 0
	global_load_b64 v[0:1], v3, s[2:3] offset:16
	s_wait_xcnt 0x0
	v_cmpx_eq_u32_e32 0, v2
	s_cbranch_execz .LBB0_100
; %bb.99:
	s_bcnt1_i32_b32 s7, s7
	s_delay_alu instid0(SALU_CYCLE_1)
	v_mov_b32_e32 v2, s7
	global_wb scope:SCOPE_SYS
	s_wait_loadcnt 0x0
	s_wait_storecnt 0x0
	global_atomic_add_u64 v[0:1], v[2:3], off offset:8 scope:SCOPE_SYS
.LBB0_100:
	s_wait_xcnt 0x0
	s_or_b32 exec_lo, exec_lo, s6
	s_wait_loadcnt 0x0
	global_load_b64 v[2:3], v[0:1], off offset:16
	s_wait_loadcnt 0x0
	v_cmp_eq_u64_e32 vcc_lo, 0, v[2:3]
	s_cbranch_vccnz .LBB0_102
; %bb.101:
	global_load_b32 v0, v[0:1], off offset:24
	s_wait_xcnt 0x0
	v_mov_b32_e32 v1, 0
	s_wait_loadcnt 0x0
	v_readfirstlane_b32 s6, v0
	global_wb scope:SCOPE_SYS
	s_wait_storecnt 0x0
	global_store_b64 v[2:3], v[0:1], off scope:SCOPE_SYS
	s_and_b32 m0, s6, 0xffffff
	s_sendmsg sendmsg(MSG_INTERRUPT)
.LBB0_102:
	s_wait_xcnt 0x0
	s_or_b32 exec_lo, exec_lo, s1
	s_branch .LBB0_106
.LBB0_103:                              ;   in Loop: Header=BB0_106 Depth=1
	s_wait_xcnt 0x0
	s_or_b32 exec_lo, exec_lo, s1
	s_delay_alu instid0(VALU_DEP_1)
	v_readfirstlane_b32 s1, v0
	s_cmp_eq_u32 s1, 0
	s_cbranch_scc1 .LBB0_105
; %bb.104:                              ;   in Loop: Header=BB0_106 Depth=1
	s_sleep 1
	s_cbranch_execnz .LBB0_106
	s_branch .LBB0_108
.LBB0_105:
	s_branch .LBB0_108
.LBB0_106:                              ; =>This Inner Loop Header: Depth=1
	v_mov_b32_e32 v0, 1
	s_and_saveexec_b32 s1, s0
	s_cbranch_execz .LBB0_103
; %bb.107:                              ;   in Loop: Header=BB0_106 Depth=1
	global_load_b32 v0, v[8:9], off offset:20 scope:SCOPE_SYS
	s_wait_loadcnt 0x0
	global_inv scope:SCOPE_SYS
	v_and_b32_e32 v0, 1, v0
	s_branch .LBB0_103
.LBB0_108:
	s_and_saveexec_b32 s6, s0
	s_cbranch_execz .LBB0_112
; %bb.109:
	v_mov_b32_e32 v6, 0
	s_clause 0x2
	global_load_b64 v[0:1], v6, s[2:3] offset:40
	global_load_b64 v[10:11], v6, s[2:3] offset:24 scope:SCOPE_SYS
	global_load_b64 v[2:3], v6, s[2:3]
	s_wait_loadcnt 0x2
	v_readfirstlane_b32 s8, v0
	v_readfirstlane_b32 s9, v1
	s_add_nc_u64 s[0:1], s[8:9], 1
	s_delay_alu instid0(SALU_CYCLE_1) | instskip(NEXT) | instid1(SALU_CYCLE_1)
	s_add_nc_u64 s[4:5], s[0:1], s[4:5]
	s_cmp_eq_u64 s[4:5], 0
	s_cselect_b32 s1, s1, s5
	s_cselect_b32 s0, s0, s4
	v_mov_b32_e32 v9, s1
	s_and_b64 s[4:5], s[0:1], s[8:9]
	v_mov_b32_e32 v8, s0
	s_mul_u64 s[4:5], s[4:5], 24
	s_wait_loadcnt 0x0
	v_add_nc_u64_e32 v[4:5], s[4:5], v[2:3]
	global_store_b64 v[4:5], v[10:11], off
	global_wb scope:SCOPE_SYS
	s_wait_storecnt 0x0
	s_wait_xcnt 0x0
	global_atomic_cmpswap_b64 v[2:3], v6, v[8:11], s[2:3] offset:24 th:TH_ATOMIC_RETURN scope:SCOPE_SYS
	s_wait_loadcnt 0x0
	v_cmp_ne_u64_e32 vcc_lo, v[2:3], v[10:11]
	s_and_b32 exec_lo, exec_lo, vcc_lo
	s_cbranch_execz .LBB0_112
; %bb.110:
	s_mov_b32 s4, 0
.LBB0_111:                              ; =>This Inner Loop Header: Depth=1
	v_dual_mov_b32 v0, s0 :: v_dual_mov_b32 v1, s1
	s_sleep 1
	global_store_b64 v[4:5], v[2:3], off
	global_wb scope:SCOPE_SYS
	s_wait_storecnt 0x0
	s_wait_xcnt 0x0
	global_atomic_cmpswap_b64 v[0:1], v6, v[0:3], s[2:3] offset:24 th:TH_ATOMIC_RETURN scope:SCOPE_SYS
	s_wait_loadcnt 0x0
	v_cmp_eq_u64_e32 vcc_lo, v[0:1], v[2:3]
	v_mov_b64_e32 v[2:3], v[0:1]
	s_or_b32 s4, vcc_lo, s4
	s_delay_alu instid0(SALU_CYCLE_1)
	s_and_not1_b32 exec_lo, exec_lo, s4
	s_cbranch_execnz .LBB0_111
.LBB0_112:
	s_or_b32 exec_lo, exec_lo, s6
	s_wait_loadcnt 0x0
	s_wait_kmcnt 0x0
	s_set_pc_i64 s[30:31]
.LBB0_113:
	s_cbranch_execnz .LBB0_86
.LBB0_114:
	s_wait_loadcnt 0x0
	s_wait_kmcnt 0x0
	s_set_pc_i64 s[30:31]
.Lfunc_end0:
	.size	__ockl_fprintf_append_string_n, .Lfunc_end0-__ockl_fprintf_append_string_n
                                        ; -- End function
	.set .L__ockl_fprintf_append_string_n.num_vgpr, 40
	.set .L__ockl_fprintf_append_string_n.num_agpr, 0
	.set .L__ockl_fprintf_append_string_n.numbered_sgpr, 32
	.set .L__ockl_fprintf_append_string_n.num_named_barrier, 0
	.set .L__ockl_fprintf_append_string_n.private_seg_size, 0
	.set .L__ockl_fprintf_append_string_n.uses_vcc, 1
	.set .L__ockl_fprintf_append_string_n.uses_flat_scratch, 0
	.set .L__ockl_fprintf_append_string_n.has_dyn_sized_stack, 0
	.set .L__ockl_fprintf_append_string_n.has_recursion, 0
	.set .L__ockl_fprintf_append_string_n.has_indirect_call, 0
	.section	.AMDGPU.csdata,"",@progbits
; Function info:
; codeLenInByte = 4324
; TotalNumSgprs: 34
; NumVgprs: 40
; ScratchSize: 0
; MemoryBound: 0
	.text
	.p2align	2                               ; -- Begin function __assert_fail
	.type	__assert_fail,@function
__assert_fail:                          ; @__assert_fail
; %bb.0:
	s_wait_loadcnt_dscnt 0x0
	s_wait_kmcnt 0x0
	s_mov_b32 s20, s33
	s_mov_b32 s33, s32
	s_or_saveexec_b32 s0, -1
	scratch_store_b32 off, v40, s33 offset:48 ; 4-byte Folded Spill
	s_wait_xcnt 0x0
	s_mov_b32 exec_lo, s0
	v_writelane_b32 v40, s30, 0
	s_add_co_i32 s32, s32, 64
	v_writelane_b32 v40, s31, 1
	v_mov_b32_e32 v8, 0
	s_get_pc_i64 s[0:1]
	s_add_nc_u64 s[0:1], s[0:1], __const.__assert_fail.fmt@rel64+35
	v_dual_mov_b32 v5, v1 :: v_dual_mov_b32 v4, v0
	s_get_pc_i64 s[10:11]
	s_add_nc_u64 s[10:11], s[10:11], __const.__assert_fail.fmt@rel64+20
	global_load_b128 v[0:3], v8, s[0:1]
	s_wait_xcnt 0x0
	s_get_pc_i64 s[0:1]
	s_add_nc_u64 s[0:1], s[0:1], __const.__assert_fail.fmt@rel64+4
	s_clause 0x1
	s_load_b128 s[4:7], s[0:1], 0x0
	s_load_b128 s[12:15], s[10:11], 0x0
	s_load_b64 s[2:3], s[8:9], 0x50
	v_mbcnt_lo_u32_b32 v48, -1, 0
	v_mov_b64_e32 v[6:7], 0
	s_wait_xcnt 0x0
	s_delay_alu instid0(VALU_DEP_2) | instskip(NEXT) | instid1(VALU_DEP_1)
	v_readfirstlane_b32 s0, v48
	v_cmp_eq_u32_e64 s0, s0, v48
	s_wait_kmcnt 0x0
	v_mov_b64_e32 v[12:13], s[6:7]
	v_mov_b64_e32 v[10:11], s[4:5]
	;; [unrolled: 1-line block ×4, first 2 shown]
	s_clause 0x1
	scratch_store_b128 off, v[10:13], s33
	scratch_store_b128 off, v[14:17], s33 offset:16
	s_wait_loadcnt 0x0
	scratch_store_b128 off, v[0:3], s33 offset:31
	s_wait_xcnt 0x0
	s_and_saveexec_b32 s1, s0
	s_cbranch_execz .LBB1_6
; %bb.1:
	global_load_b64 v[2:3], v8, s[2:3] offset:24 scope:SCOPE_SYS
	s_wait_loadcnt 0x0
	global_inv scope:SCOPE_SYS
	s_clause 0x1
	global_load_b64 v[0:1], v8, s[2:3] offset:40
	global_load_b64 v[6:7], v8, s[2:3]
	s_mov_b32 s4, exec_lo
	s_wait_loadcnt 0x1
	v_and_b32_e32 v0, v0, v2
	v_and_b32_e32 v1, v1, v3
	s_delay_alu instid0(VALU_DEP_1) | instskip(SKIP_1) | instid1(VALU_DEP_1)
	v_mul_u64_e32 v[0:1], 24, v[0:1]
	s_wait_loadcnt 0x0
	v_add_nc_u64_e32 v[0:1], v[6:7], v[0:1]
	global_load_b64 v[0:1], v[0:1], off scope:SCOPE_SYS
	s_wait_xcnt 0x0
	s_wait_loadcnt 0x0
	global_atomic_cmpswap_b64 v[6:7], v8, v[0:3], s[2:3] offset:24 th:TH_ATOMIC_RETURN scope:SCOPE_SYS
	s_wait_loadcnt 0x0
	global_inv scope:SCOPE_SYS
	s_wait_xcnt 0x0
	v_cmpx_ne_u64_e64 v[6:7], v[2:3]
	s_cbranch_execz .LBB1_5
; %bb.2:
	v_mov_b32_e32 v0, 0
	s_mov_b32 s5, 0
.LBB1_3:                                ; =>This Inner Loop Header: Depth=1
	s_sleep 1
	s_clause 0x1
	global_load_b64 v[2:3], v0, s[2:3] offset:40
	global_load_b64 v[10:11], v0, s[2:3]
	v_mov_b64_e32 v[12:13], v[6:7]
	s_wait_loadcnt 0x1
	s_delay_alu instid0(VALU_DEP_1) | instskip(SKIP_1) | instid1(VALU_DEP_1)
	v_and_b32_e32 v1, v2, v12
	s_wait_loadcnt 0x0
	v_mad_nc_u64_u32 v[6:7], v1, 24, v[10:11]
	s_delay_alu instid0(VALU_DEP_3) | instskip(NEXT) | instid1(VALU_DEP_1)
	v_and_b32_e32 v1, v3, v13
	v_mad_u32 v7, v1, 24, v7
	global_load_b64 v[10:11], v[6:7], off scope:SCOPE_SYS
	s_wait_xcnt 0x0
	s_wait_loadcnt 0x0
	global_atomic_cmpswap_b64 v[6:7], v0, v[10:13], s[2:3] offset:24 th:TH_ATOMIC_RETURN scope:SCOPE_SYS
	s_wait_loadcnt 0x0
	global_inv scope:SCOPE_SYS
	v_cmp_eq_u64_e32 vcc_lo, v[6:7], v[12:13]
	s_or_b32 s5, vcc_lo, s5
	s_wait_xcnt 0x0
	s_and_not1_b32 exec_lo, exec_lo, s5
	s_cbranch_execnz .LBB1_3
; %bb.4:
	s_or_b32 exec_lo, exec_lo, s5
.LBB1_5:
	s_delay_alu instid0(SALU_CYCLE_1)
	s_or_b32 exec_lo, exec_lo, s4
.LBB1_6:
	s_delay_alu instid0(SALU_CYCLE_1)
	s_or_b32 exec_lo, exec_lo, s1
	s_clause 0x1
	global_load_b64 v[10:11], v8, s[2:3] offset:40
	global_load_b128 v[0:3], v8, s[2:3]
	v_readfirstlane_b32 s4, v6
	v_readfirstlane_b32 s5, v7
	s_mov_b32 s1, exec_lo
	s_wait_loadcnt 0x1
	s_wait_xcnt 0x0
	v_and_b32_e32 v8, s4, v10
	v_and_b32_e32 v9, s5, v11
	s_delay_alu instid0(VALU_DEP_1) | instskip(SKIP_1) | instid1(VALU_DEP_1)
	v_mul_u64_e32 v[6:7], 24, v[8:9]
	s_wait_loadcnt 0x0
	v_add_nc_u64_e32 v[6:7], v[0:1], v[6:7]
	s_and_saveexec_b32 s6, s0
	s_cbranch_execz .LBB1_8
; %bb.7:
	v_mov_b64_e32 v[12:13], 0x100000002
	v_dual_mov_b32 v10, s1 :: v_dual_mov_b32 v11, 0
	global_store_b128 v[6:7], v[10:13], off offset:8
.LBB1_8:
	s_wait_xcnt 0x0
	s_or_b32 exec_lo, exec_lo, s6
	v_lshlrev_b64_e32 v[8:9], 12, v[8:9]
	s_mov_b32 s12, 0
	v_dual_mov_b32 v31, 0 :: v_dual_lshlrev_b32 v30, 6, v48
	s_mov_b32 s14, s12
	s_mov_b32 s15, s12
	;; [unrolled: 1-line block ×3, first 2 shown]
	s_delay_alu instid0(VALU_DEP_2)
	v_add_nc_u64_e32 v[8:9], v[2:3], v[8:9]
	v_mov_b64_e32 v[16:17], s[14:15]
	v_mov_b64_e32 v[14:15], s[12:13]
	v_dual_mov_b32 v10, 33 :: v_dual_mov_b32 v12, 1
	v_dual_mov_b32 v11, v31 :: v_dual_mov_b32 v13, v31
	v_readfirstlane_b32 s6, v8
	v_readfirstlane_b32 s7, v9
	s_clause 0x3
	global_store_b128 v30, v[10:13], s[6:7]
	global_store_b128 v30, v[14:17], s[6:7] offset:16
	global_store_b128 v30, v[14:17], s[6:7] offset:32
	;; [unrolled: 1-line block ×3, first 2 shown]
	s_wait_xcnt 0x0
	s_and_saveexec_b32 s1, s0
	s_cbranch_execz .LBB1_16
; %bb.9:
	s_clause 0x1
	global_load_b64 v[14:15], v31, s[2:3] offset:32 scope:SCOPE_SYS
	global_load_b64 v[2:3], v31, s[2:3] offset:40
	s_mov_b32 s6, exec_lo
	v_dual_mov_b32 v12, s4 :: v_dual_mov_b32 v13, s5
	s_wait_loadcnt 0x0
	v_and_b32_e32 v3, s5, v3
	v_and_b32_e32 v2, s4, v2
	s_delay_alu instid0(VALU_DEP_1) | instskip(NEXT) | instid1(VALU_DEP_1)
	v_mul_u64_e32 v[2:3], 24, v[2:3]
	v_add_nc_u64_e32 v[10:11], v[0:1], v[2:3]
	global_store_b64 v[10:11], v[14:15], off
	global_wb scope:SCOPE_SYS
	s_wait_storecnt 0x0
	s_wait_xcnt 0x0
	global_atomic_cmpswap_b64 v[2:3], v31, v[12:15], s[2:3] offset:32 th:TH_ATOMIC_RETURN scope:SCOPE_SYS
	s_wait_loadcnt 0x0
	v_cmpx_ne_u64_e64 v[2:3], v[14:15]
	s_cbranch_execz .LBB1_12
; %bb.10:
	v_mov_b32_e32 v12, 0
	s_mov_b32 s7, 0
.LBB1_11:                               ; =>This Inner Loop Header: Depth=1
	v_dual_mov_b32 v0, s4 :: v_dual_mov_b32 v1, s5
	s_sleep 1
	global_store_b64 v[10:11], v[2:3], off
	global_wb scope:SCOPE_SYS
	s_wait_storecnt 0x0
	s_wait_xcnt 0x0
	global_atomic_cmpswap_b64 v[0:1], v12, v[0:3], s[2:3] offset:32 th:TH_ATOMIC_RETURN scope:SCOPE_SYS
	s_wait_loadcnt 0x0
	v_cmp_eq_u64_e32 vcc_lo, v[0:1], v[2:3]
	v_mov_b64_e32 v[2:3], v[0:1]
	s_or_b32 s7, vcc_lo, s7
	s_delay_alu instid0(SALU_CYCLE_1)
	s_and_not1_b32 exec_lo, exec_lo, s7
	s_cbranch_execnz .LBB1_11
.LBB1_12:
	s_or_b32 exec_lo, exec_lo, s6
	v_mov_b32_e32 v3, 0
	s_mov_b32 s7, exec_lo
	s_mov_b32 s6, exec_lo
	v_mbcnt_lo_u32_b32 v2, s7, 0
	global_load_b64 v[0:1], v3, s[2:3] offset:16
	s_wait_xcnt 0x0
	v_cmpx_eq_u32_e32 0, v2
	s_cbranch_execz .LBB1_14
; %bb.13:
	s_bcnt1_i32_b32 s7, s7
	s_delay_alu instid0(SALU_CYCLE_1)
	v_mov_b32_e32 v2, s7
	global_wb scope:SCOPE_SYS
	s_wait_loadcnt 0x0
	s_wait_storecnt 0x0
	global_atomic_add_u64 v[0:1], v[2:3], off offset:8 scope:SCOPE_SYS
.LBB1_14:
	s_wait_xcnt 0x0
	s_or_b32 exec_lo, exec_lo, s6
	s_wait_loadcnt 0x0
	global_load_b64 v[2:3], v[0:1], off offset:16
	s_wait_loadcnt 0x0
	v_cmp_eq_u64_e32 vcc_lo, 0, v[2:3]
	s_cbranch_vccnz .LBB1_16
; %bb.15:
	global_load_b32 v0, v[0:1], off offset:24
	s_wait_xcnt 0x0
	v_mov_b32_e32 v1, 0
	s_wait_loadcnt 0x0
	v_readfirstlane_b32 s6, v0
	global_wb scope:SCOPE_SYS
	s_wait_storecnt 0x0
	global_store_b64 v[2:3], v[0:1], off scope:SCOPE_SYS
	s_and_b32 m0, s6, 0xffffff
	s_sendmsg sendmsg(MSG_INTERRUPT)
.LBB1_16:
	s_wait_xcnt 0x0
	s_or_b32 exec_lo, exec_lo, s1
	v_add_nc_u64_e32 v[0:1], v[8:9], v[30:31]
	s_branch .LBB1_20
.LBB1_17:                               ;   in Loop: Header=BB1_20 Depth=1
	s_wait_xcnt 0x0
	s_or_b32 exec_lo, exec_lo, s1
	s_delay_alu instid0(VALU_DEP_1)
	v_readfirstlane_b32 s1, v2
	s_cmp_eq_u32 s1, 0
	s_cbranch_scc1 .LBB1_19
; %bb.18:                               ;   in Loop: Header=BB1_20 Depth=1
	s_sleep 1
	s_cbranch_execnz .LBB1_20
	s_branch .LBB1_22
.LBB1_19:
	s_branch .LBB1_22
.LBB1_20:                               ; =>This Inner Loop Header: Depth=1
	v_mov_b32_e32 v2, 1
	s_and_saveexec_b32 s1, s0
	s_cbranch_execz .LBB1_17
; %bb.21:                               ;   in Loop: Header=BB1_20 Depth=1
	global_load_b32 v2, v[6:7], off offset:20 scope:SCOPE_SYS
	s_wait_loadcnt 0x0
	global_inv scope:SCOPE_SYS
	v_and_b32_e32 v2, 1, v2
	s_branch .LBB1_17
.LBB1_22:
	global_load_b64 v[6:7], v[0:1], off
	s_wait_xcnt 0x0
	s_and_saveexec_b32 s6, s0
	s_cbranch_execz .LBB1_26
; %bb.23:
	v_mov_b32_e32 v10, 0
	s_clause 0x2
	global_load_b64 v[0:1], v10, s[2:3] offset:40
	global_load_b64 v[14:15], v10, s[2:3] offset:24 scope:SCOPE_SYS
	global_load_b64 v[2:3], v10, s[2:3]
	s_wait_loadcnt 0x2
	v_readfirstlane_b32 s10, v0
	v_readfirstlane_b32 s11, v1
	s_add_nc_u64 s[0:1], s[10:11], 1
	s_delay_alu instid0(SALU_CYCLE_1) | instskip(NEXT) | instid1(SALU_CYCLE_1)
	s_add_nc_u64 s[4:5], s[0:1], s[4:5]
	s_cmp_eq_u64 s[4:5], 0
	s_cselect_b32 s1, s1, s5
	s_cselect_b32 s0, s0, s4
	v_mov_b32_e32 v13, s1
	s_and_b64 s[4:5], s[0:1], s[10:11]
	v_mov_b32_e32 v12, s0
	s_mul_u64 s[4:5], s[4:5], 24
	s_wait_loadcnt 0x0
	v_add_nc_u64_e32 v[8:9], s[4:5], v[2:3]
	global_store_b64 v[8:9], v[14:15], off
	global_wb scope:SCOPE_SYS
	s_wait_storecnt 0x0
	s_wait_xcnt 0x0
	global_atomic_cmpswap_b64 v[2:3], v10, v[12:15], s[2:3] offset:24 th:TH_ATOMIC_RETURN scope:SCOPE_SYS
	s_wait_loadcnt 0x0
	v_cmp_ne_u64_e32 vcc_lo, v[2:3], v[14:15]
	s_and_b32 exec_lo, exec_lo, vcc_lo
	s_cbranch_execz .LBB1_26
; %bb.24:
	s_mov_b32 s4, 0
.LBB1_25:                               ; =>This Inner Loop Header: Depth=1
	v_dual_mov_b32 v0, s0 :: v_dual_mov_b32 v1, s1
	s_sleep 1
	global_store_b64 v[8:9], v[2:3], off
	global_wb scope:SCOPE_SYS
	s_wait_storecnt 0x0
	s_wait_xcnt 0x0
	global_atomic_cmpswap_b64 v[0:1], v10, v[0:3], s[2:3] offset:24 th:TH_ATOMIC_RETURN scope:SCOPE_SYS
	s_wait_loadcnt 0x0
	v_cmp_eq_u64_e32 vcc_lo, v[0:1], v[2:3]
	v_mov_b64_e32 v[2:3], v[0:1]
	s_or_b32 s4, vcc_lo, s4
	s_delay_alu instid0(SALU_CYCLE_1)
	s_and_not1_b32 exec_lo, exec_lo, s4
	s_cbranch_execnz .LBB1_25
.LBB1_26:
	s_or_b32 exec_lo, exec_lo, s6
	s_mov_b32 s1, s33
	s_mov_b32 s0, 0
.LBB1_27:                               ; =>This Inner Loop Header: Depth=1
	scratch_load_u8 v0, off, s1
	s_wait_xcnt 0x0
	s_add_co_i32 s1, s1, 1
	s_wait_loadcnt 0x0
	v_cmp_eq_u16_e32 vcc_lo, 0, v0
	v_mov_b32_e32 v0, s1
	s_or_b32 s0, vcc_lo, s0
	s_delay_alu instid0(SALU_CYCLE_1)
	s_and_not1_b32 exec_lo, exec_lo, s0
	s_cbranch_execnz .LBB1_27
; %bb.28:
	s_or_b32 exec_lo, exec_lo, s0
	s_cmp_lg_u32 s33, -1
	s_cbranch_scc0 .LBB1_113
; %bb.29:
	s_mov_b64 s[0:1], src_flat_scratch_base_lo
	v_mov_b64_e32 v[10:11], 0x100000002
	v_dual_add_nc_u32 v0, s0, v0 :: v_dual_bitop2_b32 v28, 2, v6 bitop3:0x40
	s_add_co_i32 s0, s33, s0
	v_dual_mov_b32 v31, 0 :: v_dual_mov_b32 v29, s33
	s_delay_alu instid0(VALU_DEP_2) | instskip(SKIP_3) | instid1(VALU_DEP_2)
	v_subrev_nc_u32_e32 v32, s0, v0
	v_dual_mov_b32 v1, v7 :: v_dual_bitop2_b32 v0, -3, v6 bitop3:0x40
	s_mov_b32 s7, 0
	s_mov_b32 s6, 0
	v_ashrrev_i32_e32 v33, 31, v32
	s_branch .LBB1_31
.LBB1_30:                               ;   in Loop: Header=BB1_31 Depth=1
	s_or_b32 exec_lo, exec_lo, s10
	v_sub_nc_u64_e32 v[32:33], v[32:33], v[34:35]
	v_add_nc_u32_e32 v29, v29, v34
	s_delay_alu instid0(VALU_DEP_2) | instskip(SKIP_1) | instid1(SALU_CYCLE_1)
	v_cmp_eq_u64_e32 vcc_lo, 0, v[32:33]
	s_or_b32 s6, vcc_lo, s6
	s_and_not1_b32 exec_lo, exec_lo, s6
	s_cbranch_execz .LBB1_192
.LBB1_31:                               ; =>This Loop Header: Depth=1
                                        ;     Child Loop BB1_34 Depth 2
                                        ;     Child Loop BB1_42 Depth 2
	;; [unrolled: 1-line block ×11, first 2 shown]
	s_delay_alu instid0(VALU_DEP_1)
	v_min_u64 v[34:35], v[32:33], 56
	v_add_nc_u32_e32 v9, 8, v29
	s_mov_b32 s0, exec_lo
	v_cmpx_gt_u64_e32 8, v[32:33]
	s_xor_b32 s4, exec_lo, s0
	s_cbranch_execz .LBB1_37
; %bb.32:                               ;   in Loop: Header=BB1_31 Depth=1
	v_mov_b64_e32 v[2:3], 0
	s_mov_b32 s5, exec_lo
	v_cmpx_ne_u64_e32 0, v[32:33]
	s_cbranch_execz .LBB1_36
; %bb.33:                               ;   in Loop: Header=BB1_31 Depth=1
	v_mov_b64_e32 v[2:3], 0
	v_dual_mov_b32 v9, v29 :: v_dual_lshlrev_b32 v8, 3, v34
	s_mov_b64 s[0:1], 0
	s_mov_b32 s10, 0
.LBB1_34:                               ;   Parent Loop BB1_31 Depth=1
                                        ; =>  This Inner Loop Header: Depth=2
	scratch_load_u8 v12, v9, off
	s_wait_xcnt 0x0
	v_dual_mov_b32 v13, s7 :: v_dual_add_nc_u32 v9, 1, v9
	s_wait_loadcnt 0x0
	v_and_b32_e32 v12, 0xffff, v12
	s_delay_alu instid0(VALU_DEP_1) | instskip(SKIP_1) | instid1(SALU_CYCLE_1)
	v_lshlrev_b64_e32 v[12:13], s0, v[12:13]
	s_add_nc_u64 s[0:1], s[0:1], 8
	v_cmp_eq_u32_e32 vcc_lo, s0, v8
	s_delay_alu instid0(VALU_DEP_2) | instskip(NEXT) | instid1(VALU_DEP_3)
	v_or_b32_e32 v3, v13, v3
	v_or_b32_e32 v2, v12, v2
	s_or_b32 s10, vcc_lo, s10
	s_delay_alu instid0(SALU_CYCLE_1)
	s_and_not1_b32 exec_lo, exec_lo, s10
	s_cbranch_execnz .LBB1_34
; %bb.35:                               ;   in Loop: Header=BB1_31 Depth=1
	s_or_b32 exec_lo, exec_lo, s10
.LBB1_36:                               ;   in Loop: Header=BB1_31 Depth=1
	s_delay_alu instid0(SALU_CYCLE_1)
	s_or_b32 exec_lo, exec_lo, s5
	v_mov_b32_e32 v9, v29
.LBB1_37:                               ;   in Loop: Header=BB1_31 Depth=1
	s_or_saveexec_b32 s0, s4
	v_mov_b32_e32 v14, 0
	s_xor_b32 exec_lo, exec_lo, s0
	s_cbranch_execz .LBB1_39
; %bb.38:                               ;   in Loop: Header=BB1_31 Depth=1
	scratch_load_b64 v[2:3], v29, off
	v_add_nc_u32_e32 v14, -8, v34
.LBB1_39:                               ;   in Loop: Header=BB1_31 Depth=1
	s_wait_xcnt 0x0
	s_or_b32 exec_lo, exec_lo, s0
	v_add_nc_u32_e32 v8, 8, v9
                                        ; implicit-def: $vgpr12_vgpr13
	s_mov_b32 s0, exec_lo
	v_cmpx_gt_u32_e32 8, v14
	s_xor_b32 s4, exec_lo, s0
	s_cbranch_execz .LBB1_45
; %bb.40:                               ;   in Loop: Header=BB1_31 Depth=1
	v_mov_b64_e32 v[12:13], 0
	s_mov_b32 s5, exec_lo
	v_cmpx_ne_u32_e32 0, v14
	s_cbranch_execz .LBB1_44
; %bb.41:                               ;   in Loop: Header=BB1_31 Depth=1
	v_mov_b64_e32 v[12:13], 0
	s_mov_b64 s[0:1], 0
	s_mov_b32 s10, 0
	s_mov_b32 s11, 0
.LBB1_42:                               ;   Parent Loop BB1_31 Depth=1
                                        ; =>  This Inner Loop Header: Depth=2
	scratch_load_u8 v8, v9, s11
	v_mov_b32_e32 v17, s7
	s_wait_xcnt 0x0
	s_add_co_i32 s11, s11, 1
	s_delay_alu instid0(SALU_CYCLE_1) | instskip(SKIP_3) | instid1(VALU_DEP_1)
	v_cmp_eq_u32_e32 vcc_lo, s11, v14
	s_or_b32 s10, vcc_lo, s10
	s_wait_loadcnt 0x0
	v_and_b32_e32 v16, 0xffff, v8
	v_lshlrev_b64_e32 v[16:17], s0, v[16:17]
	s_add_nc_u64 s[0:1], s[0:1], 8
	s_delay_alu instid0(VALU_DEP_1) | instskip(NEXT) | instid1(VALU_DEP_2)
	v_or_b32_e32 v13, v17, v13
	v_or_b32_e32 v12, v16, v12
	s_and_not1_b32 exec_lo, exec_lo, s10
	s_cbranch_execnz .LBB1_42
; %bb.43:                               ;   in Loop: Header=BB1_31 Depth=1
	s_or_b32 exec_lo, exec_lo, s10
.LBB1_44:                               ;   in Loop: Header=BB1_31 Depth=1
	s_delay_alu instid0(SALU_CYCLE_1)
	s_or_b32 exec_lo, exec_lo, s5
	v_mov_b32_e32 v8, v9
                                        ; implicit-def: $vgpr14
.LBB1_45:                               ;   in Loop: Header=BB1_31 Depth=1
	s_or_saveexec_b32 s0, s4
	v_mov_b32_e32 v16, 0
	s_xor_b32 exec_lo, exec_lo, s0
	s_cbranch_execz .LBB1_47
; %bb.46:                               ;   in Loop: Header=BB1_31 Depth=1
	scratch_load_b64 v[12:13], v9, off
	v_add_nc_u32_e32 v16, -8, v14
.LBB1_47:                               ;   in Loop: Header=BB1_31 Depth=1
	s_wait_xcnt 0x0
	s_or_b32 exec_lo, exec_lo, s0
	v_add_nc_u32_e32 v9, 8, v8
	s_mov_b32 s0, exec_lo
	v_cmpx_gt_u32_e32 8, v16
	s_xor_b32 s4, exec_lo, s0
	s_cbranch_execz .LBB1_53
; %bb.48:                               ;   in Loop: Header=BB1_31 Depth=1
	v_mov_b64_e32 v[14:15], 0
	s_mov_b32 s5, exec_lo
	v_cmpx_ne_u32_e32 0, v16
	s_cbranch_execz .LBB1_52
; %bb.49:                               ;   in Loop: Header=BB1_31 Depth=1
	v_mov_b64_e32 v[14:15], 0
	s_mov_b64 s[0:1], 0
	s_mov_b32 s10, 0
	s_mov_b32 s11, 0
.LBB1_50:                               ;   Parent Loop BB1_31 Depth=1
                                        ; =>  This Inner Loop Header: Depth=2
	scratch_load_u8 v9, v8, s11
	v_mov_b32_e32 v19, s7
	s_wait_xcnt 0x0
	s_add_co_i32 s11, s11, 1
	s_delay_alu instid0(SALU_CYCLE_1) | instskip(SKIP_3) | instid1(VALU_DEP_1)
	v_cmp_eq_u32_e32 vcc_lo, s11, v16
	s_or_b32 s10, vcc_lo, s10
	s_wait_loadcnt 0x0
	v_and_b32_e32 v18, 0xffff, v9
	v_lshlrev_b64_e32 v[18:19], s0, v[18:19]
	s_add_nc_u64 s[0:1], s[0:1], 8
	s_delay_alu instid0(VALU_DEP_1) | instskip(NEXT) | instid1(VALU_DEP_2)
	v_or_b32_e32 v15, v19, v15
	v_or_b32_e32 v14, v18, v14
	s_and_not1_b32 exec_lo, exec_lo, s10
	s_cbranch_execnz .LBB1_50
; %bb.51:                               ;   in Loop: Header=BB1_31 Depth=1
	s_or_b32 exec_lo, exec_lo, s10
.LBB1_52:                               ;   in Loop: Header=BB1_31 Depth=1
	s_delay_alu instid0(SALU_CYCLE_1)
	s_or_b32 exec_lo, exec_lo, s5
	v_mov_b32_e32 v9, v8
                                        ; implicit-def: $vgpr16
.LBB1_53:                               ;   in Loop: Header=BB1_31 Depth=1
	s_or_saveexec_b32 s0, s4
	v_mov_b32_e32 v18, 0
	s_xor_b32 exec_lo, exec_lo, s0
	s_cbranch_execz .LBB1_55
; %bb.54:                               ;   in Loop: Header=BB1_31 Depth=1
	scratch_load_b64 v[14:15], v8, off
	v_add_nc_u32_e32 v18, -8, v16
.LBB1_55:                               ;   in Loop: Header=BB1_31 Depth=1
	s_wait_xcnt 0x0
	s_or_b32 exec_lo, exec_lo, s0
	v_add_nc_u32_e32 v8, 8, v9
                                        ; implicit-def: $vgpr16_vgpr17
	s_mov_b32 s0, exec_lo
	v_cmpx_gt_u32_e32 8, v18
	s_xor_b32 s4, exec_lo, s0
	s_cbranch_execz .LBB1_61
; %bb.56:                               ;   in Loop: Header=BB1_31 Depth=1
	v_mov_b64_e32 v[16:17], 0
	s_mov_b32 s5, exec_lo
	v_cmpx_ne_u32_e32 0, v18
	s_cbranch_execz .LBB1_60
; %bb.57:                               ;   in Loop: Header=BB1_31 Depth=1
	v_mov_b64_e32 v[16:17], 0
	s_mov_b64 s[0:1], 0
	s_mov_b32 s10, 0
	s_mov_b32 s11, 0
.LBB1_58:                               ;   Parent Loop BB1_31 Depth=1
                                        ; =>  This Inner Loop Header: Depth=2
	scratch_load_u8 v8, v9, s11
	v_mov_b32_e32 v21, s7
	s_wait_xcnt 0x0
	s_add_co_i32 s11, s11, 1
	s_delay_alu instid0(SALU_CYCLE_1) | instskip(SKIP_3) | instid1(VALU_DEP_1)
	v_cmp_eq_u32_e32 vcc_lo, s11, v18
	s_or_b32 s10, vcc_lo, s10
	s_wait_loadcnt 0x0
	v_and_b32_e32 v20, 0xffff, v8
	v_lshlrev_b64_e32 v[20:21], s0, v[20:21]
	s_add_nc_u64 s[0:1], s[0:1], 8
	s_delay_alu instid0(VALU_DEP_1) | instskip(NEXT) | instid1(VALU_DEP_2)
	v_or_b32_e32 v17, v21, v17
	v_or_b32_e32 v16, v20, v16
	s_and_not1_b32 exec_lo, exec_lo, s10
	s_cbranch_execnz .LBB1_58
; %bb.59:                               ;   in Loop: Header=BB1_31 Depth=1
	s_or_b32 exec_lo, exec_lo, s10
.LBB1_60:                               ;   in Loop: Header=BB1_31 Depth=1
	s_delay_alu instid0(SALU_CYCLE_1)
	s_or_b32 exec_lo, exec_lo, s5
	v_mov_b32_e32 v8, v9
                                        ; implicit-def: $vgpr18
.LBB1_61:                               ;   in Loop: Header=BB1_31 Depth=1
	s_or_saveexec_b32 s0, s4
	v_mov_b32_e32 v20, 0
	s_xor_b32 exec_lo, exec_lo, s0
	s_cbranch_execz .LBB1_63
; %bb.62:                               ;   in Loop: Header=BB1_31 Depth=1
	scratch_load_b64 v[16:17], v9, off
	v_add_nc_u32_e32 v20, -8, v18
.LBB1_63:                               ;   in Loop: Header=BB1_31 Depth=1
	s_wait_xcnt 0x0
	s_or_b32 exec_lo, exec_lo, s0
	v_add_nc_u32_e32 v9, 8, v8
	s_mov_b32 s0, exec_lo
	v_cmpx_gt_u32_e32 8, v20
	s_xor_b32 s4, exec_lo, s0
	s_cbranch_execz .LBB1_69
; %bb.64:                               ;   in Loop: Header=BB1_31 Depth=1
	v_mov_b64_e32 v[18:19], 0
	s_mov_b32 s5, exec_lo
	v_cmpx_ne_u32_e32 0, v20
	s_cbranch_execz .LBB1_68
; %bb.65:                               ;   in Loop: Header=BB1_31 Depth=1
	v_mov_b64_e32 v[18:19], 0
	s_mov_b64 s[0:1], 0
	s_mov_b32 s10, 0
	s_mov_b32 s11, 0
.LBB1_66:                               ;   Parent Loop BB1_31 Depth=1
                                        ; =>  This Inner Loop Header: Depth=2
	scratch_load_u8 v9, v8, s11
	v_mov_b32_e32 v23, s7
	s_wait_xcnt 0x0
	s_add_co_i32 s11, s11, 1
	s_delay_alu instid0(SALU_CYCLE_1) | instskip(SKIP_3) | instid1(VALU_DEP_1)
	v_cmp_eq_u32_e32 vcc_lo, s11, v20
	s_or_b32 s10, vcc_lo, s10
	s_wait_loadcnt 0x0
	v_and_b32_e32 v22, 0xffff, v9
	v_lshlrev_b64_e32 v[22:23], s0, v[22:23]
	s_add_nc_u64 s[0:1], s[0:1], 8
	s_delay_alu instid0(VALU_DEP_1) | instskip(NEXT) | instid1(VALU_DEP_2)
	v_or_b32_e32 v19, v23, v19
	v_or_b32_e32 v18, v22, v18
	s_and_not1_b32 exec_lo, exec_lo, s10
	s_cbranch_execnz .LBB1_66
; %bb.67:                               ;   in Loop: Header=BB1_31 Depth=1
	s_or_b32 exec_lo, exec_lo, s10
.LBB1_68:                               ;   in Loop: Header=BB1_31 Depth=1
	s_delay_alu instid0(SALU_CYCLE_1)
	s_or_b32 exec_lo, exec_lo, s5
	v_mov_b32_e32 v9, v8
                                        ; implicit-def: $vgpr20
.LBB1_69:                               ;   in Loop: Header=BB1_31 Depth=1
	s_or_saveexec_b32 s0, s4
	v_mov_b32_e32 v22, 0
	s_xor_b32 exec_lo, exec_lo, s0
	s_cbranch_execz .LBB1_71
; %bb.70:                               ;   in Loop: Header=BB1_31 Depth=1
	scratch_load_b64 v[18:19], v8, off
	v_add_nc_u32_e32 v22, -8, v20
.LBB1_71:                               ;   in Loop: Header=BB1_31 Depth=1
	s_wait_xcnt 0x0
	s_or_b32 exec_lo, exec_lo, s0
	v_add_nc_u32_e32 v8, 8, v9
                                        ; implicit-def: $vgpr20_vgpr21
	s_mov_b32 s0, exec_lo
	v_cmpx_gt_u32_e32 8, v22
	s_xor_b32 s4, exec_lo, s0
	s_cbranch_execz .LBB1_77
; %bb.72:                               ;   in Loop: Header=BB1_31 Depth=1
	v_mov_b64_e32 v[20:21], 0
	s_mov_b32 s5, exec_lo
	v_cmpx_ne_u32_e32 0, v22
	s_cbranch_execz .LBB1_76
; %bb.73:                               ;   in Loop: Header=BB1_31 Depth=1
	v_mov_b64_e32 v[20:21], 0
	s_mov_b64 s[0:1], 0
	s_mov_b32 s10, 0
	s_mov_b32 s11, 0
.LBB1_74:                               ;   Parent Loop BB1_31 Depth=1
                                        ; =>  This Inner Loop Header: Depth=2
	scratch_load_u8 v8, v9, s11
	v_mov_b32_e32 v25, s7
	s_wait_xcnt 0x0
	s_add_co_i32 s11, s11, 1
	s_delay_alu instid0(SALU_CYCLE_1) | instskip(SKIP_3) | instid1(VALU_DEP_1)
	v_cmp_eq_u32_e32 vcc_lo, s11, v22
	s_or_b32 s10, vcc_lo, s10
	s_wait_loadcnt 0x0
	v_and_b32_e32 v24, 0xffff, v8
	v_lshlrev_b64_e32 v[24:25], s0, v[24:25]
	s_add_nc_u64 s[0:1], s[0:1], 8
	s_delay_alu instid0(VALU_DEP_1) | instskip(NEXT) | instid1(VALU_DEP_2)
	v_or_b32_e32 v21, v25, v21
	v_or_b32_e32 v20, v24, v20
	s_and_not1_b32 exec_lo, exec_lo, s10
	s_cbranch_execnz .LBB1_74
; %bb.75:                               ;   in Loop: Header=BB1_31 Depth=1
	s_or_b32 exec_lo, exec_lo, s10
.LBB1_76:                               ;   in Loop: Header=BB1_31 Depth=1
	s_delay_alu instid0(SALU_CYCLE_1)
	s_or_b32 exec_lo, exec_lo, s5
	v_mov_b32_e32 v8, v9
                                        ; implicit-def: $vgpr22
.LBB1_77:                               ;   in Loop: Header=BB1_31 Depth=1
	s_or_saveexec_b32 s0, s4
	v_mov_b32_e32 v24, 0
	s_xor_b32 exec_lo, exec_lo, s0
	s_cbranch_execz .LBB1_79
; %bb.78:                               ;   in Loop: Header=BB1_31 Depth=1
	scratch_load_b64 v[20:21], v9, off
	v_add_nc_u32_e32 v24, -8, v22
.LBB1_79:                               ;   in Loop: Header=BB1_31 Depth=1
	s_wait_xcnt 0x0
	s_or_b32 exec_lo, exec_lo, s0
	s_delay_alu instid0(SALU_CYCLE_1) | instskip(NEXT) | instid1(VALU_DEP_1)
	s_mov_b32 s0, exec_lo
	v_cmpx_gt_u32_e32 8, v24
	s_xor_b32 s4, exec_lo, s0
	s_cbranch_execz .LBB1_85
; %bb.80:                               ;   in Loop: Header=BB1_31 Depth=1
	v_mov_b64_e32 v[22:23], 0
	s_mov_b32 s5, exec_lo
	v_cmpx_ne_u32_e32 0, v24
	s_cbranch_execz .LBB1_84
; %bb.81:                               ;   in Loop: Header=BB1_31 Depth=1
	v_mov_b64_e32 v[22:23], 0
	s_mov_b64 s[0:1], 0
	s_mov_b32 s10, 0
.LBB1_82:                               ;   Parent Loop BB1_31 Depth=1
                                        ; =>  This Inner Loop Header: Depth=2
	scratch_load_u8 v9, v8, off
	v_dual_mov_b32 v27, s7 :: v_dual_add_nc_u32 v24, -1, v24
	s_delay_alu instid0(VALU_DEP_1) | instskip(SKIP_3) | instid1(VALU_DEP_1)
	v_cmp_eq_u32_e32 vcc_lo, 0, v24
	s_or_b32 s10, vcc_lo, s10
	s_wait_loadcnt 0x0
	v_and_b32_e32 v26, 0xffff, v9
	v_lshlrev_b64_e32 v[26:27], s0, v[26:27]
	s_wait_xcnt 0x0
	v_add_nc_u32_e32 v8, 1, v8
	s_add_nc_u64 s[0:1], s[0:1], 8
	s_delay_alu instid0(VALU_DEP_2) | instskip(NEXT) | instid1(VALU_DEP_3)
	v_or_b32_e32 v23, v27, v23
	v_or_b32_e32 v22, v26, v22
	s_and_not1_b32 exec_lo, exec_lo, s10
	s_cbranch_execnz .LBB1_82
; %bb.83:                               ;   in Loop: Header=BB1_31 Depth=1
	s_or_b32 exec_lo, exec_lo, s10
.LBB1_84:                               ;   in Loop: Header=BB1_31 Depth=1
	s_delay_alu instid0(SALU_CYCLE_1)
	s_or_b32 exec_lo, exec_lo, s5
                                        ; implicit-def: $vgpr8
.LBB1_85:                               ;   in Loop: Header=BB1_31 Depth=1
	s_and_not1_saveexec_b32 s0, s4
	s_cbranch_execz .LBB1_87
; %bb.86:                               ;   in Loop: Header=BB1_31 Depth=1
	scratch_load_b64 v[22:23], v8, off
.LBB1_87:                               ;   in Loop: Header=BB1_31 Depth=1
	s_wait_xcnt 0x0
	s_or_b32 exec_lo, exec_lo, s0
	v_readfirstlane_b32 s0, v48
	v_mov_b64_e32 v[8:9], 0
	s_delay_alu instid0(VALU_DEP_2)
	v_cmp_eq_u32_e64 s0, s0, v48
	s_and_saveexec_b32 s1, s0
	s_cbranch_execz .LBB1_93
; %bb.88:                               ;   in Loop: Header=BB1_31 Depth=1
	global_load_b64 v[26:27], v31, s[2:3] offset:24 scope:SCOPE_SYS
	s_wait_loadcnt 0x0
	global_inv scope:SCOPE_SYS
	s_clause 0x1
	global_load_b64 v[8:9], v31, s[2:3] offset:40
	global_load_b64 v[24:25], v31, s[2:3]
	s_mov_b32 s4, exec_lo
	s_wait_loadcnt 0x1
	v_and_b32_e32 v8, v8, v26
	v_and_b32_e32 v9, v9, v27
	s_delay_alu instid0(VALU_DEP_1) | instskip(SKIP_1) | instid1(VALU_DEP_1)
	v_mul_u64_e32 v[8:9], 24, v[8:9]
	s_wait_loadcnt 0x0
	v_add_nc_u64_e32 v[8:9], v[24:25], v[8:9]
	global_load_b64 v[24:25], v[8:9], off scope:SCOPE_SYS
	s_wait_xcnt 0x0
	s_wait_loadcnt 0x0
	global_atomic_cmpswap_b64 v[8:9], v31, v[24:27], s[2:3] offset:24 th:TH_ATOMIC_RETURN scope:SCOPE_SYS
	s_wait_loadcnt 0x0
	global_inv scope:SCOPE_SYS
	s_wait_xcnt 0x0
	v_cmpx_ne_u64_e64 v[8:9], v[26:27]
	s_cbranch_execz .LBB1_92
; %bb.89:                               ;   in Loop: Header=BB1_31 Depth=1
	s_mov_b32 s5, 0
.LBB1_90:                               ;   Parent Loop BB1_31 Depth=1
                                        ; =>  This Inner Loop Header: Depth=2
	s_sleep 1
	s_clause 0x1
	global_load_b64 v[24:25], v31, s[2:3] offset:40
	global_load_b64 v[36:37], v31, s[2:3]
	v_mov_b64_e32 v[26:27], v[8:9]
	s_wait_loadcnt 0x1
	s_delay_alu instid0(VALU_DEP_1) | instskip(NEXT) | instid1(VALU_DEP_2)
	v_and_b32_e32 v8, v24, v26
	v_and_b32_e32 v24, v25, v27
	s_wait_loadcnt 0x0
	s_delay_alu instid0(VALU_DEP_2) | instskip(NEXT) | instid1(VALU_DEP_1)
	v_mad_nc_u64_u32 v[8:9], v8, 24, v[36:37]
	v_mad_u32 v9, v24, 24, v9
	global_load_b64 v[24:25], v[8:9], off scope:SCOPE_SYS
	s_wait_xcnt 0x0
	s_wait_loadcnt 0x0
	global_atomic_cmpswap_b64 v[8:9], v31, v[24:27], s[2:3] offset:24 th:TH_ATOMIC_RETURN scope:SCOPE_SYS
	s_wait_loadcnt 0x0
	global_inv scope:SCOPE_SYS
	v_cmp_eq_u64_e32 vcc_lo, v[8:9], v[26:27]
	s_or_b32 s5, vcc_lo, s5
	s_wait_xcnt 0x0
	s_and_not1_b32 exec_lo, exec_lo, s5
	s_cbranch_execnz .LBB1_90
; %bb.91:                               ;   in Loop: Header=BB1_31 Depth=1
	s_or_b32 exec_lo, exec_lo, s5
.LBB1_92:                               ;   in Loop: Header=BB1_31 Depth=1
	s_delay_alu instid0(SALU_CYCLE_1)
	s_or_b32 exec_lo, exec_lo, s4
.LBB1_93:                               ;   in Loop: Header=BB1_31 Depth=1
	s_delay_alu instid0(SALU_CYCLE_1)
	s_or_b32 exec_lo, exec_lo, s1
	s_clause 0x1
	global_load_b64 v[36:37], v31, s[2:3] offset:40
	global_load_b128 v[24:27], v31, s[2:3]
	v_readfirstlane_b32 s4, v8
	v_readfirstlane_b32 s5, v9
	s_mov_b32 s1, exec_lo
	s_wait_loadcnt 0x1
	v_and_b32_e32 v38, s4, v36
	v_and_b32_e32 v39, s5, v37
	s_delay_alu instid0(VALU_DEP_1) | instskip(SKIP_1) | instid1(VALU_DEP_1)
	v_mul_u64_e32 v[8:9], 24, v[38:39]
	s_wait_loadcnt 0x0
	v_add_nc_u64_e32 v[36:37], v[24:25], v[8:9]
	s_wait_xcnt 0x0
	s_and_saveexec_b32 s10, s0
	s_cbranch_execz .LBB1_95
; %bb.94:                               ;   in Loop: Header=BB1_31 Depth=1
	v_dual_mov_b32 v8, s1 :: v_dual_mov_b32 v9, v31
	global_store_b128 v[36:37], v[8:11], off offset:8
.LBB1_95:                               ;   in Loop: Header=BB1_31 Depth=1
	s_wait_xcnt 0x0
	s_or_b32 exec_lo, exec_lo, s10
	v_cmp_gt_u64_e32 vcc_lo, 57, v[32:33]
	v_lshlrev_b64_e32 v[8:9], 12, v[38:39]
	v_and_b32_e32 v0, 0xffffff1f, v0
	v_lshl_add_u32 v39, v34, 2, 28
	v_cndmask_b32_e32 v38, 0, v28, vcc_lo
	s_delay_alu instid0(VALU_DEP_4) | instskip(NEXT) | instid1(VALU_DEP_2)
	v_add_nc_u64_e32 v[8:9], v[26:27], v[8:9]
	v_or_b32_e32 v0, v0, v38
	s_delay_alu instid0(VALU_DEP_2) | instskip(NEXT) | instid1(VALU_DEP_3)
	v_readfirstlane_b32 s10, v8
	v_readfirstlane_b32 s11, v9
	s_delay_alu instid0(VALU_DEP_3)
	v_and_or_b32 v0, 0x1e0, v39, v0
	s_clause 0x3
	global_store_b128 v30, v[0:3], s[10:11]
	global_store_b128 v30, v[12:15], s[10:11] offset:16
	global_store_b128 v30, v[16:19], s[10:11] offset:32
	;; [unrolled: 1-line block ×3, first 2 shown]
	s_wait_xcnt 0x0
	s_and_saveexec_b32 s1, s0
	s_cbranch_execz .LBB1_103
; %bb.96:                               ;   in Loop: Header=BB1_31 Depth=1
	s_clause 0x1
	global_load_b64 v[16:17], v31, s[2:3] offset:32 scope:SCOPE_SYS
	global_load_b64 v[0:1], v31, s[2:3] offset:40
	s_mov_b32 s10, exec_lo
	v_dual_mov_b32 v14, s4 :: v_dual_mov_b32 v15, s5
	s_wait_loadcnt 0x0
	v_and_b32_e32 v1, s5, v1
	v_and_b32_e32 v0, s4, v0
	s_delay_alu instid0(VALU_DEP_1) | instskip(NEXT) | instid1(VALU_DEP_1)
	v_mul_u64_e32 v[0:1], 24, v[0:1]
	v_add_nc_u64_e32 v[12:13], v[24:25], v[0:1]
	global_store_b64 v[12:13], v[16:17], off
	global_wb scope:SCOPE_SYS
	s_wait_storecnt 0x0
	s_wait_xcnt 0x0
	global_atomic_cmpswap_b64 v[2:3], v31, v[14:17], s[2:3] offset:32 th:TH_ATOMIC_RETURN scope:SCOPE_SYS
	s_wait_loadcnt 0x0
	v_cmpx_ne_u64_e64 v[2:3], v[16:17]
	s_cbranch_execz .LBB1_99
; %bb.97:                               ;   in Loop: Header=BB1_31 Depth=1
	s_mov_b32 s11, 0
.LBB1_98:                               ;   Parent Loop BB1_31 Depth=1
                                        ; =>  This Inner Loop Header: Depth=2
	v_dual_mov_b32 v0, s4 :: v_dual_mov_b32 v1, s5
	s_sleep 1
	global_store_b64 v[12:13], v[2:3], off
	global_wb scope:SCOPE_SYS
	s_wait_storecnt 0x0
	s_wait_xcnt 0x0
	global_atomic_cmpswap_b64 v[0:1], v31, v[0:3], s[2:3] offset:32 th:TH_ATOMIC_RETURN scope:SCOPE_SYS
	s_wait_loadcnt 0x0
	v_cmp_eq_u64_e32 vcc_lo, v[0:1], v[2:3]
	v_mov_b64_e32 v[2:3], v[0:1]
	s_or_b32 s11, vcc_lo, s11
	s_delay_alu instid0(SALU_CYCLE_1)
	s_and_not1_b32 exec_lo, exec_lo, s11
	s_cbranch_execnz .LBB1_98
.LBB1_99:                               ;   in Loop: Header=BB1_31 Depth=1
	s_or_b32 exec_lo, exec_lo, s10
	global_load_b64 v[0:1], v31, s[2:3] offset:16
	s_mov_b32 s11, exec_lo
	s_mov_b32 s10, exec_lo
	v_mbcnt_lo_u32_b32 v2, s11, 0
	s_wait_xcnt 0x0
	s_delay_alu instid0(VALU_DEP_1)
	v_cmpx_eq_u32_e32 0, v2
	s_cbranch_execz .LBB1_101
; %bb.100:                              ;   in Loop: Header=BB1_31 Depth=1
	s_bcnt1_i32_b32 s11, s11
	s_delay_alu instid0(SALU_CYCLE_1)
	v_dual_mov_b32 v3, v31 :: v_dual_mov_b32 v2, s11
	global_wb scope:SCOPE_SYS
	s_wait_loadcnt 0x0
	s_wait_storecnt 0x0
	global_atomic_add_u64 v[0:1], v[2:3], off offset:8 scope:SCOPE_SYS
.LBB1_101:                              ;   in Loop: Header=BB1_31 Depth=1
	s_wait_xcnt 0x0
	s_or_b32 exec_lo, exec_lo, s10
	s_wait_loadcnt 0x0
	global_load_b64 v[2:3], v[0:1], off offset:16
	s_wait_loadcnt 0x0
	v_cmp_eq_u64_e32 vcc_lo, 0, v[2:3]
	s_cbranch_vccnz .LBB1_103
; %bb.102:                              ;   in Loop: Header=BB1_31 Depth=1
	global_load_b32 v0, v[0:1], off offset:24
	s_wait_xcnt 0x0
	v_mov_b32_e32 v1, v31
	s_wait_loadcnt 0x0
	v_readfirstlane_b32 s10, v0
	global_wb scope:SCOPE_SYS
	s_wait_storecnt 0x0
	global_store_b64 v[2:3], v[0:1], off scope:SCOPE_SYS
	s_and_b32 m0, s10, 0xffffff
	s_sendmsg sendmsg(MSG_INTERRUPT)
.LBB1_103:                              ;   in Loop: Header=BB1_31 Depth=1
	s_wait_xcnt 0x0
	s_or_b32 exec_lo, exec_lo, s1
	v_add_nc_u64_e32 v[0:1], v[8:9], v[30:31]
	s_branch .LBB1_107
.LBB1_104:                              ;   in Loop: Header=BB1_107 Depth=2
	s_wait_xcnt 0x0
	s_or_b32 exec_lo, exec_lo, s1
	s_delay_alu instid0(VALU_DEP_1)
	v_readfirstlane_b32 s1, v2
	s_cmp_eq_u32 s1, 0
	s_cbranch_scc1 .LBB1_106
; %bb.105:                              ;   in Loop: Header=BB1_107 Depth=2
	s_sleep 1
	s_cbranch_execnz .LBB1_107
	s_branch .LBB1_109
.LBB1_106:                              ;   in Loop: Header=BB1_31 Depth=1
	s_branch .LBB1_109
.LBB1_107:                              ;   Parent Loop BB1_31 Depth=1
                                        ; =>  This Inner Loop Header: Depth=2
	v_mov_b32_e32 v2, 1
	s_and_saveexec_b32 s1, s0
	s_cbranch_execz .LBB1_104
; %bb.108:                              ;   in Loop: Header=BB1_107 Depth=2
	global_load_b32 v2, v[36:37], off offset:20 scope:SCOPE_SYS
	s_wait_loadcnt 0x0
	global_inv scope:SCOPE_SYS
	v_and_b32_e32 v2, 1, v2
	s_branch .LBB1_104
.LBB1_109:                              ;   in Loop: Header=BB1_31 Depth=1
	global_load_b64 v[0:1], v[0:1], off
	s_wait_xcnt 0x0
	s_and_saveexec_b32 s10, s0
	s_cbranch_execz .LBB1_30
; %bb.110:                              ;   in Loop: Header=BB1_31 Depth=1
	s_clause 0x2
	global_load_b64 v[2:3], v31, s[2:3] offset:40
	global_load_b64 v[16:17], v31, s[2:3] offset:24 scope:SCOPE_SYS
	global_load_b64 v[8:9], v31, s[2:3]
	s_wait_loadcnt 0x2
	v_readfirstlane_b32 s12, v2
	v_readfirstlane_b32 s13, v3
	s_add_nc_u64 s[0:1], s[12:13], 1
	s_delay_alu instid0(SALU_CYCLE_1) | instskip(NEXT) | instid1(SALU_CYCLE_1)
	s_add_nc_u64 s[4:5], s[0:1], s[4:5]
	s_cmp_eq_u64 s[4:5], 0
	s_cselect_b32 s1, s1, s5
	s_cselect_b32 s0, s0, s4
	s_delay_alu instid0(SALU_CYCLE_1) | instskip(SKIP_1) | instid1(SALU_CYCLE_1)
	v_dual_mov_b32 v15, s1 :: v_dual_mov_b32 v14, s0
	s_and_b64 s[4:5], s[0:1], s[12:13]
	s_mul_u64 s[4:5], s[4:5], 24
	s_wait_loadcnt 0x0
	v_add_nc_u64_e32 v[2:3], s[4:5], v[8:9]
	global_store_b64 v[2:3], v[16:17], off
	global_wb scope:SCOPE_SYS
	s_wait_storecnt 0x0
	s_wait_xcnt 0x0
	global_atomic_cmpswap_b64 v[14:15], v31, v[14:17], s[2:3] offset:24 th:TH_ATOMIC_RETURN scope:SCOPE_SYS
	s_wait_loadcnt 0x0
	v_cmp_ne_u64_e32 vcc_lo, v[14:15], v[16:17]
	s_and_b32 exec_lo, exec_lo, vcc_lo
	s_cbranch_execz .LBB1_30
; %bb.111:                              ;   in Loop: Header=BB1_31 Depth=1
	s_mov_b32 s4, 0
.LBB1_112:                              ;   Parent Loop BB1_31 Depth=1
                                        ; =>  This Inner Loop Header: Depth=2
	v_dual_mov_b32 v12, s0 :: v_dual_mov_b32 v13, s1
	s_sleep 1
	global_store_b64 v[2:3], v[14:15], off
	global_wb scope:SCOPE_SYS
	s_wait_storecnt 0x0
	s_wait_xcnt 0x0
	global_atomic_cmpswap_b64 v[8:9], v31, v[12:15], s[2:3] offset:24 th:TH_ATOMIC_RETURN scope:SCOPE_SYS
	s_wait_loadcnt 0x0
	v_cmp_eq_u64_e32 vcc_lo, v[8:9], v[14:15]
	v_mov_b64_e32 v[14:15], v[8:9]
	s_or_b32 s4, vcc_lo, s4
	s_delay_alu instid0(SALU_CYCLE_1)
	s_and_not1_b32 exec_lo, exec_lo, s4
	s_cbranch_execnz .LBB1_112
	s_branch .LBB1_30
.LBB1_113:
                                        ; implicit-def: $vgpr0_vgpr1
	s_cbranch_execnz .LBB1_193
.LBB1_114:
	s_get_pc_i64 s[4:5]
	s_add_nc_u64 s[4:5], s[4:5], .str.4@rel64+4
	s_delay_alu instid0(SALU_CYCLE_1)
	s_cmp_lg_u64 s[4:5], 0
	s_cbranch_scc0 .LBB1_221
.LBB1_115:
	v_mov_b64_e32 v[12:13], 0x100000002
	s_get_pc_i64 s[0:1]
	s_add_nc_u64 s[0:1], s[0:1], .str.4@rel64+80
	s_wait_loadcnt 0x0
	v_dual_mov_b32 v11, 0 :: v_dual_bitop2_b32 v2, 2, v0 bitop3:0x40
	v_dual_mov_b32 v7, v1 :: v_dual_bitop2_b32 v6, -3, v0 bitop3:0x40
	s_sub_co_i32 s6, s0, s4
	s_delay_alu instid0(SALU_CYCLE_1)
	s_ashr_i32 s7, s6, 31
	s_branch .LBB1_117
.LBB1_116:                              ;   in Loop: Header=BB1_117 Depth=1
	s_or_b32 exec_lo, exec_lo, s14
	s_sub_nc_u64 s[6:7], s[6:7], s[10:11]
	s_add_nc_u64 s[4:5], s[4:5], s[10:11]
	s_cmp_lg_u64 s[6:7], 0
	s_cbranch_scc0 .LBB1_215
.LBB1_117:                              ; =>This Loop Header: Depth=1
                                        ;     Child Loop BB1_120 Depth 2
                                        ;     Child Loop BB1_127 Depth 2
	;; [unrolled: 1-line block ×11, first 2 shown]
	v_min_u64 v[8:9], s[6:7], 56
	v_cmp_gt_u64_e64 s0, s[6:7], 7
	s_and_b32 vcc_lo, exec_lo, s0
	v_readfirstlane_b32 s10, v8
	v_readfirstlane_b32 s11, v9
	s_cbranch_vccnz .LBB1_122
; %bb.118:                              ;   in Loop: Header=BB1_117 Depth=1
	v_mov_b64_e32 v[8:9], 0
	s_cmp_eq_u64 s[6:7], 0
	s_cbranch_scc1 .LBB1_121
; %bb.119:                              ;   in Loop: Header=BB1_117 Depth=1
	s_mov_b64 s[0:1], 0
	s_mov_b64 s[12:13], 0
.LBB1_120:                              ;   Parent Loop BB1_117 Depth=1
                                        ; =>  This Inner Loop Header: Depth=2
	s_wait_xcnt 0x0
	s_add_nc_u64 s[14:15], s[4:5], s[12:13]
	s_add_nc_u64 s[12:13], s[12:13], 1
	global_load_u8 v3, v11, s[14:15]
	s_cmp_lg_u32 s10, s12
	s_wait_loadcnt 0x0
	v_and_b32_e32 v10, 0xffff, v3
	s_delay_alu instid0(VALU_DEP_1) | instskip(SKIP_1) | instid1(VALU_DEP_1)
	v_lshlrev_b64_e32 v[14:15], s0, v[10:11]
	s_add_nc_u64 s[0:1], s[0:1], 8
	v_or_b32_e32 v8, v14, v8
	s_delay_alu instid0(VALU_DEP_2)
	v_or_b32_e32 v9, v15, v9
	s_cbranch_scc1 .LBB1_120
.LBB1_121:                              ;   in Loop: Header=BB1_117 Depth=1
	s_mov_b64 s[12:13], s[4:5]
	s_mov_b32 s16, 0
	s_cbranch_execz .LBB1_123
	s_branch .LBB1_124
.LBB1_122:                              ;   in Loop: Header=BB1_117 Depth=1
	s_add_nc_u64 s[12:13], s[4:5], 8
	s_mov_b32 s16, 0
.LBB1_123:                              ;   in Loop: Header=BB1_117 Depth=1
	global_load_b64 v[8:9], v11, s[4:5]
	s_add_co_i32 s16, s10, -8
.LBB1_124:                              ;   in Loop: Header=BB1_117 Depth=1
	s_delay_alu instid0(SALU_CYCLE_1)
	s_cmp_gt_u32 s16, 7
	s_cbranch_scc1 .LBB1_129
; %bb.125:                              ;   in Loop: Header=BB1_117 Depth=1
	v_mov_b64_e32 v[14:15], 0
	s_cmp_eq_u32 s16, 0
	s_cbranch_scc1 .LBB1_128
; %bb.126:                              ;   in Loop: Header=BB1_117 Depth=1
	s_mov_b64 s[0:1], 0
	s_wait_xcnt 0x0
	s_mov_b64 s[14:15], 0
.LBB1_127:                              ;   Parent Loop BB1_117 Depth=1
                                        ; =>  This Inner Loop Header: Depth=2
	s_wait_xcnt 0x0
	s_add_nc_u64 s[18:19], s[12:13], s[14:15]
	s_add_nc_u64 s[14:15], s[14:15], 1
	global_load_u8 v3, v11, s[18:19]
	s_cmp_lg_u32 s16, s14
	s_wait_loadcnt 0x0
	v_and_b32_e32 v10, 0xffff, v3
	s_delay_alu instid0(VALU_DEP_1) | instskip(SKIP_1) | instid1(VALU_DEP_1)
	v_lshlrev_b64_e32 v[16:17], s0, v[10:11]
	s_add_nc_u64 s[0:1], s[0:1], 8
	v_or_b32_e32 v14, v16, v14
	s_delay_alu instid0(VALU_DEP_2)
	v_or_b32_e32 v15, v17, v15
	s_cbranch_scc1 .LBB1_127
.LBB1_128:                              ;   in Loop: Header=BB1_117 Depth=1
	s_wait_xcnt 0x0
	s_mov_b64 s[0:1], s[12:13]
	s_mov_b32 s17, 0
	s_cbranch_execz .LBB1_130
	s_branch .LBB1_131
.LBB1_129:                              ;   in Loop: Header=BB1_117 Depth=1
	s_add_nc_u64 s[0:1], s[12:13], 8
	s_wait_xcnt 0x0
                                        ; implicit-def: $vgpr14_vgpr15
	s_mov_b32 s17, 0
.LBB1_130:                              ;   in Loop: Header=BB1_117 Depth=1
	global_load_b64 v[14:15], v11, s[12:13]
	s_add_co_i32 s17, s16, -8
.LBB1_131:                              ;   in Loop: Header=BB1_117 Depth=1
	s_delay_alu instid0(SALU_CYCLE_1)
	s_cmp_gt_u32 s17, 7
	s_cbranch_scc1 .LBB1_136
; %bb.132:                              ;   in Loop: Header=BB1_117 Depth=1
	v_mov_b64_e32 v[16:17], 0
	s_cmp_eq_u32 s17, 0
	s_cbranch_scc1 .LBB1_135
; %bb.133:                              ;   in Loop: Header=BB1_117 Depth=1
	s_wait_xcnt 0x0
	s_mov_b64 s[12:13], 0
	s_mov_b64 s[14:15], 0
.LBB1_134:                              ;   Parent Loop BB1_117 Depth=1
                                        ; =>  This Inner Loop Header: Depth=2
	s_wait_xcnt 0x0
	s_add_nc_u64 s[18:19], s[0:1], s[14:15]
	s_add_nc_u64 s[14:15], s[14:15], 1
	global_load_u8 v3, v11, s[18:19]
	s_cmp_lg_u32 s17, s14
	s_wait_loadcnt 0x0
	v_and_b32_e32 v10, 0xffff, v3
	s_delay_alu instid0(VALU_DEP_1) | instskip(SKIP_1) | instid1(VALU_DEP_1)
	v_lshlrev_b64_e32 v[18:19], s12, v[10:11]
	s_add_nc_u64 s[12:13], s[12:13], 8
	v_or_b32_e32 v16, v18, v16
	s_delay_alu instid0(VALU_DEP_2)
	v_or_b32_e32 v17, v19, v17
	s_cbranch_scc1 .LBB1_134
.LBB1_135:                              ;   in Loop: Header=BB1_117 Depth=1
	s_wait_xcnt 0x0
	s_mov_b64 s[12:13], s[0:1]
	s_mov_b32 s16, 0
	s_cbranch_execz .LBB1_137
	s_branch .LBB1_138
.LBB1_136:                              ;   in Loop: Header=BB1_117 Depth=1
	s_wait_xcnt 0x0
	s_add_nc_u64 s[12:13], s[0:1], 8
	s_mov_b32 s16, 0
.LBB1_137:                              ;   in Loop: Header=BB1_117 Depth=1
	global_load_b64 v[16:17], v11, s[0:1]
	s_add_co_i32 s16, s17, -8
.LBB1_138:                              ;   in Loop: Header=BB1_117 Depth=1
	s_delay_alu instid0(SALU_CYCLE_1)
	s_cmp_gt_u32 s16, 7
	s_cbranch_scc1 .LBB1_143
; %bb.139:                              ;   in Loop: Header=BB1_117 Depth=1
	v_mov_b64_e32 v[18:19], 0
	s_cmp_eq_u32 s16, 0
	s_cbranch_scc1 .LBB1_142
; %bb.140:                              ;   in Loop: Header=BB1_117 Depth=1
	s_wait_xcnt 0x0
	s_mov_b64 s[0:1], 0
	s_mov_b64 s[14:15], 0
.LBB1_141:                              ;   Parent Loop BB1_117 Depth=1
                                        ; =>  This Inner Loop Header: Depth=2
	s_wait_xcnt 0x0
	s_add_nc_u64 s[18:19], s[12:13], s[14:15]
	s_add_nc_u64 s[14:15], s[14:15], 1
	global_load_u8 v3, v11, s[18:19]
	s_cmp_lg_u32 s16, s14
	s_wait_loadcnt 0x0
	v_and_b32_e32 v10, 0xffff, v3
	s_delay_alu instid0(VALU_DEP_1) | instskip(SKIP_1) | instid1(VALU_DEP_1)
	v_lshlrev_b64_e32 v[20:21], s0, v[10:11]
	s_add_nc_u64 s[0:1], s[0:1], 8
	v_or_b32_e32 v18, v20, v18
	s_delay_alu instid0(VALU_DEP_2)
	v_or_b32_e32 v19, v21, v19
	s_cbranch_scc1 .LBB1_141
.LBB1_142:                              ;   in Loop: Header=BB1_117 Depth=1
	s_wait_xcnt 0x0
	s_mov_b64 s[0:1], s[12:13]
	s_mov_b32 s17, 0
	s_cbranch_execz .LBB1_144
	s_branch .LBB1_145
.LBB1_143:                              ;   in Loop: Header=BB1_117 Depth=1
	s_wait_xcnt 0x0
	s_add_nc_u64 s[0:1], s[12:13], 8
                                        ; implicit-def: $vgpr18_vgpr19
	s_mov_b32 s17, 0
.LBB1_144:                              ;   in Loop: Header=BB1_117 Depth=1
	global_load_b64 v[18:19], v11, s[12:13]
	s_add_co_i32 s17, s16, -8
.LBB1_145:                              ;   in Loop: Header=BB1_117 Depth=1
	s_delay_alu instid0(SALU_CYCLE_1)
	s_cmp_gt_u32 s17, 7
	s_cbranch_scc1 .LBB1_150
; %bb.146:                              ;   in Loop: Header=BB1_117 Depth=1
	v_mov_b64_e32 v[20:21], 0
	s_cmp_eq_u32 s17, 0
	s_cbranch_scc1 .LBB1_149
; %bb.147:                              ;   in Loop: Header=BB1_117 Depth=1
	s_wait_xcnt 0x0
	s_mov_b64 s[12:13], 0
	s_mov_b64 s[14:15], 0
.LBB1_148:                              ;   Parent Loop BB1_117 Depth=1
                                        ; =>  This Inner Loop Header: Depth=2
	s_wait_xcnt 0x0
	s_add_nc_u64 s[18:19], s[0:1], s[14:15]
	s_add_nc_u64 s[14:15], s[14:15], 1
	global_load_u8 v3, v11, s[18:19]
	s_cmp_lg_u32 s17, s14
	s_wait_loadcnt 0x0
	v_and_b32_e32 v10, 0xffff, v3
	s_delay_alu instid0(VALU_DEP_1) | instskip(SKIP_1) | instid1(VALU_DEP_1)
	v_lshlrev_b64_e32 v[22:23], s12, v[10:11]
	s_add_nc_u64 s[12:13], s[12:13], 8
	v_or_b32_e32 v20, v22, v20
	s_delay_alu instid0(VALU_DEP_2)
	v_or_b32_e32 v21, v23, v21
	s_cbranch_scc1 .LBB1_148
.LBB1_149:                              ;   in Loop: Header=BB1_117 Depth=1
	s_wait_xcnt 0x0
	s_mov_b64 s[12:13], s[0:1]
	s_mov_b32 s16, 0
	s_cbranch_execz .LBB1_151
	s_branch .LBB1_152
.LBB1_150:                              ;   in Loop: Header=BB1_117 Depth=1
	s_wait_xcnt 0x0
	s_add_nc_u64 s[12:13], s[0:1], 8
	s_mov_b32 s16, 0
.LBB1_151:                              ;   in Loop: Header=BB1_117 Depth=1
	global_load_b64 v[20:21], v11, s[0:1]
	s_add_co_i32 s16, s17, -8
.LBB1_152:                              ;   in Loop: Header=BB1_117 Depth=1
	s_delay_alu instid0(SALU_CYCLE_1)
	s_cmp_gt_u32 s16, 7
	s_cbranch_scc1 .LBB1_157
; %bb.153:                              ;   in Loop: Header=BB1_117 Depth=1
	v_mov_b64_e32 v[22:23], 0
	s_cmp_eq_u32 s16, 0
	s_cbranch_scc1 .LBB1_156
; %bb.154:                              ;   in Loop: Header=BB1_117 Depth=1
	s_wait_xcnt 0x0
	s_mov_b64 s[0:1], 0
	s_mov_b64 s[14:15], 0
.LBB1_155:                              ;   Parent Loop BB1_117 Depth=1
                                        ; =>  This Inner Loop Header: Depth=2
	s_wait_xcnt 0x0
	s_add_nc_u64 s[18:19], s[12:13], s[14:15]
	s_add_nc_u64 s[14:15], s[14:15], 1
	global_load_u8 v3, v11, s[18:19]
	s_cmp_lg_u32 s16, s14
	s_wait_loadcnt 0x0
	v_and_b32_e32 v10, 0xffff, v3
	s_delay_alu instid0(VALU_DEP_1) | instskip(SKIP_1) | instid1(VALU_DEP_1)
	v_lshlrev_b64_e32 v[24:25], s0, v[10:11]
	s_add_nc_u64 s[0:1], s[0:1], 8
	v_or_b32_e32 v22, v24, v22
	s_delay_alu instid0(VALU_DEP_2)
	v_or_b32_e32 v23, v25, v23
	s_cbranch_scc1 .LBB1_155
.LBB1_156:                              ;   in Loop: Header=BB1_117 Depth=1
	s_wait_xcnt 0x0
	s_mov_b64 s[0:1], s[12:13]
	s_mov_b32 s17, 0
	s_cbranch_execz .LBB1_158
	s_branch .LBB1_159
.LBB1_157:                              ;   in Loop: Header=BB1_117 Depth=1
	s_wait_xcnt 0x0
	s_add_nc_u64 s[0:1], s[12:13], 8
                                        ; implicit-def: $vgpr22_vgpr23
	s_mov_b32 s17, 0
.LBB1_158:                              ;   in Loop: Header=BB1_117 Depth=1
	global_load_b64 v[22:23], v11, s[12:13]
	s_add_co_i32 s17, s16, -8
.LBB1_159:                              ;   in Loop: Header=BB1_117 Depth=1
	s_delay_alu instid0(SALU_CYCLE_1)
	s_cmp_gt_u32 s17, 7
	s_cbranch_scc1 .LBB1_164
; %bb.160:                              ;   in Loop: Header=BB1_117 Depth=1
	v_mov_b64_e32 v[24:25], 0
	s_cmp_eq_u32 s17, 0
	s_cbranch_scc1 .LBB1_163
; %bb.161:                              ;   in Loop: Header=BB1_117 Depth=1
	s_wait_xcnt 0x0
	s_mov_b64 s[12:13], 0
	s_mov_b64 s[14:15], s[0:1]
.LBB1_162:                              ;   Parent Loop BB1_117 Depth=1
                                        ; =>  This Inner Loop Header: Depth=2
	global_load_u8 v3, v11, s[14:15]
	s_add_co_i32 s17, s17, -1
	s_wait_xcnt 0x0
	s_add_nc_u64 s[14:15], s[14:15], 1
	s_cmp_lg_u32 s17, 0
	s_wait_loadcnt 0x0
	v_and_b32_e32 v10, 0xffff, v3
	s_delay_alu instid0(VALU_DEP_1) | instskip(SKIP_1) | instid1(VALU_DEP_1)
	v_lshlrev_b64_e32 v[26:27], s12, v[10:11]
	s_add_nc_u64 s[12:13], s[12:13], 8
	v_or_b32_e32 v24, v26, v24
	s_delay_alu instid0(VALU_DEP_2)
	v_or_b32_e32 v25, v27, v25
	s_cbranch_scc1 .LBB1_162
.LBB1_163:                              ;   in Loop: Header=BB1_117 Depth=1
	s_wait_xcnt 0x0
	s_cbranch_execz .LBB1_165
	s_branch .LBB1_166
.LBB1_164:                              ;   in Loop: Header=BB1_117 Depth=1
	s_wait_xcnt 0x0
.LBB1_165:                              ;   in Loop: Header=BB1_117 Depth=1
	global_load_b64 v[24:25], v11, s[0:1]
.LBB1_166:                              ;   in Loop: Header=BB1_117 Depth=1
	s_wait_xcnt 0x0
	v_readfirstlane_b32 s0, v48
	v_mov_b64_e32 v[32:33], 0
	s_delay_alu instid0(VALU_DEP_2)
	v_cmp_eq_u32_e64 s0, s0, v48
	s_and_saveexec_b32 s1, s0
	s_cbranch_execz .LBB1_172
; %bb.167:                              ;   in Loop: Header=BB1_117 Depth=1
	global_load_b64 v[28:29], v11, s[2:3] offset:24 scope:SCOPE_SYS
	s_wait_loadcnt 0x0
	global_inv scope:SCOPE_SYS
	s_clause 0x1
	global_load_b64 v[26:27], v11, s[2:3] offset:40
	global_load_b64 v[32:33], v11, s[2:3]
	s_mov_b32 s12, exec_lo
	s_wait_loadcnt 0x1
	v_and_b32_e32 v26, v26, v28
	v_and_b32_e32 v27, v27, v29
	s_delay_alu instid0(VALU_DEP_1) | instskip(SKIP_1) | instid1(VALU_DEP_1)
	v_mul_u64_e32 v[26:27], 24, v[26:27]
	s_wait_loadcnt 0x0
	v_add_nc_u64_e32 v[26:27], v[32:33], v[26:27]
	global_load_b64 v[26:27], v[26:27], off scope:SCOPE_SYS
	s_wait_xcnt 0x0
	s_wait_loadcnt 0x0
	global_atomic_cmpswap_b64 v[32:33], v11, v[26:29], s[2:3] offset:24 th:TH_ATOMIC_RETURN scope:SCOPE_SYS
	s_wait_loadcnt 0x0
	global_inv scope:SCOPE_SYS
	s_wait_xcnt 0x0
	v_cmpx_ne_u64_e64 v[32:33], v[28:29]
	s_cbranch_execz .LBB1_171
; %bb.168:                              ;   in Loop: Header=BB1_117 Depth=1
	s_mov_b32 s13, 0
.LBB1_169:                              ;   Parent Loop BB1_117 Depth=1
                                        ; =>  This Inner Loop Header: Depth=2
	s_sleep 1
	s_clause 0x1
	global_load_b64 v[26:27], v11, s[2:3] offset:40
	global_load_b64 v[34:35], v11, s[2:3]
	v_mov_b64_e32 v[28:29], v[32:33]
	s_wait_loadcnt 0x1
	s_delay_alu instid0(VALU_DEP_1) | instskip(SKIP_1) | instid1(VALU_DEP_1)
	v_and_b32_e32 v3, v26, v28
	s_wait_loadcnt 0x0
	v_mad_nc_u64_u32 v[32:33], v3, 24, v[34:35]
	s_delay_alu instid0(VALU_DEP_3) | instskip(NEXT) | instid1(VALU_DEP_1)
	v_and_b32_e32 v3, v27, v29
	v_mad_u32 v33, v3, 24, v33
	global_load_b64 v[26:27], v[32:33], off scope:SCOPE_SYS
	s_wait_xcnt 0x0
	s_wait_loadcnt 0x0
	global_atomic_cmpswap_b64 v[32:33], v11, v[26:29], s[2:3] offset:24 th:TH_ATOMIC_RETURN scope:SCOPE_SYS
	s_wait_loadcnt 0x0
	global_inv scope:SCOPE_SYS
	v_cmp_eq_u64_e32 vcc_lo, v[32:33], v[28:29]
	s_or_b32 s13, vcc_lo, s13
	s_wait_xcnt 0x0
	s_and_not1_b32 exec_lo, exec_lo, s13
	s_cbranch_execnz .LBB1_169
; %bb.170:                              ;   in Loop: Header=BB1_117 Depth=1
	s_or_b32 exec_lo, exec_lo, s13
.LBB1_171:                              ;   in Loop: Header=BB1_117 Depth=1
	s_delay_alu instid0(SALU_CYCLE_1)
	s_or_b32 exec_lo, exec_lo, s12
.LBB1_172:                              ;   in Loop: Header=BB1_117 Depth=1
	s_delay_alu instid0(SALU_CYCLE_1)
	s_or_b32 exec_lo, exec_lo, s1
	s_clause 0x1
	global_load_b64 v[34:35], v11, s[2:3] offset:40
	global_load_b128 v[26:29], v11, s[2:3]
	v_readfirstlane_b32 s12, v32
	v_readfirstlane_b32 s13, v33
	s_mov_b32 s1, exec_lo
	s_wait_loadcnt 0x1
	v_and_b32_e32 v34, s12, v34
	v_and_b32_e32 v35, s13, v35
	s_delay_alu instid0(VALU_DEP_1) | instskip(SKIP_1) | instid1(VALU_DEP_1)
	v_mul_u64_e32 v[32:33], 24, v[34:35]
	s_wait_loadcnt 0x0
	v_add_nc_u64_e32 v[32:33], v[26:27], v[32:33]
	s_wait_xcnt 0x0
	s_and_saveexec_b32 s14, s0
	s_cbranch_execz .LBB1_174
; %bb.173:                              ;   in Loop: Header=BB1_117 Depth=1
	v_mov_b32_e32 v10, s1
	global_store_b128 v[32:33], v[10:13], off offset:8
.LBB1_174:                              ;   in Loop: Header=BB1_117 Depth=1
	s_wait_xcnt 0x0
	s_or_b32 exec_lo, exec_lo, s14
	v_cmp_lt_u64_e64 vcc_lo, s[6:7], 57
	v_lshlrev_b64_e32 v[34:35], 12, v[34:35]
	v_and_b32_e32 v6, 0xffffff1f, v6
	s_lshl_b32 s1, s10, 2
	s_delay_alu instid0(SALU_CYCLE_1) | instskip(SKIP_1) | instid1(VALU_DEP_3)
	s_add_co_i32 s1, s1, 28
	v_cndmask_b32_e32 v3, 0, v2, vcc_lo
	v_add_nc_u64_e32 v[28:29], v[28:29], v[34:35]
	s_delay_alu instid0(VALU_DEP_2) | instskip(NEXT) | instid1(VALU_DEP_2)
	v_or_b32_e32 v3, v6, v3
	v_readfirstlane_b32 s14, v28
	s_delay_alu instid0(VALU_DEP_3) | instskip(NEXT) | instid1(VALU_DEP_3)
	v_readfirstlane_b32 s15, v29
	v_and_or_b32 v6, 0x1e0, s1, v3
	s_clause 0x3
	global_store_b128 v30, v[6:9], s[14:15]
	global_store_b128 v30, v[14:17], s[14:15] offset:16
	global_store_b128 v30, v[18:21], s[14:15] offset:32
	;; [unrolled: 1-line block ×3, first 2 shown]
	s_wait_xcnt 0x0
	s_and_saveexec_b32 s1, s0
	s_cbranch_execz .LBB1_182
; %bb.175:                              ;   in Loop: Header=BB1_117 Depth=1
	s_clause 0x1
	global_load_b64 v[18:19], v11, s[2:3] offset:32 scope:SCOPE_SYS
	global_load_b64 v[6:7], v11, s[2:3] offset:40
	s_mov_b32 s14, exec_lo
	v_dual_mov_b32 v16, s12 :: v_dual_mov_b32 v17, s13
	s_wait_loadcnt 0x0
	v_and_b32_e32 v7, s13, v7
	v_and_b32_e32 v6, s12, v6
	s_delay_alu instid0(VALU_DEP_1) | instskip(NEXT) | instid1(VALU_DEP_1)
	v_mul_u64_e32 v[6:7], 24, v[6:7]
	v_add_nc_u64_e32 v[14:15], v[26:27], v[6:7]
	global_store_b64 v[14:15], v[18:19], off
	global_wb scope:SCOPE_SYS
	s_wait_storecnt 0x0
	s_wait_xcnt 0x0
	global_atomic_cmpswap_b64 v[8:9], v11, v[16:19], s[2:3] offset:32 th:TH_ATOMIC_RETURN scope:SCOPE_SYS
	s_wait_loadcnt 0x0
	v_cmpx_ne_u64_e64 v[8:9], v[18:19]
	s_cbranch_execz .LBB1_178
; %bb.176:                              ;   in Loop: Header=BB1_117 Depth=1
	s_mov_b32 s15, 0
.LBB1_177:                              ;   Parent Loop BB1_117 Depth=1
                                        ; =>  This Inner Loop Header: Depth=2
	v_dual_mov_b32 v6, s12 :: v_dual_mov_b32 v7, s13
	s_sleep 1
	global_store_b64 v[14:15], v[8:9], off
	global_wb scope:SCOPE_SYS
	s_wait_storecnt 0x0
	s_wait_xcnt 0x0
	global_atomic_cmpswap_b64 v[6:7], v11, v[6:9], s[2:3] offset:32 th:TH_ATOMIC_RETURN scope:SCOPE_SYS
	s_wait_loadcnt 0x0
	v_cmp_eq_u64_e32 vcc_lo, v[6:7], v[8:9]
	v_mov_b64_e32 v[8:9], v[6:7]
	s_or_b32 s15, vcc_lo, s15
	s_delay_alu instid0(SALU_CYCLE_1)
	s_and_not1_b32 exec_lo, exec_lo, s15
	s_cbranch_execnz .LBB1_177
.LBB1_178:                              ;   in Loop: Header=BB1_117 Depth=1
	s_or_b32 exec_lo, exec_lo, s14
	global_load_b64 v[6:7], v11, s[2:3] offset:16
	s_mov_b32 s15, exec_lo
	s_mov_b32 s14, exec_lo
	v_mbcnt_lo_u32_b32 v3, s15, 0
	s_wait_xcnt 0x0
	s_delay_alu instid0(VALU_DEP_1)
	v_cmpx_eq_u32_e32 0, v3
	s_cbranch_execz .LBB1_180
; %bb.179:                              ;   in Loop: Header=BB1_117 Depth=1
	s_bcnt1_i32_b32 s15, s15
	s_delay_alu instid0(SALU_CYCLE_1)
	v_mov_b32_e32 v10, s15
	global_wb scope:SCOPE_SYS
	s_wait_loadcnt 0x0
	s_wait_storecnt 0x0
	global_atomic_add_u64 v[6:7], v[10:11], off offset:8 scope:SCOPE_SYS
.LBB1_180:                              ;   in Loop: Header=BB1_117 Depth=1
	s_wait_xcnt 0x0
	s_or_b32 exec_lo, exec_lo, s14
	s_wait_loadcnt 0x0
	global_load_b64 v[8:9], v[6:7], off offset:16
	s_wait_loadcnt 0x0
	v_cmp_eq_u64_e32 vcc_lo, 0, v[8:9]
	s_cbranch_vccnz .LBB1_182
; %bb.181:                              ;   in Loop: Header=BB1_117 Depth=1
	global_load_b32 v10, v[6:7], off offset:24
	s_wait_loadcnt 0x0
	v_readfirstlane_b32 s14, v10
	global_wb scope:SCOPE_SYS
	s_wait_storecnt 0x0
	s_wait_xcnt 0x0
	global_store_b64 v[8:9], v[10:11], off scope:SCOPE_SYS
	s_and_b32 m0, s14, 0xffffff
	s_sendmsg sendmsg(MSG_INTERRUPT)
.LBB1_182:                              ;   in Loop: Header=BB1_117 Depth=1
	s_wait_xcnt 0x0
	s_or_b32 exec_lo, exec_lo, s1
	v_mov_b32_e32 v31, v11
	s_delay_alu instid0(VALU_DEP_1)
	v_add_nc_u64_e32 v[6:7], v[28:29], v[30:31]
	s_branch .LBB1_186
.LBB1_183:                              ;   in Loop: Header=BB1_186 Depth=2
	s_wait_xcnt 0x0
	s_or_b32 exec_lo, exec_lo, s1
	s_delay_alu instid0(VALU_DEP_1)
	v_readfirstlane_b32 s1, v3
	s_cmp_eq_u32 s1, 0
	s_cbranch_scc1 .LBB1_185
; %bb.184:                              ;   in Loop: Header=BB1_186 Depth=2
	s_sleep 1
	s_cbranch_execnz .LBB1_186
	s_branch .LBB1_188
.LBB1_185:                              ;   in Loop: Header=BB1_117 Depth=1
	s_branch .LBB1_188
.LBB1_186:                              ;   Parent Loop BB1_117 Depth=1
                                        ; =>  This Inner Loop Header: Depth=2
	v_mov_b32_e32 v3, 1
	s_and_saveexec_b32 s1, s0
	s_cbranch_execz .LBB1_183
; %bb.187:                              ;   in Loop: Header=BB1_186 Depth=2
	global_load_b32 v3, v[32:33], off offset:20 scope:SCOPE_SYS
	s_wait_loadcnt 0x0
	global_inv scope:SCOPE_SYS
	v_and_b32_e32 v3, 1, v3
	s_branch .LBB1_183
.LBB1_188:                              ;   in Loop: Header=BB1_117 Depth=1
	global_load_b64 v[6:7], v[6:7], off
	s_wait_xcnt 0x0
	s_and_saveexec_b32 s14, s0
	s_cbranch_execz .LBB1_116
; %bb.189:                              ;   in Loop: Header=BB1_117 Depth=1
	s_clause 0x2
	global_load_b64 v[8:9], v11, s[2:3] offset:40
	global_load_b64 v[18:19], v11, s[2:3] offset:24 scope:SCOPE_SYS
	global_load_b64 v[14:15], v11, s[2:3]
	s_wait_loadcnt 0x2
	v_readfirstlane_b32 s16, v8
	v_readfirstlane_b32 s17, v9
	s_add_nc_u64 s[0:1], s[16:17], 1
	s_delay_alu instid0(SALU_CYCLE_1) | instskip(NEXT) | instid1(SALU_CYCLE_1)
	s_add_nc_u64 s[12:13], s[0:1], s[12:13]
	s_cmp_eq_u64 s[12:13], 0
	s_cselect_b32 s1, s1, s13
	s_cselect_b32 s0, s0, s12
	s_delay_alu instid0(SALU_CYCLE_1) | instskip(SKIP_1) | instid1(SALU_CYCLE_1)
	v_dual_mov_b32 v17, s1 :: v_dual_mov_b32 v16, s0
	s_and_b64 s[12:13], s[0:1], s[16:17]
	s_mul_u64 s[12:13], s[12:13], 24
	s_wait_loadcnt 0x0
	v_add_nc_u64_e32 v[8:9], s[12:13], v[14:15]
	global_store_b64 v[8:9], v[18:19], off
	global_wb scope:SCOPE_SYS
	s_wait_storecnt 0x0
	s_wait_xcnt 0x0
	global_atomic_cmpswap_b64 v[16:17], v11, v[16:19], s[2:3] offset:24 th:TH_ATOMIC_RETURN scope:SCOPE_SYS
	s_wait_loadcnt 0x0
	v_cmp_ne_u64_e32 vcc_lo, v[16:17], v[18:19]
	s_and_b32 exec_lo, exec_lo, vcc_lo
	s_cbranch_execz .LBB1_116
; %bb.190:                              ;   in Loop: Header=BB1_117 Depth=1
	s_mov_b32 s12, 0
.LBB1_191:                              ;   Parent Loop BB1_117 Depth=1
                                        ; =>  This Inner Loop Header: Depth=2
	v_dual_mov_b32 v14, s0 :: v_dual_mov_b32 v15, s1
	s_sleep 1
	global_store_b64 v[8:9], v[16:17], off
	global_wb scope:SCOPE_SYS
	s_wait_storecnt 0x0
	s_wait_xcnt 0x0
	global_atomic_cmpswap_b64 v[14:15], v11, v[14:17], s[2:3] offset:24 th:TH_ATOMIC_RETURN scope:SCOPE_SYS
	s_wait_loadcnt 0x0
	v_cmp_eq_u64_e32 vcc_lo, v[14:15], v[16:17]
	v_mov_b64_e32 v[16:17], v[14:15]
	s_or_b32 s12, vcc_lo, s12
	s_delay_alu instid0(SALU_CYCLE_1)
	s_and_not1_b32 exec_lo, exec_lo, s12
	s_cbranch_execnz .LBB1_191
	s_branch .LBB1_116
.LBB1_192:
	s_or_b32 exec_lo, exec_lo, s6
	s_branch .LBB1_114
.LBB1_193:
	v_readfirstlane_b32 s0, v48
	v_mov_b64_e32 v[8:9], 0
	s_delay_alu instid0(VALU_DEP_2)
	v_cmp_eq_u32_e64 s0, s0, v48
	s_and_saveexec_b32 s1, s0
	s_cbranch_execz .LBB1_199
; %bb.194:
	s_wait_loadcnt 0x0
	v_mov_b32_e32 v0, 0
	s_mov_b32 s4, exec_lo
	global_load_b64 v[10:11], v0, s[2:3] offset:24 scope:SCOPE_SYS
	s_wait_loadcnt 0x0
	global_inv scope:SCOPE_SYS
	s_clause 0x1
	global_load_b64 v[2:3], v0, s[2:3] offset:40
	global_load_b64 v[8:9], v0, s[2:3]
	s_wait_loadcnt 0x1
	v_and_b32_e32 v2, v2, v10
	v_and_b32_e32 v3, v3, v11
	s_delay_alu instid0(VALU_DEP_1) | instskip(SKIP_1) | instid1(VALU_DEP_1)
	v_mul_u64_e32 v[2:3], 24, v[2:3]
	s_wait_loadcnt 0x0
	v_add_nc_u64_e32 v[2:3], v[8:9], v[2:3]
	global_load_b64 v[8:9], v[2:3], off scope:SCOPE_SYS
	s_wait_xcnt 0x0
	s_wait_loadcnt 0x0
	global_atomic_cmpswap_b64 v[8:9], v0, v[8:11], s[2:3] offset:24 th:TH_ATOMIC_RETURN scope:SCOPE_SYS
	s_wait_loadcnt 0x0
	global_inv scope:SCOPE_SYS
	s_wait_xcnt 0x0
	v_cmpx_ne_u64_e64 v[8:9], v[10:11]
	s_cbranch_execz .LBB1_198
; %bb.195:
	s_mov_b32 s5, 0
.LBB1_196:                              ; =>This Inner Loop Header: Depth=1
	s_sleep 1
	s_clause 0x1
	global_load_b64 v[2:3], v0, s[2:3] offset:40
	global_load_b64 v[12:13], v0, s[2:3]
	v_mov_b64_e32 v[10:11], v[8:9]
	s_wait_loadcnt 0x1
	s_delay_alu instid0(VALU_DEP_1) | instskip(SKIP_1) | instid1(VALU_DEP_1)
	v_and_b32_e32 v1, v2, v10
	s_wait_loadcnt 0x0
	v_mad_nc_u64_u32 v[8:9], v1, 24, v[12:13]
	s_delay_alu instid0(VALU_DEP_3) | instskip(NEXT) | instid1(VALU_DEP_1)
	v_and_b32_e32 v1, v3, v11
	v_mad_u32 v9, v1, 24, v9
	global_load_b64 v[8:9], v[8:9], off scope:SCOPE_SYS
	s_wait_xcnt 0x0
	s_wait_loadcnt 0x0
	global_atomic_cmpswap_b64 v[8:9], v0, v[8:11], s[2:3] offset:24 th:TH_ATOMIC_RETURN scope:SCOPE_SYS
	s_wait_loadcnt 0x0
	global_inv scope:SCOPE_SYS
	v_cmp_eq_u64_e32 vcc_lo, v[8:9], v[10:11]
	s_or_b32 s5, vcc_lo, s5
	s_wait_xcnt 0x0
	s_and_not1_b32 exec_lo, exec_lo, s5
	s_cbranch_execnz .LBB1_196
; %bb.197:
	s_or_b32 exec_lo, exec_lo, s5
.LBB1_198:
	s_delay_alu instid0(SALU_CYCLE_1)
	s_or_b32 exec_lo, exec_lo, s4
.LBB1_199:
	s_delay_alu instid0(SALU_CYCLE_1)
	s_or_b32 exec_lo, exec_lo, s1
	v_readfirstlane_b32 s4, v8
	v_mov_b32_e32 v31, 0
	v_readfirstlane_b32 s5, v9
	s_mov_b32 s1, exec_lo
	global_load_b64 v[10:11], v31, s[2:3] offset:40
	s_wait_loadcnt 0x1
	global_load_b128 v[0:3], v31, s[2:3]
	s_wait_loadcnt 0x1
	v_and_b32_e32 v8, s4, v10
	v_and_b32_e32 v9, s5, v11
	s_delay_alu instid0(VALU_DEP_1) | instskip(SKIP_1) | instid1(VALU_DEP_1)
	v_mul_u64_e32 v[10:11], 24, v[8:9]
	s_wait_loadcnt 0x0
	v_add_nc_u64_e32 v[10:11], v[0:1], v[10:11]
	s_wait_xcnt 0x0
	s_and_saveexec_b32 s6, s0
	s_cbranch_execz .LBB1_201
; %bb.200:
	v_mov_b64_e32 v[14:15], 0x100000002
	v_dual_mov_b32 v12, s1 :: v_dual_mov_b32 v13, v31
	global_store_b128 v[10:11], v[12:15], off offset:8
.LBB1_201:
	s_wait_xcnt 0x0
	s_or_b32 exec_lo, exec_lo, s6
	v_lshlrev_b64_e32 v[8:9], 12, v[8:9]
	s_mov_b32 s12, 0
	v_and_or_b32 v6, 0xffffff1f, v6, 32
	s_mov_b32 s14, s12
	s_mov_b32 s15, s12
	;; [unrolled: 1-line block ×3, first 2 shown]
	v_mov_b64_e32 v[16:17], s[14:15]
	v_add_nc_u64_e32 v[12:13], v[2:3], v[8:9]
	v_mov_b64_e32 v[14:15], s[12:13]
	v_dual_mov_b32 v8, v31 :: v_dual_mov_b32 v9, v31
	s_delay_alu instid0(VALU_DEP_3) | instskip(NEXT) | instid1(VALU_DEP_4)
	v_readfirstlane_b32 s6, v12
	v_readfirstlane_b32 s7, v13
	s_clause 0x3
	global_store_b128 v30, v[6:9], s[6:7]
	global_store_b128 v30, v[14:17], s[6:7] offset:16
	global_store_b128 v30, v[14:17], s[6:7] offset:32
	;; [unrolled: 1-line block ×3, first 2 shown]
	s_wait_xcnt 0x0
	s_and_saveexec_b32 s1, s0
	s_cbranch_execz .LBB1_209
; %bb.202:
	v_dual_mov_b32 v8, 0 :: v_dual_mov_b32 v15, s5
	s_mov_b32 s6, exec_lo
	s_clause 0x1
	global_load_b64 v[16:17], v8, s[2:3] offset:32 scope:SCOPE_SYS
	global_load_b64 v[2:3], v8, s[2:3] offset:40
	s_wait_loadcnt 0x0
	v_dual_mov_b32 v14, s4 :: v_dual_bitop2_b32 v3, s5, v3 bitop3:0x40
	v_and_b32_e32 v2, s4, v2
	s_delay_alu instid0(VALU_DEP_1) | instskip(NEXT) | instid1(VALU_DEP_1)
	v_mul_u64_e32 v[2:3], 24, v[2:3]
	v_add_nc_u64_e32 v[6:7], v[0:1], v[2:3]
	global_store_b64 v[6:7], v[16:17], off
	global_wb scope:SCOPE_SYS
	s_wait_storecnt 0x0
	s_wait_xcnt 0x0
	global_atomic_cmpswap_b64 v[2:3], v8, v[14:17], s[2:3] offset:32 th:TH_ATOMIC_RETURN scope:SCOPE_SYS
	s_wait_loadcnt 0x0
	v_cmpx_ne_u64_e64 v[2:3], v[16:17]
	s_cbranch_execz .LBB1_205
; %bb.203:
	s_mov_b32 s7, 0
.LBB1_204:                              ; =>This Inner Loop Header: Depth=1
	v_dual_mov_b32 v0, s4 :: v_dual_mov_b32 v1, s5
	s_sleep 1
	global_store_b64 v[6:7], v[2:3], off
	global_wb scope:SCOPE_SYS
	s_wait_storecnt 0x0
	s_wait_xcnt 0x0
	global_atomic_cmpswap_b64 v[0:1], v8, v[0:3], s[2:3] offset:32 th:TH_ATOMIC_RETURN scope:SCOPE_SYS
	s_wait_loadcnt 0x0
	v_cmp_eq_u64_e32 vcc_lo, v[0:1], v[2:3]
	v_mov_b64_e32 v[2:3], v[0:1]
	s_or_b32 s7, vcc_lo, s7
	s_delay_alu instid0(SALU_CYCLE_1)
	s_and_not1_b32 exec_lo, exec_lo, s7
	s_cbranch_execnz .LBB1_204
.LBB1_205:
	s_or_b32 exec_lo, exec_lo, s6
	v_mov_b32_e32 v3, 0
	s_mov_b32 s7, exec_lo
	s_mov_b32 s6, exec_lo
	v_mbcnt_lo_u32_b32 v2, s7, 0
	global_load_b64 v[0:1], v3, s[2:3] offset:16
	s_wait_xcnt 0x0
	v_cmpx_eq_u32_e32 0, v2
	s_cbranch_execz .LBB1_207
; %bb.206:
	s_bcnt1_i32_b32 s7, s7
	s_delay_alu instid0(SALU_CYCLE_1)
	v_mov_b32_e32 v2, s7
	global_wb scope:SCOPE_SYS
	s_wait_loadcnt 0x0
	s_wait_storecnt 0x0
	global_atomic_add_u64 v[0:1], v[2:3], off offset:8 scope:SCOPE_SYS
.LBB1_207:
	s_wait_xcnt 0x0
	s_or_b32 exec_lo, exec_lo, s6
	s_wait_loadcnt 0x0
	global_load_b64 v[2:3], v[0:1], off offset:16
	s_wait_loadcnt 0x0
	v_cmp_eq_u64_e32 vcc_lo, 0, v[2:3]
	s_cbranch_vccnz .LBB1_209
; %bb.208:
	global_load_b32 v0, v[0:1], off offset:24
	s_wait_xcnt 0x0
	v_mov_b32_e32 v1, 0
	s_wait_loadcnt 0x0
	v_readfirstlane_b32 s6, v0
	global_wb scope:SCOPE_SYS
	s_wait_storecnt 0x0
	global_store_b64 v[2:3], v[0:1], off scope:SCOPE_SYS
	s_and_b32 m0, s6, 0xffffff
	s_sendmsg sendmsg(MSG_INTERRUPT)
.LBB1_209:
	s_wait_xcnt 0x0
	s_or_b32 exec_lo, exec_lo, s1
	v_add_nc_u64_e32 v[0:1], v[12:13], v[30:31]
	s_branch .LBB1_213
.LBB1_210:                              ;   in Loop: Header=BB1_213 Depth=1
	s_wait_xcnt 0x0
	s_or_b32 exec_lo, exec_lo, s1
	s_delay_alu instid0(VALU_DEP_1)
	v_readfirstlane_b32 s1, v2
	s_cmp_eq_u32 s1, 0
	s_cbranch_scc1 .LBB1_212
; %bb.211:                              ;   in Loop: Header=BB1_213 Depth=1
	s_sleep 1
	s_cbranch_execnz .LBB1_213
	s_branch .LBB1_216
.LBB1_212:
	s_branch .LBB1_216
.LBB1_213:                              ; =>This Inner Loop Header: Depth=1
	v_mov_b32_e32 v2, 1
	s_and_saveexec_b32 s1, s0
	s_cbranch_execz .LBB1_210
; %bb.214:                              ;   in Loop: Header=BB1_213 Depth=1
	global_load_b32 v2, v[10:11], off offset:20 scope:SCOPE_SYS
	s_wait_loadcnt 0x0
	global_inv scope:SCOPE_SYS
	v_and_b32_e32 v2, 1, v2
	s_branch .LBB1_210
.LBB1_215:
	s_branch .LBB1_249
.LBB1_216:
	global_load_b64 v[0:1], v[0:1], off
	s_wait_xcnt 0x0
	s_and_saveexec_b32 s6, s0
	s_cbranch_execz .LBB1_220
; %bb.217:
	v_mov_b32_e32 v10, 0
	s_clause 0x2
	global_load_b64 v[2:3], v10, s[2:3] offset:40
	global_load_b64 v[14:15], v10, s[2:3] offset:24 scope:SCOPE_SYS
	global_load_b64 v[6:7], v10, s[2:3]
	s_wait_loadcnt 0x2
	v_readfirstlane_b32 s10, v2
	v_readfirstlane_b32 s11, v3
	s_add_nc_u64 s[0:1], s[10:11], 1
	s_delay_alu instid0(SALU_CYCLE_1) | instskip(NEXT) | instid1(SALU_CYCLE_1)
	s_add_nc_u64 s[4:5], s[0:1], s[4:5]
	s_cmp_eq_u64 s[4:5], 0
	s_cselect_b32 s1, s1, s5
	s_cselect_b32 s0, s0, s4
	v_mov_b32_e32 v13, s1
	s_and_b64 s[4:5], s[0:1], s[10:11]
	v_mov_b32_e32 v12, s0
	s_mul_u64 s[4:5], s[4:5], 24
	s_wait_loadcnt 0x0
	v_add_nc_u64_e32 v[2:3], s[4:5], v[6:7]
	global_store_b64 v[2:3], v[14:15], off
	global_wb scope:SCOPE_SYS
	s_wait_storecnt 0x0
	s_wait_xcnt 0x0
	global_atomic_cmpswap_b64 v[8:9], v10, v[12:15], s[2:3] offset:24 th:TH_ATOMIC_RETURN scope:SCOPE_SYS
	s_wait_loadcnt 0x0
	v_cmp_ne_u64_e32 vcc_lo, v[8:9], v[14:15]
	s_and_b32 exec_lo, exec_lo, vcc_lo
	s_cbranch_execz .LBB1_220
; %bb.218:
	s_mov_b32 s4, 0
.LBB1_219:                              ; =>This Inner Loop Header: Depth=1
	v_dual_mov_b32 v6, s0 :: v_dual_mov_b32 v7, s1
	s_sleep 1
	global_store_b64 v[2:3], v[8:9], off
	global_wb scope:SCOPE_SYS
	s_wait_storecnt 0x0
	s_wait_xcnt 0x0
	global_atomic_cmpswap_b64 v[6:7], v10, v[6:9], s[2:3] offset:24 th:TH_ATOMIC_RETURN scope:SCOPE_SYS
	s_wait_loadcnt 0x0
	v_cmp_eq_u64_e32 vcc_lo, v[6:7], v[8:9]
	v_mov_b64_e32 v[8:9], v[6:7]
	s_or_b32 s4, vcc_lo, s4
	s_delay_alu instid0(SALU_CYCLE_1)
	s_and_not1_b32 exec_lo, exec_lo, s4
	s_cbranch_execnz .LBB1_219
.LBB1_220:
	s_or_b32 exec_lo, exec_lo, s6
	s_get_pc_i64 s[4:5]
	s_add_nc_u64 s[4:5], s[4:5], .str.4@rel64+4
	s_delay_alu instid0(SALU_CYCLE_1)
	s_cmp_lg_u64 s[4:5], 0
	s_cbranch_scc1 .LBB1_115
.LBB1_221:
                                        ; implicit-def: $vgpr6_vgpr7
	s_cbranch_execz .LBB1_249
; %bb.222:
	v_readfirstlane_b32 s0, v48
	v_mov_b64_e32 v[2:3], 0
	s_delay_alu instid0(VALU_DEP_2)
	v_cmp_eq_u32_e64 s0, s0, v48
	s_and_saveexec_b32 s1, s0
	s_cbranch_execz .LBB1_228
; %bb.223:
	s_wait_loadcnt 0x0
	v_mov_b32_e32 v6, 0
	s_mov_b32 s4, exec_lo
	global_load_b64 v[10:11], v6, s[2:3] offset:24 scope:SCOPE_SYS
	s_wait_loadcnt 0x0
	global_inv scope:SCOPE_SYS
	s_clause 0x1
	global_load_b64 v[2:3], v6, s[2:3] offset:40
	global_load_b64 v[8:9], v6, s[2:3]
	s_wait_loadcnt 0x1
	v_and_b32_e32 v2, v2, v10
	v_and_b32_e32 v3, v3, v11
	s_delay_alu instid0(VALU_DEP_1) | instskip(SKIP_1) | instid1(VALU_DEP_1)
	v_mul_u64_e32 v[2:3], 24, v[2:3]
	s_wait_loadcnt 0x0
	v_add_nc_u64_e32 v[2:3], v[8:9], v[2:3]
	global_load_b64 v[8:9], v[2:3], off scope:SCOPE_SYS
	s_wait_xcnt 0x0
	s_wait_loadcnt 0x0
	global_atomic_cmpswap_b64 v[2:3], v6, v[8:11], s[2:3] offset:24 th:TH_ATOMIC_RETURN scope:SCOPE_SYS
	s_wait_loadcnt 0x0
	global_inv scope:SCOPE_SYS
	s_wait_xcnt 0x0
	v_cmpx_ne_u64_e64 v[2:3], v[10:11]
	s_cbranch_execz .LBB1_227
; %bb.224:
	s_mov_b32 s5, 0
.LBB1_225:                              ; =>This Inner Loop Header: Depth=1
	s_sleep 1
	s_clause 0x1
	global_load_b64 v[8:9], v6, s[2:3] offset:40
	global_load_b64 v[12:13], v6, s[2:3]
	v_mov_b64_e32 v[10:11], v[2:3]
	s_wait_loadcnt 0x1
	s_delay_alu instid0(VALU_DEP_1) | instskip(NEXT) | instid1(VALU_DEP_2)
	v_and_b32_e32 v2, v8, v10
	v_and_b32_e32 v7, v9, v11
	s_wait_loadcnt 0x0
	s_delay_alu instid0(VALU_DEP_2) | instskip(NEXT) | instid1(VALU_DEP_1)
	v_mad_nc_u64_u32 v[2:3], v2, 24, v[12:13]
	v_mad_u32 v3, v7, 24, v3
	global_load_b64 v[8:9], v[2:3], off scope:SCOPE_SYS
	s_wait_xcnt 0x0
	s_wait_loadcnt 0x0
	global_atomic_cmpswap_b64 v[2:3], v6, v[8:11], s[2:3] offset:24 th:TH_ATOMIC_RETURN scope:SCOPE_SYS
	s_wait_loadcnt 0x0
	global_inv scope:SCOPE_SYS
	v_cmp_eq_u64_e32 vcc_lo, v[2:3], v[10:11]
	s_or_b32 s5, vcc_lo, s5
	s_wait_xcnt 0x0
	s_and_not1_b32 exec_lo, exec_lo, s5
	s_cbranch_execnz .LBB1_225
; %bb.226:
	s_or_b32 exec_lo, exec_lo, s5
.LBB1_227:
	s_delay_alu instid0(SALU_CYCLE_1)
	s_or_b32 exec_lo, exec_lo, s4
.LBB1_228:
	s_delay_alu instid0(SALU_CYCLE_1)
	s_or_b32 exec_lo, exec_lo, s1
	v_readfirstlane_b32 s4, v2
	v_mov_b32_e32 v31, 0
	v_readfirstlane_b32 s5, v3
	s_mov_b32 s1, exec_lo
	global_load_b64 v[10:11], v31, s[2:3] offset:40
	s_wait_loadcnt 0x1
	global_load_b128 v[6:9], v31, s[2:3]
	s_wait_loadcnt 0x1
	v_and_b32_e32 v2, s4, v10
	v_and_b32_e32 v3, s5, v11
	s_delay_alu instid0(VALU_DEP_1) | instskip(SKIP_1) | instid1(VALU_DEP_1)
	v_mul_u64_e32 v[10:11], 24, v[2:3]
	s_wait_loadcnt 0x0
	v_add_nc_u64_e32 v[10:11], v[6:7], v[10:11]
	s_wait_xcnt 0x0
	s_and_saveexec_b32 s6, s0
	s_cbranch_execz .LBB1_230
; %bb.229:
	v_mov_b64_e32 v[14:15], 0x100000002
	v_dual_mov_b32 v12, s1 :: v_dual_mov_b32 v13, v31
	global_store_b128 v[10:11], v[12:15], off offset:8
.LBB1_230:
	s_wait_xcnt 0x0
	s_or_b32 exec_lo, exec_lo, s6
	v_lshlrev_b64_e32 v[2:3], 12, v[2:3]
	s_mov_b32 s12, 0
	v_and_or_b32 v0, 0xffffff1f, v0, 32
	s_mov_b32 s13, s12
	s_mov_b32 s14, s12
	;; [unrolled: 1-line block ×3, first 2 shown]
	v_mov_b64_e32 v[12:13], s[12:13]
	v_add_nc_u64_e32 v[8:9], v[8:9], v[2:3]
	v_mov_b64_e32 v[14:15], s[14:15]
	v_dual_mov_b32 v2, v31 :: v_dual_mov_b32 v3, v31
	s_delay_alu instid0(VALU_DEP_3) | instskip(NEXT) | instid1(VALU_DEP_4)
	v_readfirstlane_b32 s6, v8
	v_readfirstlane_b32 s7, v9
	s_clause 0x3
	global_store_b128 v30, v[0:3], s[6:7]
	global_store_b128 v30, v[12:15], s[6:7] offset:16
	global_store_b128 v30, v[12:15], s[6:7] offset:32
	;; [unrolled: 1-line block ×3, first 2 shown]
	s_wait_xcnt 0x0
	s_and_saveexec_b32 s1, s0
	s_cbranch_execz .LBB1_238
; %bb.231:
	v_dual_mov_b32 v12, 0 :: v_dual_mov_b32 v15, s5
	s_mov_b32 s6, exec_lo
	s_clause 0x1
	global_load_b64 v[16:17], v12, s[2:3] offset:32 scope:SCOPE_SYS
	global_load_b64 v[0:1], v12, s[2:3] offset:40
	s_wait_loadcnt 0x0
	v_dual_mov_b32 v14, s4 :: v_dual_bitop2_b32 v1, s5, v1 bitop3:0x40
	v_and_b32_e32 v0, s4, v0
	s_delay_alu instid0(VALU_DEP_1) | instskip(NEXT) | instid1(VALU_DEP_1)
	v_mul_u64_e32 v[0:1], 24, v[0:1]
	v_add_nc_u64_e32 v[6:7], v[6:7], v[0:1]
	global_store_b64 v[6:7], v[16:17], off
	global_wb scope:SCOPE_SYS
	s_wait_storecnt 0x0
	s_wait_xcnt 0x0
	global_atomic_cmpswap_b64 v[2:3], v12, v[14:17], s[2:3] offset:32 th:TH_ATOMIC_RETURN scope:SCOPE_SYS
	s_wait_loadcnt 0x0
	v_cmpx_ne_u64_e64 v[2:3], v[16:17]
	s_cbranch_execz .LBB1_234
; %bb.232:
	s_mov_b32 s7, 0
.LBB1_233:                              ; =>This Inner Loop Header: Depth=1
	v_dual_mov_b32 v0, s4 :: v_dual_mov_b32 v1, s5
	s_sleep 1
	global_store_b64 v[6:7], v[2:3], off
	global_wb scope:SCOPE_SYS
	s_wait_storecnt 0x0
	s_wait_xcnt 0x0
	global_atomic_cmpswap_b64 v[0:1], v12, v[0:3], s[2:3] offset:32 th:TH_ATOMIC_RETURN scope:SCOPE_SYS
	s_wait_loadcnt 0x0
	v_cmp_eq_u64_e32 vcc_lo, v[0:1], v[2:3]
	v_mov_b64_e32 v[2:3], v[0:1]
	s_or_b32 s7, vcc_lo, s7
	s_delay_alu instid0(SALU_CYCLE_1)
	s_and_not1_b32 exec_lo, exec_lo, s7
	s_cbranch_execnz .LBB1_233
.LBB1_234:
	s_or_b32 exec_lo, exec_lo, s6
	v_mov_b32_e32 v3, 0
	s_mov_b32 s7, exec_lo
	s_mov_b32 s6, exec_lo
	v_mbcnt_lo_u32_b32 v2, s7, 0
	global_load_b64 v[0:1], v3, s[2:3] offset:16
	s_wait_xcnt 0x0
	v_cmpx_eq_u32_e32 0, v2
	s_cbranch_execz .LBB1_236
; %bb.235:
	s_bcnt1_i32_b32 s7, s7
	s_delay_alu instid0(SALU_CYCLE_1)
	v_mov_b32_e32 v2, s7
	global_wb scope:SCOPE_SYS
	s_wait_loadcnt 0x0
	s_wait_storecnt 0x0
	global_atomic_add_u64 v[0:1], v[2:3], off offset:8 scope:SCOPE_SYS
.LBB1_236:
	s_wait_xcnt 0x0
	s_or_b32 exec_lo, exec_lo, s6
	s_wait_loadcnt 0x0
	global_load_b64 v[2:3], v[0:1], off offset:16
	s_wait_loadcnt 0x0
	v_cmp_eq_u64_e32 vcc_lo, 0, v[2:3]
	s_cbranch_vccnz .LBB1_238
; %bb.237:
	global_load_b32 v0, v[0:1], off offset:24
	s_wait_xcnt 0x0
	v_mov_b32_e32 v1, 0
	s_wait_loadcnt 0x0
	v_readfirstlane_b32 s6, v0
	global_wb scope:SCOPE_SYS
	s_wait_storecnt 0x0
	global_store_b64 v[2:3], v[0:1], off scope:SCOPE_SYS
	s_and_b32 m0, s6, 0xffffff
	s_sendmsg sendmsg(MSG_INTERRUPT)
.LBB1_238:
	s_wait_xcnt 0x0
	s_or_b32 exec_lo, exec_lo, s1
	v_add_nc_u64_e32 v[0:1], v[8:9], v[30:31]
	s_branch .LBB1_242
.LBB1_239:                              ;   in Loop: Header=BB1_242 Depth=1
	s_wait_xcnt 0x0
	s_or_b32 exec_lo, exec_lo, s1
	s_delay_alu instid0(VALU_DEP_1)
	v_readfirstlane_b32 s1, v2
	s_cmp_eq_u32 s1, 0
	s_cbranch_scc1 .LBB1_241
; %bb.240:                              ;   in Loop: Header=BB1_242 Depth=1
	s_sleep 1
	s_cbranch_execnz .LBB1_242
	s_branch .LBB1_244
.LBB1_241:
	s_branch .LBB1_244
.LBB1_242:                              ; =>This Inner Loop Header: Depth=1
	v_mov_b32_e32 v2, 1
	s_and_saveexec_b32 s1, s0
	s_cbranch_execz .LBB1_239
; %bb.243:                              ;   in Loop: Header=BB1_242 Depth=1
	global_load_b32 v2, v[10:11], off offset:20 scope:SCOPE_SYS
	s_wait_loadcnt 0x0
	global_inv scope:SCOPE_SYS
	v_and_b32_e32 v2, 1, v2
	s_branch .LBB1_239
.LBB1_244:
	global_load_b64 v[6:7], v[0:1], off
	s_wait_xcnt 0x0
	s_and_saveexec_b32 s6, s0
	s_cbranch_execz .LBB1_248
; %bb.245:
	v_mov_b32_e32 v10, 0
	s_clause 0x2
	global_load_b64 v[0:1], v10, s[2:3] offset:40
	global_load_b64 v[14:15], v10, s[2:3] offset:24 scope:SCOPE_SYS
	global_load_b64 v[2:3], v10, s[2:3]
	s_wait_loadcnt 0x2
	v_readfirstlane_b32 s10, v0
	v_readfirstlane_b32 s11, v1
	s_add_nc_u64 s[0:1], s[10:11], 1
	s_delay_alu instid0(SALU_CYCLE_1) | instskip(NEXT) | instid1(SALU_CYCLE_1)
	s_add_nc_u64 s[4:5], s[0:1], s[4:5]
	s_cmp_eq_u64 s[4:5], 0
	s_cselect_b32 s1, s1, s5
	s_cselect_b32 s0, s0, s4
	v_mov_b32_e32 v13, s1
	s_and_b64 s[4:5], s[0:1], s[10:11]
	v_mov_b32_e32 v12, s0
	s_mul_u64 s[4:5], s[4:5], 24
	s_wait_loadcnt 0x0
	v_add_nc_u64_e32 v[8:9], s[4:5], v[2:3]
	global_store_b64 v[8:9], v[14:15], off
	global_wb scope:SCOPE_SYS
	s_wait_storecnt 0x0
	s_wait_xcnt 0x0
	global_atomic_cmpswap_b64 v[2:3], v10, v[12:15], s[2:3] offset:24 th:TH_ATOMIC_RETURN scope:SCOPE_SYS
	s_wait_loadcnt 0x0
	v_cmp_ne_u64_e32 vcc_lo, v[2:3], v[14:15]
	s_and_b32 exec_lo, exec_lo, vcc_lo
	s_cbranch_execz .LBB1_248
; %bb.246:
	s_mov_b32 s4, 0
.LBB1_247:                              ; =>This Inner Loop Header: Depth=1
	v_dual_mov_b32 v0, s0 :: v_dual_mov_b32 v1, s1
	s_sleep 1
	global_store_b64 v[8:9], v[2:3], off
	global_wb scope:SCOPE_SYS
	s_wait_storecnt 0x0
	s_wait_xcnt 0x0
	global_atomic_cmpswap_b64 v[0:1], v10, v[0:3], s[2:3] offset:24 th:TH_ATOMIC_RETURN scope:SCOPE_SYS
	s_wait_loadcnt 0x0
	v_cmp_eq_u64_e32 vcc_lo, v[0:1], v[2:3]
	v_mov_b64_e32 v[2:3], v[0:1]
	s_or_b32 s4, vcc_lo, s4
	s_delay_alu instid0(SALU_CYCLE_1)
	s_and_not1_b32 exec_lo, exec_lo, s4
	s_cbranch_execnz .LBB1_247
.LBB1_248:
	s_or_b32 exec_lo, exec_lo, s6
.LBB1_249:
	v_readfirstlane_b32 s0, v48
	v_mov_b64_e32 v[8:9], 0
	s_delay_alu instid0(VALU_DEP_2)
	v_cmp_eq_u32_e64 s0, s0, v48
	s_and_saveexec_b32 s1, s0
	s_cbranch_execz .LBB1_255
; %bb.250:
	s_wait_loadcnt 0x0
	v_mov_b32_e32 v0, 0
	s_mov_b32 s4, exec_lo
	global_load_b64 v[10:11], v0, s[2:3] offset:24 scope:SCOPE_SYS
	s_wait_loadcnt 0x0
	global_inv scope:SCOPE_SYS
	s_clause 0x1
	global_load_b64 v[2:3], v0, s[2:3] offset:40
	global_load_b64 v[8:9], v0, s[2:3]
	s_wait_loadcnt 0x1
	v_and_b32_e32 v2, v2, v10
	v_and_b32_e32 v3, v3, v11
	s_delay_alu instid0(VALU_DEP_1) | instskip(SKIP_1) | instid1(VALU_DEP_1)
	v_mul_u64_e32 v[2:3], 24, v[2:3]
	s_wait_loadcnt 0x0
	v_add_nc_u64_e32 v[2:3], v[8:9], v[2:3]
	global_load_b64 v[8:9], v[2:3], off scope:SCOPE_SYS
	s_wait_xcnt 0x0
	s_wait_loadcnt 0x0
	global_atomic_cmpswap_b64 v[8:9], v0, v[8:11], s[2:3] offset:24 th:TH_ATOMIC_RETURN scope:SCOPE_SYS
	s_wait_loadcnt 0x0
	global_inv scope:SCOPE_SYS
	s_wait_xcnt 0x0
	v_cmpx_ne_u64_e64 v[8:9], v[10:11]
	s_cbranch_execz .LBB1_254
; %bb.251:
	s_mov_b32 s5, 0
.LBB1_252:                              ; =>This Inner Loop Header: Depth=1
	s_sleep 1
	s_clause 0x1
	global_load_b64 v[2:3], v0, s[2:3] offset:40
	global_load_b64 v[12:13], v0, s[2:3]
	v_mov_b64_e32 v[10:11], v[8:9]
	s_wait_loadcnt 0x1
	s_delay_alu instid0(VALU_DEP_1) | instskip(SKIP_1) | instid1(VALU_DEP_1)
	v_and_b32_e32 v1, v2, v10
	s_wait_loadcnt 0x0
	v_mad_nc_u64_u32 v[8:9], v1, 24, v[12:13]
	s_delay_alu instid0(VALU_DEP_3) | instskip(NEXT) | instid1(VALU_DEP_1)
	v_and_b32_e32 v1, v3, v11
	v_mad_u32 v9, v1, 24, v9
	global_load_b64 v[8:9], v[8:9], off scope:SCOPE_SYS
	s_wait_xcnt 0x0
	s_wait_loadcnt 0x0
	global_atomic_cmpswap_b64 v[8:9], v0, v[8:11], s[2:3] offset:24 th:TH_ATOMIC_RETURN scope:SCOPE_SYS
	s_wait_loadcnt 0x0
	global_inv scope:SCOPE_SYS
	v_cmp_eq_u64_e32 vcc_lo, v[8:9], v[10:11]
	s_or_b32 s5, vcc_lo, s5
	s_wait_xcnt 0x0
	s_and_not1_b32 exec_lo, exec_lo, s5
	s_cbranch_execnz .LBB1_252
; %bb.253:
	s_or_b32 exec_lo, exec_lo, s5
.LBB1_254:
	s_delay_alu instid0(SALU_CYCLE_1)
	s_or_b32 exec_lo, exec_lo, s4
.LBB1_255:
	s_delay_alu instid0(SALU_CYCLE_1)
	s_or_b32 exec_lo, exec_lo, s1
	v_readfirstlane_b32 s4, v8
	v_mov_b32_e32 v31, 0
	v_readfirstlane_b32 s5, v9
	s_mov_b32 s1, exec_lo
	global_load_b64 v[10:11], v31, s[2:3] offset:40
	s_wait_loadcnt 0x1
	global_load_b128 v[0:3], v31, s[2:3]
	s_wait_loadcnt 0x1
	v_and_b32_e32 v8, s4, v10
	v_and_b32_e32 v9, s5, v11
	s_delay_alu instid0(VALU_DEP_1) | instskip(SKIP_1) | instid1(VALU_DEP_1)
	v_mul_u64_e32 v[10:11], 24, v[8:9]
	s_wait_loadcnt 0x0
	v_add_nc_u64_e32 v[10:11], v[0:1], v[10:11]
	s_wait_xcnt 0x0
	s_and_saveexec_b32 s6, s0
	s_cbranch_execz .LBB1_257
; %bb.256:
	v_mov_b64_e32 v[14:15], 0x100000002
	v_dual_mov_b32 v12, s1 :: v_dual_mov_b32 v13, v31
	global_store_b128 v[10:11], v[12:15], off offset:8
.LBB1_257:
	s_wait_xcnt 0x0
	s_or_b32 exec_lo, exec_lo, s6
	v_lshlrev_b64_e32 v[8:9], 12, v[8:9]
	s_mov_b32 s12, 0
	v_and_or_b32 v6, 0xffffff1f, v6, 32
	s_mov_b32 s14, s12
	s_mov_b32 s15, s12
	s_mov_b32 s13, s12
	v_mov_b64_e32 v[16:17], s[14:15]
	v_add_nc_u64_e32 v[12:13], v[2:3], v[8:9]
	v_mov_b64_e32 v[14:15], s[12:13]
	v_dual_mov_b32 v8, 0x331 :: v_dual_mov_b32 v9, v31
	s_delay_alu instid0(VALU_DEP_3) | instskip(NEXT) | instid1(VALU_DEP_4)
	v_readfirstlane_b32 s6, v12
	v_readfirstlane_b32 s7, v13
	s_clause 0x3
	global_store_b128 v30, v[6:9], s[6:7]
	global_store_b128 v30, v[14:17], s[6:7] offset:16
	global_store_b128 v30, v[14:17], s[6:7] offset:32
	;; [unrolled: 1-line block ×3, first 2 shown]
	s_wait_xcnt 0x0
	s_and_saveexec_b32 s1, s0
	s_cbranch_execz .LBB1_265
; %bb.258:
	v_dual_mov_b32 v8, 0 :: v_dual_mov_b32 v15, s5
	s_mov_b32 s6, exec_lo
	s_clause 0x1
	global_load_b64 v[16:17], v8, s[2:3] offset:32 scope:SCOPE_SYS
	global_load_b64 v[2:3], v8, s[2:3] offset:40
	s_wait_loadcnt 0x0
	v_dual_mov_b32 v14, s4 :: v_dual_bitop2_b32 v3, s5, v3 bitop3:0x40
	v_and_b32_e32 v2, s4, v2
	s_delay_alu instid0(VALU_DEP_1) | instskip(NEXT) | instid1(VALU_DEP_1)
	v_mul_u64_e32 v[2:3], 24, v[2:3]
	v_add_nc_u64_e32 v[6:7], v[0:1], v[2:3]
	global_store_b64 v[6:7], v[16:17], off
	global_wb scope:SCOPE_SYS
	s_wait_storecnt 0x0
	s_wait_xcnt 0x0
	global_atomic_cmpswap_b64 v[2:3], v8, v[14:17], s[2:3] offset:32 th:TH_ATOMIC_RETURN scope:SCOPE_SYS
	s_wait_loadcnt 0x0
	v_cmpx_ne_u64_e64 v[2:3], v[16:17]
	s_cbranch_execz .LBB1_261
; %bb.259:
	s_mov_b32 s7, 0
.LBB1_260:                              ; =>This Inner Loop Header: Depth=1
	v_dual_mov_b32 v0, s4 :: v_dual_mov_b32 v1, s5
	s_sleep 1
	global_store_b64 v[6:7], v[2:3], off
	global_wb scope:SCOPE_SYS
	s_wait_storecnt 0x0
	s_wait_xcnt 0x0
	global_atomic_cmpswap_b64 v[0:1], v8, v[0:3], s[2:3] offset:32 th:TH_ATOMIC_RETURN scope:SCOPE_SYS
	s_wait_loadcnt 0x0
	v_cmp_eq_u64_e32 vcc_lo, v[0:1], v[2:3]
	v_mov_b64_e32 v[2:3], v[0:1]
	s_or_b32 s7, vcc_lo, s7
	s_delay_alu instid0(SALU_CYCLE_1)
	s_and_not1_b32 exec_lo, exec_lo, s7
	s_cbranch_execnz .LBB1_260
.LBB1_261:
	s_or_b32 exec_lo, exec_lo, s6
	v_mov_b32_e32 v3, 0
	s_mov_b32 s7, exec_lo
	s_mov_b32 s6, exec_lo
	v_mbcnt_lo_u32_b32 v2, s7, 0
	global_load_b64 v[0:1], v3, s[2:3] offset:16
	s_wait_xcnt 0x0
	v_cmpx_eq_u32_e32 0, v2
	s_cbranch_execz .LBB1_263
; %bb.262:
	s_bcnt1_i32_b32 s7, s7
	s_delay_alu instid0(SALU_CYCLE_1)
	v_mov_b32_e32 v2, s7
	global_wb scope:SCOPE_SYS
	s_wait_loadcnt 0x0
	s_wait_storecnt 0x0
	global_atomic_add_u64 v[0:1], v[2:3], off offset:8 scope:SCOPE_SYS
.LBB1_263:
	s_wait_xcnt 0x0
	s_or_b32 exec_lo, exec_lo, s6
	s_wait_loadcnt 0x0
	global_load_b64 v[2:3], v[0:1], off offset:16
	s_wait_loadcnt 0x0
	v_cmp_eq_u64_e32 vcc_lo, 0, v[2:3]
	s_cbranch_vccnz .LBB1_265
; %bb.264:
	global_load_b32 v0, v[0:1], off offset:24
	s_wait_xcnt 0x0
	v_mov_b32_e32 v1, 0
	s_wait_loadcnt 0x0
	v_readfirstlane_b32 s6, v0
	global_wb scope:SCOPE_SYS
	s_wait_storecnt 0x0
	global_store_b64 v[2:3], v[0:1], off scope:SCOPE_SYS
	s_and_b32 m0, s6, 0xffffff
	s_sendmsg sendmsg(MSG_INTERRUPT)
.LBB1_265:
	s_wait_xcnt 0x0
	s_or_b32 exec_lo, exec_lo, s1
	v_add_nc_u64_e32 v[0:1], v[12:13], v[30:31]
	s_branch .LBB1_269
.LBB1_266:                              ;   in Loop: Header=BB1_269 Depth=1
	s_wait_xcnt 0x0
	s_or_b32 exec_lo, exec_lo, s1
	s_delay_alu instid0(VALU_DEP_1)
	v_readfirstlane_b32 s1, v2
	s_cmp_eq_u32 s1, 0
	s_cbranch_scc1 .LBB1_268
; %bb.267:                              ;   in Loop: Header=BB1_269 Depth=1
	s_sleep 1
	s_cbranch_execnz .LBB1_269
	s_branch .LBB1_271
.LBB1_268:
	s_branch .LBB1_271
.LBB1_269:                              ; =>This Inner Loop Header: Depth=1
	v_mov_b32_e32 v2, 1
	s_and_saveexec_b32 s1, s0
	s_cbranch_execz .LBB1_266
; %bb.270:                              ;   in Loop: Header=BB1_269 Depth=1
	global_load_b32 v2, v[10:11], off offset:20 scope:SCOPE_SYS
	s_wait_loadcnt 0x0
	global_inv scope:SCOPE_SYS
	v_and_b32_e32 v2, 1, v2
	s_branch .LBB1_266
.LBB1_271:
	global_load_b64 v[0:1], v[0:1], off
	s_wait_xcnt 0x0
	s_and_saveexec_b32 s6, s0
	s_cbranch_execz .LBB1_275
; %bb.272:
	v_mov_b32_e32 v10, 0
	s_clause 0x2
	global_load_b64 v[2:3], v10, s[2:3] offset:40
	global_load_b64 v[14:15], v10, s[2:3] offset:24 scope:SCOPE_SYS
	global_load_b64 v[6:7], v10, s[2:3]
	s_wait_loadcnt 0x2
	v_readfirstlane_b32 s10, v2
	v_readfirstlane_b32 s11, v3
	s_add_nc_u64 s[0:1], s[10:11], 1
	s_delay_alu instid0(SALU_CYCLE_1) | instskip(NEXT) | instid1(SALU_CYCLE_1)
	s_add_nc_u64 s[4:5], s[0:1], s[4:5]
	s_cmp_eq_u64 s[4:5], 0
	s_cselect_b32 s1, s1, s5
	s_cselect_b32 s0, s0, s4
	v_mov_b32_e32 v13, s1
	s_and_b64 s[4:5], s[0:1], s[10:11]
	v_mov_b32_e32 v12, s0
	s_mul_u64 s[4:5], s[4:5], 24
	s_wait_loadcnt 0x0
	v_add_nc_u64_e32 v[2:3], s[4:5], v[6:7]
	global_store_b64 v[2:3], v[14:15], off
	global_wb scope:SCOPE_SYS
	s_wait_storecnt 0x0
	s_wait_xcnt 0x0
	global_atomic_cmpswap_b64 v[8:9], v10, v[12:15], s[2:3] offset:24 th:TH_ATOMIC_RETURN scope:SCOPE_SYS
	s_wait_loadcnt 0x0
	v_cmp_ne_u64_e32 vcc_lo, v[8:9], v[14:15]
	s_and_b32 exec_lo, exec_lo, vcc_lo
	s_cbranch_execz .LBB1_275
; %bb.273:
	s_mov_b32 s4, 0
.LBB1_274:                              ; =>This Inner Loop Header: Depth=1
	v_dual_mov_b32 v6, s0 :: v_dual_mov_b32 v7, s1
	s_sleep 1
	global_store_b64 v[2:3], v[8:9], off
	global_wb scope:SCOPE_SYS
	s_wait_storecnt 0x0
	s_wait_xcnt 0x0
	global_atomic_cmpswap_b64 v[6:7], v10, v[6:9], s[2:3] offset:24 th:TH_ATOMIC_RETURN scope:SCOPE_SYS
	s_wait_loadcnt 0x0
	v_cmp_eq_u64_e32 vcc_lo, v[6:7], v[8:9]
	v_mov_b64_e32 v[8:9], v[6:7]
	s_or_b32 s4, vcc_lo, s4
	s_delay_alu instid0(SALU_CYCLE_1)
	s_and_not1_b32 exec_lo, exec_lo, s4
	s_cbranch_execnz .LBB1_274
.LBB1_275:
	s_or_b32 exec_lo, exec_lo, s6
	v_mov_b64_e32 v[2:3], v[4:5]
	s_mov_b32 s0, 0
.LBB1_276:                              ; =>This Inner Loop Header: Depth=1
	global_load_u8 v6, v[2:3], off
	s_wait_xcnt 0x0
	v_add_nc_u64_e32 v[2:3], 1, v[2:3]
	s_wait_loadcnt 0x0
	v_cmp_eq_u16_e32 vcc_lo, 0, v6
	s_or_b32 s0, vcc_lo, s0
	s_delay_alu instid0(SALU_CYCLE_1)
	s_and_not1_b32 exec_lo, exec_lo, s0
	s_cbranch_execnz .LBB1_276
; %bb.277:
	s_or_b32 exec_lo, exec_lo, s0
	s_delay_alu instid0(SALU_CYCLE_1)
	s_mov_b32 s0, exec_lo
	v_cmpx_ne_u64_e32 0, v[4:5]
	s_xor_b32 s6, exec_lo, s0
	s_cbranch_execz .LBB1_363
; %bb.278:
	v_dual_mov_b32 v31, 0 :: v_dual_sub_nc_u32 v26, v2, v4
	v_mov_b64_e32 v[8:9], 0x100000002
	v_and_b32_e32 v28, 2, v0
	s_delay_alu instid0(VALU_DEP_3)
	v_dual_ashrrev_i32 v27, 31, v26 :: v_dual_bitop2_b32 v0, -3, v0 bitop3:0x40
	s_mov_b32 s10, 0
	s_mov_b32 s7, 0
	s_branch .LBB1_280
.LBB1_279:                              ;   in Loop: Header=BB1_280 Depth=1
	s_or_b32 exec_lo, exec_lo, s11
	v_sub_nc_u64_e32 v[26:27], v[26:27], v[32:33]
	v_add_nc_u64_e32 v[4:5], v[4:5], v[32:33]
	s_delay_alu instid0(VALU_DEP_2) | instskip(SKIP_1) | instid1(SALU_CYCLE_1)
	v_cmp_eq_u64_e32 vcc_lo, 0, v[26:27]
	s_or_b32 s7, vcc_lo, s7
	s_and_not1_b32 exec_lo, exec_lo, s7
	s_cbranch_execz .LBB1_362
.LBB1_280:                              ; =>This Loop Header: Depth=1
                                        ;     Child Loop BB1_283 Depth 2
                                        ;     Child Loop BB1_291 Depth 2
	;; [unrolled: 1-line block ×11, first 2 shown]
	s_delay_alu instid0(VALU_DEP_1) | instskip(NEXT) | instid1(VALU_DEP_3)
	v_min_u64 v[32:33], v[26:27], 56
	v_add_nc_u64_e32 v[12:13], 8, v[4:5]
	s_mov_b32 s0, exec_lo
	v_cmpx_gt_u64_e32 8, v[26:27]
	s_xor_b32 s4, exec_lo, s0
	s_cbranch_execz .LBB1_286
; %bb.281:                              ;   in Loop: Header=BB1_280 Depth=1
	v_mov_b64_e32 v[2:3], 0
	s_mov_b32 s5, exec_lo
	v_cmpx_ne_u64_e32 0, v[26:27]
	s_cbranch_execz .LBB1_285
; %bb.282:                              ;   in Loop: Header=BB1_280 Depth=1
	v_mov_b64_e32 v[2:3], 0
	v_mov_b64_e32 v[10:11], v[4:5]
	v_lshlrev_b32_e32 v6, 3, v32
	s_mov_b64 s[0:1], 0
	s_mov_b32 s11, 0
.LBB1_283:                              ;   Parent Loop BB1_280 Depth=1
                                        ; =>  This Inner Loop Header: Depth=2
	global_load_u8 v7, v[10:11], off
	v_mov_b32_e32 v13, s10
	s_wait_xcnt 0x0
	v_add_nc_u64_e32 v[10:11], 1, v[10:11]
	s_wait_loadcnt 0x0
	v_and_b32_e32 v12, 0xffff, v7
	s_delay_alu instid0(VALU_DEP_1) | instskip(SKIP_1) | instid1(SALU_CYCLE_1)
	v_lshlrev_b64_e32 v[12:13], s0, v[12:13]
	s_add_nc_u64 s[0:1], s[0:1], 8
	v_cmp_eq_u32_e32 vcc_lo, s0, v6
	s_delay_alu instid0(VALU_DEP_2) | instskip(NEXT) | instid1(VALU_DEP_3)
	v_or_b32_e32 v3, v13, v3
	v_or_b32_e32 v2, v12, v2
	s_or_b32 s11, vcc_lo, s11
	s_delay_alu instid0(SALU_CYCLE_1)
	s_and_not1_b32 exec_lo, exec_lo, s11
	s_cbranch_execnz .LBB1_283
; %bb.284:                              ;   in Loop: Header=BB1_280 Depth=1
	s_or_b32 exec_lo, exec_lo, s11
.LBB1_285:                              ;   in Loop: Header=BB1_280 Depth=1
	s_delay_alu instid0(SALU_CYCLE_1)
	s_or_b32 exec_lo, exec_lo, s5
	v_mov_b64_e32 v[12:13], v[4:5]
.LBB1_286:                              ;   in Loop: Header=BB1_280 Depth=1
	s_or_saveexec_b32 s0, s4
	v_mov_b32_e32 v14, 0
	s_xor_b32 exec_lo, exec_lo, s0
	s_cbranch_execz .LBB1_288
; %bb.287:                              ;   in Loop: Header=BB1_280 Depth=1
	global_load_b64 v[2:3], v[4:5], off
	v_add_nc_u32_e32 v14, -8, v32
.LBB1_288:                              ;   in Loop: Header=BB1_280 Depth=1
	s_wait_xcnt 0x0
	s_or_b32 exec_lo, exec_lo, s0
	v_add_nc_u64_e32 v[6:7], 8, v[12:13]
                                        ; implicit-def: $vgpr10_vgpr11
	s_mov_b32 s0, exec_lo
	v_cmpx_gt_u32_e32 8, v14
	s_xor_b32 s11, exec_lo, s0
	s_cbranch_execz .LBB1_294
; %bb.289:                              ;   in Loop: Header=BB1_280 Depth=1
	v_mov_b64_e32 v[10:11], 0
	s_mov_b32 s12, exec_lo
	v_cmpx_ne_u32_e32 0, v14
	s_cbranch_execz .LBB1_293
; %bb.290:                              ;   in Loop: Header=BB1_280 Depth=1
	v_mov_b64_e32 v[10:11], 0
	s_mov_b64 s[0:1], 0
	s_mov_b32 s13, 0
	s_mov_b64 s[4:5], 0
.LBB1_291:                              ;   Parent Loop BB1_280 Depth=1
                                        ; =>  This Inner Loop Header: Depth=2
	s_delay_alu instid0(SALU_CYCLE_1) | instskip(SKIP_1) | instid1(SALU_CYCLE_1)
	v_add_nc_u64_e32 v[6:7], s[4:5], v[12:13]
	s_add_nc_u64 s[4:5], s[4:5], 1
	v_cmp_eq_u32_e32 vcc_lo, s4, v14
	global_load_u8 v6, v[6:7], off
	s_wait_xcnt 0x0
	v_mov_b32_e32 v7, s10
	s_or_b32 s13, vcc_lo, s13
	s_wait_loadcnt 0x0
	v_and_b32_e32 v6, 0xffff, v6
	s_delay_alu instid0(VALU_DEP_1) | instskip(SKIP_1) | instid1(VALU_DEP_1)
	v_lshlrev_b64_e32 v[6:7], s0, v[6:7]
	s_add_nc_u64 s[0:1], s[0:1], 8
	v_or_b32_e32 v11, v7, v11
	s_delay_alu instid0(VALU_DEP_2)
	v_or_b32_e32 v10, v6, v10
	s_and_not1_b32 exec_lo, exec_lo, s13
	s_cbranch_execnz .LBB1_291
; %bb.292:                              ;   in Loop: Header=BB1_280 Depth=1
	s_or_b32 exec_lo, exec_lo, s13
.LBB1_293:                              ;   in Loop: Header=BB1_280 Depth=1
	s_delay_alu instid0(SALU_CYCLE_1)
	s_or_b32 exec_lo, exec_lo, s12
	v_mov_b64_e32 v[6:7], v[12:13]
                                        ; implicit-def: $vgpr14
.LBB1_294:                              ;   in Loop: Header=BB1_280 Depth=1
	s_or_saveexec_b32 s0, s11
	v_mov_b32_e32 v15, 0
	s_xor_b32 exec_lo, exec_lo, s0
	s_cbranch_execz .LBB1_296
; %bb.295:                              ;   in Loop: Header=BB1_280 Depth=1
	global_load_b64 v[10:11], v[12:13], off
	v_add_nc_u32_e32 v15, -8, v14
.LBB1_296:                              ;   in Loop: Header=BB1_280 Depth=1
	s_wait_xcnt 0x0
	s_or_b32 exec_lo, exec_lo, s0
	v_add_nc_u64_e32 v[16:17], 8, v[6:7]
	s_mov_b32 s0, exec_lo
	v_cmpx_gt_u32_e32 8, v15
	s_xor_b32 s11, exec_lo, s0
	s_cbranch_execz .LBB1_302
; %bb.297:                              ;   in Loop: Header=BB1_280 Depth=1
	v_mov_b64_e32 v[12:13], 0
	s_mov_b32 s12, exec_lo
	v_cmpx_ne_u32_e32 0, v15
	s_cbranch_execz .LBB1_301
; %bb.298:                              ;   in Loop: Header=BB1_280 Depth=1
	v_mov_b64_e32 v[12:13], 0
	s_mov_b64 s[0:1], 0
	s_mov_b32 s13, 0
	s_mov_b64 s[4:5], 0
.LBB1_299:                              ;   Parent Loop BB1_280 Depth=1
                                        ; =>  This Inner Loop Header: Depth=2
	s_delay_alu instid0(SALU_CYCLE_1) | instskip(SKIP_1) | instid1(SALU_CYCLE_1)
	v_add_nc_u64_e32 v[16:17], s[4:5], v[6:7]
	s_add_nc_u64 s[4:5], s[4:5], 1
	v_cmp_eq_u32_e32 vcc_lo, s4, v15
	global_load_u8 v14, v[16:17], off
	s_wait_xcnt 0x0
	v_mov_b32_e32 v17, s10
	s_or_b32 s13, vcc_lo, s13
	s_wait_loadcnt 0x0
	v_and_b32_e32 v16, 0xffff, v14
	s_delay_alu instid0(VALU_DEP_1) | instskip(SKIP_1) | instid1(VALU_DEP_1)
	v_lshlrev_b64_e32 v[16:17], s0, v[16:17]
	s_add_nc_u64 s[0:1], s[0:1], 8
	v_or_b32_e32 v13, v17, v13
	s_delay_alu instid0(VALU_DEP_2)
	v_or_b32_e32 v12, v16, v12
	s_and_not1_b32 exec_lo, exec_lo, s13
	s_cbranch_execnz .LBB1_299
; %bb.300:                              ;   in Loop: Header=BB1_280 Depth=1
	s_or_b32 exec_lo, exec_lo, s13
.LBB1_301:                              ;   in Loop: Header=BB1_280 Depth=1
	s_delay_alu instid0(SALU_CYCLE_1)
	s_or_b32 exec_lo, exec_lo, s12
	v_mov_b64_e32 v[16:17], v[6:7]
                                        ; implicit-def: $vgpr15
.LBB1_302:                              ;   in Loop: Header=BB1_280 Depth=1
	s_or_saveexec_b32 s0, s11
	v_mov_b32_e32 v18, 0
	s_xor_b32 exec_lo, exec_lo, s0
	s_cbranch_execz .LBB1_304
; %bb.303:                              ;   in Loop: Header=BB1_280 Depth=1
	global_load_b64 v[12:13], v[6:7], off
	v_add_nc_u32_e32 v18, -8, v15
.LBB1_304:                              ;   in Loop: Header=BB1_280 Depth=1
	s_wait_xcnt 0x0
	s_or_b32 exec_lo, exec_lo, s0
	v_add_nc_u64_e32 v[6:7], 8, v[16:17]
                                        ; implicit-def: $vgpr14_vgpr15
	s_mov_b32 s0, exec_lo
	v_cmpx_gt_u32_e32 8, v18
	s_xor_b32 s11, exec_lo, s0
	s_cbranch_execz .LBB1_310
; %bb.305:                              ;   in Loop: Header=BB1_280 Depth=1
	v_mov_b64_e32 v[14:15], 0
	s_mov_b32 s12, exec_lo
	v_cmpx_ne_u32_e32 0, v18
	s_cbranch_execz .LBB1_309
; %bb.306:                              ;   in Loop: Header=BB1_280 Depth=1
	v_mov_b64_e32 v[14:15], 0
	s_mov_b64 s[0:1], 0
	s_mov_b32 s13, 0
	s_mov_b64 s[4:5], 0
.LBB1_307:                              ;   Parent Loop BB1_280 Depth=1
                                        ; =>  This Inner Loop Header: Depth=2
	s_delay_alu instid0(SALU_CYCLE_1) | instskip(SKIP_1) | instid1(SALU_CYCLE_1)
	v_add_nc_u64_e32 v[6:7], s[4:5], v[16:17]
	s_add_nc_u64 s[4:5], s[4:5], 1
	v_cmp_eq_u32_e32 vcc_lo, s4, v18
	global_load_u8 v6, v[6:7], off
	s_wait_xcnt 0x0
	v_mov_b32_e32 v7, s10
	s_or_b32 s13, vcc_lo, s13
	s_wait_loadcnt 0x0
	v_and_b32_e32 v6, 0xffff, v6
	s_delay_alu instid0(VALU_DEP_1) | instskip(SKIP_1) | instid1(VALU_DEP_1)
	v_lshlrev_b64_e32 v[6:7], s0, v[6:7]
	s_add_nc_u64 s[0:1], s[0:1], 8
	v_or_b32_e32 v15, v7, v15
	s_delay_alu instid0(VALU_DEP_2)
	v_or_b32_e32 v14, v6, v14
	s_and_not1_b32 exec_lo, exec_lo, s13
	s_cbranch_execnz .LBB1_307
; %bb.308:                              ;   in Loop: Header=BB1_280 Depth=1
	s_or_b32 exec_lo, exec_lo, s13
.LBB1_309:                              ;   in Loop: Header=BB1_280 Depth=1
	s_delay_alu instid0(SALU_CYCLE_1)
	s_or_b32 exec_lo, exec_lo, s12
	v_mov_b64_e32 v[6:7], v[16:17]
                                        ; implicit-def: $vgpr18
.LBB1_310:                              ;   in Loop: Header=BB1_280 Depth=1
	s_or_saveexec_b32 s0, s11
	v_mov_b32_e32 v19, 0
	s_xor_b32 exec_lo, exec_lo, s0
	s_cbranch_execz .LBB1_312
; %bb.311:                              ;   in Loop: Header=BB1_280 Depth=1
	global_load_b64 v[14:15], v[16:17], off
	v_add_nc_u32_e32 v19, -8, v18
.LBB1_312:                              ;   in Loop: Header=BB1_280 Depth=1
	s_wait_xcnt 0x0
	s_or_b32 exec_lo, exec_lo, s0
	v_add_nc_u64_e32 v[20:21], 8, v[6:7]
	s_mov_b32 s0, exec_lo
	v_cmpx_gt_u32_e32 8, v19
	s_xor_b32 s11, exec_lo, s0
	s_cbranch_execz .LBB1_318
; %bb.313:                              ;   in Loop: Header=BB1_280 Depth=1
	v_mov_b64_e32 v[16:17], 0
	s_mov_b32 s12, exec_lo
	v_cmpx_ne_u32_e32 0, v19
	s_cbranch_execz .LBB1_317
; %bb.314:                              ;   in Loop: Header=BB1_280 Depth=1
	v_mov_b64_e32 v[16:17], 0
	s_mov_b64 s[0:1], 0
	s_mov_b32 s13, 0
	s_mov_b64 s[4:5], 0
.LBB1_315:                              ;   Parent Loop BB1_280 Depth=1
                                        ; =>  This Inner Loop Header: Depth=2
	s_delay_alu instid0(SALU_CYCLE_1) | instskip(SKIP_1) | instid1(SALU_CYCLE_1)
	v_add_nc_u64_e32 v[20:21], s[4:5], v[6:7]
	s_add_nc_u64 s[4:5], s[4:5], 1
	v_cmp_eq_u32_e32 vcc_lo, s4, v19
	global_load_u8 v18, v[20:21], off
	s_wait_xcnt 0x0
	v_mov_b32_e32 v21, s10
	s_or_b32 s13, vcc_lo, s13
	s_wait_loadcnt 0x0
	v_and_b32_e32 v20, 0xffff, v18
	s_delay_alu instid0(VALU_DEP_1) | instskip(SKIP_1) | instid1(VALU_DEP_1)
	v_lshlrev_b64_e32 v[20:21], s0, v[20:21]
	s_add_nc_u64 s[0:1], s[0:1], 8
	v_or_b32_e32 v17, v21, v17
	s_delay_alu instid0(VALU_DEP_2)
	v_or_b32_e32 v16, v20, v16
	s_and_not1_b32 exec_lo, exec_lo, s13
	s_cbranch_execnz .LBB1_315
; %bb.316:                              ;   in Loop: Header=BB1_280 Depth=1
	s_or_b32 exec_lo, exec_lo, s13
.LBB1_317:                              ;   in Loop: Header=BB1_280 Depth=1
	s_delay_alu instid0(SALU_CYCLE_1)
	s_or_b32 exec_lo, exec_lo, s12
	v_mov_b64_e32 v[20:21], v[6:7]
                                        ; implicit-def: $vgpr19
.LBB1_318:                              ;   in Loop: Header=BB1_280 Depth=1
	s_or_saveexec_b32 s0, s11
	v_mov_b32_e32 v22, 0
	s_xor_b32 exec_lo, exec_lo, s0
	s_cbranch_execz .LBB1_320
; %bb.319:                              ;   in Loop: Header=BB1_280 Depth=1
	global_load_b64 v[16:17], v[6:7], off
	v_add_nc_u32_e32 v22, -8, v19
.LBB1_320:                              ;   in Loop: Header=BB1_280 Depth=1
	s_wait_xcnt 0x0
	s_or_b32 exec_lo, exec_lo, s0
	v_add_nc_u64_e32 v[6:7], 8, v[20:21]
                                        ; implicit-def: $vgpr18_vgpr19
	s_mov_b32 s0, exec_lo
	v_cmpx_gt_u32_e32 8, v22
	s_xor_b32 s11, exec_lo, s0
	s_cbranch_execz .LBB1_326
; %bb.321:                              ;   in Loop: Header=BB1_280 Depth=1
	v_mov_b64_e32 v[18:19], 0
	s_mov_b32 s12, exec_lo
	v_cmpx_ne_u32_e32 0, v22
	s_cbranch_execz .LBB1_325
; %bb.322:                              ;   in Loop: Header=BB1_280 Depth=1
	v_mov_b64_e32 v[18:19], 0
	s_mov_b64 s[0:1], 0
	s_mov_b32 s13, 0
	s_mov_b64 s[4:5], 0
.LBB1_323:                              ;   Parent Loop BB1_280 Depth=1
                                        ; =>  This Inner Loop Header: Depth=2
	s_delay_alu instid0(SALU_CYCLE_1) | instskip(SKIP_1) | instid1(SALU_CYCLE_1)
	v_add_nc_u64_e32 v[6:7], s[4:5], v[20:21]
	s_add_nc_u64 s[4:5], s[4:5], 1
	v_cmp_eq_u32_e32 vcc_lo, s4, v22
	global_load_u8 v6, v[6:7], off
	s_wait_xcnt 0x0
	v_mov_b32_e32 v7, s10
	s_or_b32 s13, vcc_lo, s13
	s_wait_loadcnt 0x0
	v_and_b32_e32 v6, 0xffff, v6
	s_delay_alu instid0(VALU_DEP_1) | instskip(SKIP_1) | instid1(VALU_DEP_1)
	v_lshlrev_b64_e32 v[6:7], s0, v[6:7]
	s_add_nc_u64 s[0:1], s[0:1], 8
	v_or_b32_e32 v19, v7, v19
	s_delay_alu instid0(VALU_DEP_2)
	v_or_b32_e32 v18, v6, v18
	s_and_not1_b32 exec_lo, exec_lo, s13
	s_cbranch_execnz .LBB1_323
; %bb.324:                              ;   in Loop: Header=BB1_280 Depth=1
	s_or_b32 exec_lo, exec_lo, s13
.LBB1_325:                              ;   in Loop: Header=BB1_280 Depth=1
	s_delay_alu instid0(SALU_CYCLE_1)
	s_or_b32 exec_lo, exec_lo, s12
	v_mov_b64_e32 v[6:7], v[20:21]
                                        ; implicit-def: $vgpr22
.LBB1_326:                              ;   in Loop: Header=BB1_280 Depth=1
	s_or_saveexec_b32 s0, s11
	v_mov_b32_e32 v23, 0
	s_xor_b32 exec_lo, exec_lo, s0
	s_cbranch_execz .LBB1_328
; %bb.327:                              ;   in Loop: Header=BB1_280 Depth=1
	global_load_b64 v[18:19], v[20:21], off
	v_add_nc_u32_e32 v23, -8, v22
.LBB1_328:                              ;   in Loop: Header=BB1_280 Depth=1
	s_wait_xcnt 0x0
	s_or_b32 exec_lo, exec_lo, s0
	s_delay_alu instid0(SALU_CYCLE_1) | instskip(NEXT) | instid1(VALU_DEP_1)
	s_mov_b32 s0, exec_lo
	v_cmpx_gt_u32_e32 8, v23
	s_xor_b32 s4, exec_lo, s0
	s_cbranch_execz .LBB1_334
; %bb.329:                              ;   in Loop: Header=BB1_280 Depth=1
	v_mov_b64_e32 v[20:21], 0
	s_mov_b32 s5, exec_lo
	v_cmpx_ne_u32_e32 0, v23
	s_cbranch_execz .LBB1_333
; %bb.330:                              ;   in Loop: Header=BB1_280 Depth=1
	v_mov_b64_e32 v[20:21], 0
	s_mov_b64 s[0:1], 0
	s_mov_b32 s11, 0
.LBB1_331:                              ;   Parent Loop BB1_280 Depth=1
                                        ; =>  This Inner Loop Header: Depth=2
	global_load_u8 v22, v[6:7], off
	v_dual_mov_b32 v25, s10 :: v_dual_add_nc_u32 v23, -1, v23
	s_wait_xcnt 0x0
	v_add_nc_u64_e32 v[6:7], 1, v[6:7]
	s_delay_alu instid0(VALU_DEP_2) | instskip(SKIP_3) | instid1(VALU_DEP_1)
	v_cmp_eq_u32_e32 vcc_lo, 0, v23
	s_or_b32 s11, vcc_lo, s11
	s_wait_loadcnt 0x0
	v_and_b32_e32 v24, 0xffff, v22
	v_lshlrev_b64_e32 v[24:25], s0, v[24:25]
	s_add_nc_u64 s[0:1], s[0:1], 8
	s_delay_alu instid0(VALU_DEP_1) | instskip(NEXT) | instid1(VALU_DEP_2)
	v_or_b32_e32 v21, v25, v21
	v_or_b32_e32 v20, v24, v20
	s_and_not1_b32 exec_lo, exec_lo, s11
	s_cbranch_execnz .LBB1_331
; %bb.332:                              ;   in Loop: Header=BB1_280 Depth=1
	s_or_b32 exec_lo, exec_lo, s11
.LBB1_333:                              ;   in Loop: Header=BB1_280 Depth=1
	s_delay_alu instid0(SALU_CYCLE_1)
	s_or_b32 exec_lo, exec_lo, s5
                                        ; implicit-def: $vgpr6_vgpr7
.LBB1_334:                              ;   in Loop: Header=BB1_280 Depth=1
	s_and_not1_saveexec_b32 s0, s4
	s_cbranch_execz .LBB1_336
; %bb.335:                              ;   in Loop: Header=BB1_280 Depth=1
	global_load_b64 v[20:21], v[6:7], off
.LBB1_336:                              ;   in Loop: Header=BB1_280 Depth=1
	s_wait_xcnt 0x0
	s_or_b32 exec_lo, exec_lo, s0
	v_readfirstlane_b32 s0, v48
	v_mov_b64_e32 v[6:7], 0
	s_delay_alu instid0(VALU_DEP_2)
	v_cmp_eq_u32_e64 s0, s0, v48
	s_and_saveexec_b32 s1, s0
	s_cbranch_execz .LBB1_342
; %bb.337:                              ;   in Loop: Header=BB1_280 Depth=1
	global_load_b64 v[24:25], v31, s[2:3] offset:24 scope:SCOPE_SYS
	s_wait_loadcnt 0x0
	global_inv scope:SCOPE_SYS
	s_clause 0x1
	global_load_b64 v[6:7], v31, s[2:3] offset:40
	global_load_b64 v[22:23], v31, s[2:3]
	s_mov_b32 s4, exec_lo
	s_wait_loadcnt 0x1
	v_and_b32_e32 v6, v6, v24
	v_and_b32_e32 v7, v7, v25
	s_delay_alu instid0(VALU_DEP_1) | instskip(SKIP_1) | instid1(VALU_DEP_1)
	v_mul_u64_e32 v[6:7], 24, v[6:7]
	s_wait_loadcnt 0x0
	v_add_nc_u64_e32 v[6:7], v[22:23], v[6:7]
	global_load_b64 v[22:23], v[6:7], off scope:SCOPE_SYS
	s_wait_xcnt 0x0
	s_wait_loadcnt 0x0
	global_atomic_cmpswap_b64 v[6:7], v31, v[22:25], s[2:3] offset:24 th:TH_ATOMIC_RETURN scope:SCOPE_SYS
	s_wait_loadcnt 0x0
	global_inv scope:SCOPE_SYS
	s_wait_xcnt 0x0
	v_cmpx_ne_u64_e64 v[6:7], v[24:25]
	s_cbranch_execz .LBB1_341
; %bb.338:                              ;   in Loop: Header=BB1_280 Depth=1
	s_mov_b32 s5, 0
.LBB1_339:                              ;   Parent Loop BB1_280 Depth=1
                                        ; =>  This Inner Loop Header: Depth=2
	s_sleep 1
	s_clause 0x1
	global_load_b64 v[22:23], v31, s[2:3] offset:40
	global_load_b64 v[34:35], v31, s[2:3]
	v_mov_b64_e32 v[24:25], v[6:7]
	s_wait_loadcnt 0x1
	s_delay_alu instid0(VALU_DEP_1) | instskip(NEXT) | instid1(VALU_DEP_2)
	v_and_b32_e32 v6, v22, v24
	v_and_b32_e32 v22, v23, v25
	s_wait_loadcnt 0x0
	s_delay_alu instid0(VALU_DEP_2) | instskip(NEXT) | instid1(VALU_DEP_1)
	v_mad_nc_u64_u32 v[6:7], v6, 24, v[34:35]
	v_mad_u32 v7, v22, 24, v7
	global_load_b64 v[22:23], v[6:7], off scope:SCOPE_SYS
	s_wait_xcnt 0x0
	s_wait_loadcnt 0x0
	global_atomic_cmpswap_b64 v[6:7], v31, v[22:25], s[2:3] offset:24 th:TH_ATOMIC_RETURN scope:SCOPE_SYS
	s_wait_loadcnt 0x0
	global_inv scope:SCOPE_SYS
	v_cmp_eq_u64_e32 vcc_lo, v[6:7], v[24:25]
	s_or_b32 s5, vcc_lo, s5
	s_wait_xcnt 0x0
	s_and_not1_b32 exec_lo, exec_lo, s5
	s_cbranch_execnz .LBB1_339
; %bb.340:                              ;   in Loop: Header=BB1_280 Depth=1
	s_or_b32 exec_lo, exec_lo, s5
.LBB1_341:                              ;   in Loop: Header=BB1_280 Depth=1
	s_delay_alu instid0(SALU_CYCLE_1)
	s_or_b32 exec_lo, exec_lo, s4
.LBB1_342:                              ;   in Loop: Header=BB1_280 Depth=1
	s_delay_alu instid0(SALU_CYCLE_1)
	s_or_b32 exec_lo, exec_lo, s1
	s_clause 0x1
	global_load_b64 v[34:35], v31, s[2:3] offset:40
	global_load_b128 v[22:25], v31, s[2:3]
	v_readfirstlane_b32 s4, v6
	v_readfirstlane_b32 s5, v7
	s_mov_b32 s1, exec_lo
	s_wait_loadcnt 0x1
	v_and_b32_e32 v36, s4, v34
	v_and_b32_e32 v37, s5, v35
	s_delay_alu instid0(VALU_DEP_1) | instskip(SKIP_1) | instid1(VALU_DEP_1)
	v_mul_u64_e32 v[6:7], 24, v[36:37]
	s_wait_loadcnt 0x0
	v_add_nc_u64_e32 v[34:35], v[22:23], v[6:7]
	s_wait_xcnt 0x0
	s_and_saveexec_b32 s11, s0
	s_cbranch_execz .LBB1_344
; %bb.343:                              ;   in Loop: Header=BB1_280 Depth=1
	v_dual_mov_b32 v6, s1 :: v_dual_mov_b32 v7, v31
	global_store_b128 v[34:35], v[6:9], off offset:8
.LBB1_344:                              ;   in Loop: Header=BB1_280 Depth=1
	s_wait_xcnt 0x0
	s_or_b32 exec_lo, exec_lo, s11
	v_cmp_gt_u64_e32 vcc_lo, 57, v[26:27]
	v_lshlrev_b64_e32 v[6:7], 12, v[36:37]
	v_and_b32_e32 v0, 0xffffff1f, v0
	v_lshl_add_u32 v36, v32, 2, 28
	v_cndmask_b32_e32 v29, 0, v28, vcc_lo
	s_delay_alu instid0(VALU_DEP_4) | instskip(NEXT) | instid1(VALU_DEP_2)
	v_add_nc_u64_e32 v[6:7], v[24:25], v[6:7]
	v_or_b32_e32 v0, v0, v29
	s_delay_alu instid0(VALU_DEP_2) | instskip(NEXT) | instid1(VALU_DEP_3)
	v_readfirstlane_b32 s12, v6
	v_readfirstlane_b32 s13, v7
	s_delay_alu instid0(VALU_DEP_3)
	v_and_or_b32 v0, 0x1e0, v36, v0
	s_clause 0x3
	global_store_b128 v30, v[0:3], s[12:13]
	global_store_b128 v30, v[10:13], s[12:13] offset:16
	global_store_b128 v30, v[14:17], s[12:13] offset:32
	;; [unrolled: 1-line block ×3, first 2 shown]
	s_wait_xcnt 0x0
	s_and_saveexec_b32 s1, s0
	s_cbranch_execz .LBB1_352
; %bb.345:                              ;   in Loop: Header=BB1_280 Depth=1
	s_clause 0x1
	global_load_b64 v[14:15], v31, s[2:3] offset:32 scope:SCOPE_SYS
	global_load_b64 v[0:1], v31, s[2:3] offset:40
	s_mov_b32 s11, exec_lo
	v_dual_mov_b32 v12, s4 :: v_dual_mov_b32 v13, s5
	s_wait_loadcnt 0x0
	v_and_b32_e32 v1, s5, v1
	v_and_b32_e32 v0, s4, v0
	s_delay_alu instid0(VALU_DEP_1) | instskip(NEXT) | instid1(VALU_DEP_1)
	v_mul_u64_e32 v[0:1], 24, v[0:1]
	v_add_nc_u64_e32 v[10:11], v[22:23], v[0:1]
	global_store_b64 v[10:11], v[14:15], off
	global_wb scope:SCOPE_SYS
	s_wait_storecnt 0x0
	s_wait_xcnt 0x0
	global_atomic_cmpswap_b64 v[2:3], v31, v[12:15], s[2:3] offset:32 th:TH_ATOMIC_RETURN scope:SCOPE_SYS
	s_wait_loadcnt 0x0
	v_cmpx_ne_u64_e64 v[2:3], v[14:15]
	s_cbranch_execz .LBB1_348
; %bb.346:                              ;   in Loop: Header=BB1_280 Depth=1
	s_mov_b32 s12, 0
.LBB1_347:                              ;   Parent Loop BB1_280 Depth=1
                                        ; =>  This Inner Loop Header: Depth=2
	v_dual_mov_b32 v0, s4 :: v_dual_mov_b32 v1, s5
	s_sleep 1
	global_store_b64 v[10:11], v[2:3], off
	global_wb scope:SCOPE_SYS
	s_wait_storecnt 0x0
	s_wait_xcnt 0x0
	global_atomic_cmpswap_b64 v[0:1], v31, v[0:3], s[2:3] offset:32 th:TH_ATOMIC_RETURN scope:SCOPE_SYS
	s_wait_loadcnt 0x0
	v_cmp_eq_u64_e32 vcc_lo, v[0:1], v[2:3]
	v_mov_b64_e32 v[2:3], v[0:1]
	s_or_b32 s12, vcc_lo, s12
	s_delay_alu instid0(SALU_CYCLE_1)
	s_and_not1_b32 exec_lo, exec_lo, s12
	s_cbranch_execnz .LBB1_347
.LBB1_348:                              ;   in Loop: Header=BB1_280 Depth=1
	s_or_b32 exec_lo, exec_lo, s11
	global_load_b64 v[0:1], v31, s[2:3] offset:16
	s_mov_b32 s12, exec_lo
	s_mov_b32 s11, exec_lo
	v_mbcnt_lo_u32_b32 v2, s12, 0
	s_wait_xcnt 0x0
	s_delay_alu instid0(VALU_DEP_1)
	v_cmpx_eq_u32_e32 0, v2
	s_cbranch_execz .LBB1_350
; %bb.349:                              ;   in Loop: Header=BB1_280 Depth=1
	s_bcnt1_i32_b32 s12, s12
	s_delay_alu instid0(SALU_CYCLE_1)
	v_dual_mov_b32 v3, v31 :: v_dual_mov_b32 v2, s12
	global_wb scope:SCOPE_SYS
	s_wait_loadcnt 0x0
	s_wait_storecnt 0x0
	global_atomic_add_u64 v[0:1], v[2:3], off offset:8 scope:SCOPE_SYS
.LBB1_350:                              ;   in Loop: Header=BB1_280 Depth=1
	s_wait_xcnt 0x0
	s_or_b32 exec_lo, exec_lo, s11
	s_wait_loadcnt 0x0
	global_load_b64 v[2:3], v[0:1], off offset:16
	s_wait_loadcnt 0x0
	v_cmp_eq_u64_e32 vcc_lo, 0, v[2:3]
	s_cbranch_vccnz .LBB1_352
; %bb.351:                              ;   in Loop: Header=BB1_280 Depth=1
	global_load_b32 v0, v[0:1], off offset:24
	s_wait_xcnt 0x0
	v_mov_b32_e32 v1, v31
	s_wait_loadcnt 0x0
	v_readfirstlane_b32 s11, v0
	global_wb scope:SCOPE_SYS
	s_wait_storecnt 0x0
	global_store_b64 v[2:3], v[0:1], off scope:SCOPE_SYS
	s_and_b32 m0, s11, 0xffffff
	s_sendmsg sendmsg(MSG_INTERRUPT)
.LBB1_352:                              ;   in Loop: Header=BB1_280 Depth=1
	s_wait_xcnt 0x0
	s_or_b32 exec_lo, exec_lo, s1
	v_add_nc_u64_e32 v[0:1], v[6:7], v[30:31]
	s_branch .LBB1_356
.LBB1_353:                              ;   in Loop: Header=BB1_356 Depth=2
	s_wait_xcnt 0x0
	s_or_b32 exec_lo, exec_lo, s1
	s_delay_alu instid0(VALU_DEP_1)
	v_readfirstlane_b32 s1, v2
	s_cmp_eq_u32 s1, 0
	s_cbranch_scc1 .LBB1_355
; %bb.354:                              ;   in Loop: Header=BB1_356 Depth=2
	s_sleep 1
	s_cbranch_execnz .LBB1_356
	s_branch .LBB1_358
.LBB1_355:                              ;   in Loop: Header=BB1_280 Depth=1
	s_branch .LBB1_358
.LBB1_356:                              ;   Parent Loop BB1_280 Depth=1
                                        ; =>  This Inner Loop Header: Depth=2
	v_mov_b32_e32 v2, 1
	s_and_saveexec_b32 s1, s0
	s_cbranch_execz .LBB1_353
; %bb.357:                              ;   in Loop: Header=BB1_356 Depth=2
	global_load_b32 v2, v[34:35], off offset:20 scope:SCOPE_SYS
	s_wait_loadcnt 0x0
	global_inv scope:SCOPE_SYS
	v_and_b32_e32 v2, 1, v2
	s_branch .LBB1_353
.LBB1_358:                              ;   in Loop: Header=BB1_280 Depth=1
	global_load_b64 v[0:1], v[0:1], off
	s_wait_xcnt 0x0
	s_and_saveexec_b32 s11, s0
	s_cbranch_execz .LBB1_279
; %bb.359:                              ;   in Loop: Header=BB1_280 Depth=1
	s_clause 0x2
	global_load_b64 v[2:3], v31, s[2:3] offset:40
	global_load_b64 v[14:15], v31, s[2:3] offset:24 scope:SCOPE_SYS
	global_load_b64 v[6:7], v31, s[2:3]
	s_wait_loadcnt 0x2
	v_readfirstlane_b32 s12, v2
	v_readfirstlane_b32 s13, v3
	s_add_nc_u64 s[0:1], s[12:13], 1
	s_delay_alu instid0(SALU_CYCLE_1) | instskip(NEXT) | instid1(SALU_CYCLE_1)
	s_add_nc_u64 s[4:5], s[0:1], s[4:5]
	s_cmp_eq_u64 s[4:5], 0
	s_cselect_b32 s1, s1, s5
	s_cselect_b32 s0, s0, s4
	s_delay_alu instid0(SALU_CYCLE_1) | instskip(SKIP_1) | instid1(SALU_CYCLE_1)
	v_dual_mov_b32 v13, s1 :: v_dual_mov_b32 v12, s0
	s_and_b64 s[4:5], s[0:1], s[12:13]
	s_mul_u64 s[4:5], s[4:5], 24
	s_wait_loadcnt 0x0
	v_add_nc_u64_e32 v[2:3], s[4:5], v[6:7]
	global_store_b64 v[2:3], v[14:15], off
	global_wb scope:SCOPE_SYS
	s_wait_storecnt 0x0
	s_wait_xcnt 0x0
	global_atomic_cmpswap_b64 v[12:13], v31, v[12:15], s[2:3] offset:24 th:TH_ATOMIC_RETURN scope:SCOPE_SYS
	s_wait_loadcnt 0x0
	v_cmp_ne_u64_e32 vcc_lo, v[12:13], v[14:15]
	s_and_b32 exec_lo, exec_lo, vcc_lo
	s_cbranch_execz .LBB1_279
; %bb.360:                              ;   in Loop: Header=BB1_280 Depth=1
	s_mov_b32 s4, 0
.LBB1_361:                              ;   Parent Loop BB1_280 Depth=1
                                        ; =>  This Inner Loop Header: Depth=2
	v_dual_mov_b32 v10, s0 :: v_dual_mov_b32 v11, s1
	s_sleep 1
	global_store_b64 v[2:3], v[12:13], off
	global_wb scope:SCOPE_SYS
	s_wait_storecnt 0x0
	s_wait_xcnt 0x0
	global_atomic_cmpswap_b64 v[6:7], v31, v[10:13], s[2:3] offset:24 th:TH_ATOMIC_RETURN scope:SCOPE_SYS
	s_wait_loadcnt 0x0
	v_cmp_eq_u64_e32 vcc_lo, v[6:7], v[12:13]
	v_mov_b64_e32 v[12:13], v[6:7]
	s_or_b32 s4, vcc_lo, s4
	s_delay_alu instid0(SALU_CYCLE_1)
	s_and_not1_b32 exec_lo, exec_lo, s4
	s_cbranch_execnz .LBB1_361
	s_branch .LBB1_279
.LBB1_362:
	s_or_b32 exec_lo, exec_lo, s7
                                        ; implicit-def: $vgpr30
                                        ; implicit-def: $vgpr48
.LBB1_363:
	s_and_not1_saveexec_b32 s6, s6
	s_cbranch_execz .LBB1_391
; %bb.364:
	v_readfirstlane_b32 s0, v48
	v_mov_b64_e32 v[2:3], 0
	s_delay_alu instid0(VALU_DEP_2)
	v_cmp_eq_u32_e64 s0, s0, v48
	s_and_saveexec_b32 s1, s0
	s_cbranch_execz .LBB1_370
; %bb.365:
	v_mov_b32_e32 v4, 0
	s_mov_b32 s4, exec_lo
	global_load_b64 v[8:9], v4, s[2:3] offset:24 scope:SCOPE_SYS
	s_wait_loadcnt 0x0
	global_inv scope:SCOPE_SYS
	s_clause 0x1
	global_load_b64 v[2:3], v4, s[2:3] offset:40
	global_load_b64 v[6:7], v4, s[2:3]
	s_wait_loadcnt 0x1
	v_and_b32_e32 v2, v2, v8
	v_and_b32_e32 v3, v3, v9
	s_delay_alu instid0(VALU_DEP_1) | instskip(SKIP_1) | instid1(VALU_DEP_1)
	v_mul_u64_e32 v[2:3], 24, v[2:3]
	s_wait_loadcnt 0x0
	v_add_nc_u64_e32 v[2:3], v[6:7], v[2:3]
	global_load_b64 v[6:7], v[2:3], off scope:SCOPE_SYS
	s_wait_xcnt 0x0
	s_wait_loadcnt 0x0
	global_atomic_cmpswap_b64 v[2:3], v4, v[6:9], s[2:3] offset:24 th:TH_ATOMIC_RETURN scope:SCOPE_SYS
	s_wait_loadcnt 0x0
	global_inv scope:SCOPE_SYS
	s_wait_xcnt 0x0
	v_cmpx_ne_u64_e64 v[2:3], v[8:9]
	s_cbranch_execz .LBB1_369
; %bb.366:
	s_mov_b32 s5, 0
.LBB1_367:                              ; =>This Inner Loop Header: Depth=1
	s_sleep 1
	s_clause 0x1
	global_load_b64 v[6:7], v4, s[2:3] offset:40
	global_load_b64 v[10:11], v4, s[2:3]
	v_mov_b64_e32 v[8:9], v[2:3]
	s_wait_loadcnt 0x1
	s_delay_alu instid0(VALU_DEP_1) | instskip(NEXT) | instid1(VALU_DEP_2)
	v_and_b32_e32 v2, v6, v8
	v_and_b32_e32 v5, v7, v9
	s_wait_loadcnt 0x0
	s_delay_alu instid0(VALU_DEP_2) | instskip(NEXT) | instid1(VALU_DEP_1)
	v_mad_nc_u64_u32 v[2:3], v2, 24, v[10:11]
	v_mad_u32 v3, v5, 24, v3
	global_load_b64 v[6:7], v[2:3], off scope:SCOPE_SYS
	s_wait_xcnt 0x0
	s_wait_loadcnt 0x0
	global_atomic_cmpswap_b64 v[2:3], v4, v[6:9], s[2:3] offset:24 th:TH_ATOMIC_RETURN scope:SCOPE_SYS
	s_wait_loadcnt 0x0
	global_inv scope:SCOPE_SYS
	v_cmp_eq_u64_e32 vcc_lo, v[2:3], v[8:9]
	s_or_b32 s5, vcc_lo, s5
	s_wait_xcnt 0x0
	s_and_not1_b32 exec_lo, exec_lo, s5
	s_cbranch_execnz .LBB1_367
; %bb.368:
	s_or_b32 exec_lo, exec_lo, s5
.LBB1_369:
	s_delay_alu instid0(SALU_CYCLE_1)
	s_or_b32 exec_lo, exec_lo, s4
.LBB1_370:
	s_delay_alu instid0(SALU_CYCLE_1)
	s_or_b32 exec_lo, exec_lo, s1
	v_readfirstlane_b32 s4, v2
	v_mov_b32_e32 v31, 0
	v_readfirstlane_b32 s5, v3
	s_mov_b32 s1, exec_lo
	s_clause 0x1
	global_load_b64 v[8:9], v31, s[2:3] offset:40
	global_load_b128 v[4:7], v31, s[2:3]
	s_wait_loadcnt 0x1
	v_and_b32_e32 v2, s4, v8
	v_and_b32_e32 v3, s5, v9
	s_delay_alu instid0(VALU_DEP_1) | instskip(SKIP_1) | instid1(VALU_DEP_1)
	v_mul_u64_e32 v[8:9], 24, v[2:3]
	s_wait_loadcnt 0x0
	v_add_nc_u64_e32 v[8:9], v[4:5], v[8:9]
	s_wait_xcnt 0x0
	s_and_saveexec_b32 s7, s0
	s_cbranch_execz .LBB1_372
; %bb.371:
	v_mov_b64_e32 v[12:13], 0x100000002
	v_dual_mov_b32 v10, s1 :: v_dual_mov_b32 v11, v31
	global_store_b128 v[8:9], v[10:13], off offset:8
.LBB1_372:
	s_wait_xcnt 0x0
	s_or_b32 exec_lo, exec_lo, s7
	v_lshlrev_b64_e32 v[2:3], 12, v[2:3]
	s_mov_b32 s12, 0
	v_and_or_b32 v0, 0xffffff1f, v0, 32
	s_mov_b32 s13, s12
	s_mov_b32 s14, s12
	;; [unrolled: 1-line block ×3, first 2 shown]
	v_mov_b64_e32 v[10:11], s[12:13]
	v_add_nc_u64_e32 v[6:7], v[6:7], v[2:3]
	v_mov_b64_e32 v[12:13], s[14:15]
	v_dual_mov_b32 v2, v31 :: v_dual_mov_b32 v3, v31
	s_delay_alu instid0(VALU_DEP_3) | instskip(NEXT) | instid1(VALU_DEP_4)
	v_readfirstlane_b32 s10, v6
	v_readfirstlane_b32 s11, v7
	s_clause 0x3
	global_store_b128 v30, v[0:3], s[10:11]
	global_store_b128 v30, v[10:13], s[10:11] offset:16
	global_store_b128 v30, v[10:13], s[10:11] offset:32
	global_store_b128 v30, v[10:13], s[10:11] offset:48
	s_wait_xcnt 0x0
	s_and_saveexec_b32 s1, s0
	s_cbranch_execz .LBB1_380
; %bb.373:
	v_dual_mov_b32 v10, 0 :: v_dual_mov_b32 v13, s5
	s_mov_b32 s7, exec_lo
	s_clause 0x1
	global_load_b64 v[14:15], v10, s[2:3] offset:32 scope:SCOPE_SYS
	global_load_b64 v[0:1], v10, s[2:3] offset:40
	s_wait_loadcnt 0x0
	v_dual_mov_b32 v12, s4 :: v_dual_bitop2_b32 v1, s5, v1 bitop3:0x40
	v_and_b32_e32 v0, s4, v0
	s_delay_alu instid0(VALU_DEP_1) | instskip(NEXT) | instid1(VALU_DEP_1)
	v_mul_u64_e32 v[0:1], 24, v[0:1]
	v_add_nc_u64_e32 v[4:5], v[4:5], v[0:1]
	global_store_b64 v[4:5], v[14:15], off
	global_wb scope:SCOPE_SYS
	s_wait_storecnt 0x0
	s_wait_xcnt 0x0
	global_atomic_cmpswap_b64 v[2:3], v10, v[12:15], s[2:3] offset:32 th:TH_ATOMIC_RETURN scope:SCOPE_SYS
	s_wait_loadcnt 0x0
	v_cmpx_ne_u64_e64 v[2:3], v[14:15]
	s_cbranch_execz .LBB1_376
; %bb.374:
	s_mov_b32 s10, 0
.LBB1_375:                              ; =>This Inner Loop Header: Depth=1
	v_dual_mov_b32 v0, s4 :: v_dual_mov_b32 v1, s5
	s_sleep 1
	global_store_b64 v[4:5], v[2:3], off
	global_wb scope:SCOPE_SYS
	s_wait_storecnt 0x0
	s_wait_xcnt 0x0
	global_atomic_cmpswap_b64 v[0:1], v10, v[0:3], s[2:3] offset:32 th:TH_ATOMIC_RETURN scope:SCOPE_SYS
	s_wait_loadcnt 0x0
	v_cmp_eq_u64_e32 vcc_lo, v[0:1], v[2:3]
	v_mov_b64_e32 v[2:3], v[0:1]
	s_or_b32 s10, vcc_lo, s10
	s_delay_alu instid0(SALU_CYCLE_1)
	s_and_not1_b32 exec_lo, exec_lo, s10
	s_cbranch_execnz .LBB1_375
.LBB1_376:
	s_or_b32 exec_lo, exec_lo, s7
	v_mov_b32_e32 v3, 0
	s_mov_b32 s10, exec_lo
	s_mov_b32 s7, exec_lo
	v_mbcnt_lo_u32_b32 v2, s10, 0
	global_load_b64 v[0:1], v3, s[2:3] offset:16
	s_wait_xcnt 0x0
	v_cmpx_eq_u32_e32 0, v2
	s_cbranch_execz .LBB1_378
; %bb.377:
	s_bcnt1_i32_b32 s10, s10
	s_delay_alu instid0(SALU_CYCLE_1)
	v_mov_b32_e32 v2, s10
	global_wb scope:SCOPE_SYS
	s_wait_loadcnt 0x0
	s_wait_storecnt 0x0
	global_atomic_add_u64 v[0:1], v[2:3], off offset:8 scope:SCOPE_SYS
.LBB1_378:
	s_wait_xcnt 0x0
	s_or_b32 exec_lo, exec_lo, s7
	s_wait_loadcnt 0x0
	global_load_b64 v[2:3], v[0:1], off offset:16
	s_wait_loadcnt 0x0
	v_cmp_eq_u64_e32 vcc_lo, 0, v[2:3]
	s_cbranch_vccnz .LBB1_380
; %bb.379:
	global_load_b32 v0, v[0:1], off offset:24
	s_wait_xcnt 0x0
	v_mov_b32_e32 v1, 0
	s_wait_loadcnt 0x0
	v_readfirstlane_b32 s7, v0
	global_wb scope:SCOPE_SYS
	s_wait_storecnt 0x0
	global_store_b64 v[2:3], v[0:1], off scope:SCOPE_SYS
	s_and_b32 m0, s7, 0xffffff
	s_sendmsg sendmsg(MSG_INTERRUPT)
.LBB1_380:
	s_wait_xcnt 0x0
	s_or_b32 exec_lo, exec_lo, s1
	v_add_nc_u64_e32 v[0:1], v[6:7], v[30:31]
	s_branch .LBB1_384
.LBB1_381:                              ;   in Loop: Header=BB1_384 Depth=1
	s_wait_xcnt 0x0
	s_or_b32 exec_lo, exec_lo, s1
	s_delay_alu instid0(VALU_DEP_1)
	v_readfirstlane_b32 s1, v2
	s_cmp_eq_u32 s1, 0
	s_cbranch_scc1 .LBB1_383
; %bb.382:                              ;   in Loop: Header=BB1_384 Depth=1
	s_sleep 1
	s_cbranch_execnz .LBB1_384
	s_branch .LBB1_386
.LBB1_383:
	s_branch .LBB1_386
.LBB1_384:                              ; =>This Inner Loop Header: Depth=1
	v_mov_b32_e32 v2, 1
	s_and_saveexec_b32 s1, s0
	s_cbranch_execz .LBB1_381
; %bb.385:                              ;   in Loop: Header=BB1_384 Depth=1
	global_load_b32 v2, v[8:9], off offset:20 scope:SCOPE_SYS
	s_wait_loadcnt 0x0
	global_inv scope:SCOPE_SYS
	v_and_b32_e32 v2, 1, v2
	s_branch .LBB1_381
.LBB1_386:
	global_load_b64 v[0:1], v[0:1], off
	s_wait_xcnt 0x0
	s_and_saveexec_b32 s7, s0
	s_cbranch_execz .LBB1_390
; %bb.387:
	v_mov_b32_e32 v8, 0
	s_clause 0x2
	global_load_b64 v[2:3], v8, s[2:3] offset:40
	global_load_b64 v[12:13], v8, s[2:3] offset:24 scope:SCOPE_SYS
	global_load_b64 v[4:5], v8, s[2:3]
	s_wait_loadcnt 0x2
	v_readfirstlane_b32 s10, v2
	v_readfirstlane_b32 s11, v3
	s_add_nc_u64 s[0:1], s[10:11], 1
	s_delay_alu instid0(SALU_CYCLE_1) | instskip(NEXT) | instid1(SALU_CYCLE_1)
	s_add_nc_u64 s[4:5], s[0:1], s[4:5]
	s_cmp_eq_u64 s[4:5], 0
	s_cselect_b32 s1, s1, s5
	s_cselect_b32 s0, s0, s4
	v_mov_b32_e32 v11, s1
	s_and_b64 s[4:5], s[0:1], s[10:11]
	v_mov_b32_e32 v10, s0
	s_mul_u64 s[4:5], s[4:5], 24
	s_wait_loadcnt 0x0
	v_add_nc_u64_e32 v[6:7], s[4:5], v[4:5]
	global_store_b64 v[6:7], v[12:13], off
	global_wb scope:SCOPE_SYS
	s_wait_storecnt 0x0
	s_wait_xcnt 0x0
	global_atomic_cmpswap_b64 v[4:5], v8, v[10:13], s[2:3] offset:24 th:TH_ATOMIC_RETURN scope:SCOPE_SYS
	s_wait_loadcnt 0x0
	v_cmp_ne_u64_e32 vcc_lo, v[4:5], v[12:13]
	s_and_b32 exec_lo, exec_lo, vcc_lo
	s_cbranch_execz .LBB1_390
; %bb.388:
	s_mov_b32 s4, 0
.LBB1_389:                              ; =>This Inner Loop Header: Depth=1
	v_dual_mov_b32 v2, s0 :: v_dual_mov_b32 v3, s1
	s_sleep 1
	global_store_b64 v[6:7], v[4:5], off
	global_wb scope:SCOPE_SYS
	s_wait_storecnt 0x0
	s_wait_xcnt 0x0
	global_atomic_cmpswap_b64 v[2:3], v8, v[2:5], s[2:3] offset:24 th:TH_ATOMIC_RETURN scope:SCOPE_SYS
	s_wait_loadcnt 0x0
	v_cmp_eq_u64_e32 vcc_lo, v[2:3], v[4:5]
	v_mov_b64_e32 v[4:5], v[2:3]
	s_or_b32 s4, vcc_lo, s4
	s_delay_alu instid0(SALU_CYCLE_1)
	s_and_not1_b32 exec_lo, exec_lo, s4
	s_cbranch_execnz .LBB1_389
.LBB1_390:
	s_or_b32 exec_lo, exec_lo, s7
.LBB1_391:
	s_delay_alu instid0(SALU_CYCLE_1)
	s_or_b32 exec_lo, exec_lo, s6
	s_get_pc_i64 s[0:1]
	s_add_nc_u64 s[0:1], s[0:1], .str.3@rel64+4
	s_get_pc_i64 s[2:3]
	s_add_nc_u64 s[2:3], s[2:3], .str.3@rel64+32
	v_dual_mov_b32 v2, s0 :: v_dual_mov_b32 v3, s1
	s_sub_co_i32 s4, s2, s0
	v_mov_b32_e32 v6, 1
	s_ashr_i32 s5, s4, 31
	s_delay_alu instid0(SALU_CYCLE_1) | instskip(SKIP_2) | instid1(SALU_CYCLE_1)
	v_dual_mov_b32 v4, s4 :: v_dual_mov_b32 v5, s5
	s_get_pc_i64 s[2:3]
	s_add_nc_u64 s[2:3], s[2:3], __ockl_fprintf_append_string_n@rel64+4
	s_swap_pc_i64 s[30:31], s[2:3]
	s_trap 2
.Lfunc_end1:
	.size	__assert_fail, .Lfunc_end1-__assert_fail
                                        ; -- End function
	.set .L__assert_fail.num_vgpr, max(49, .L__ockl_fprintf_append_string_n.num_vgpr)
	.set .L__assert_fail.num_agpr, max(0, .L__ockl_fprintf_append_string_n.num_agpr)
	.set .L__assert_fail.numbered_sgpr, max(34, .L__ockl_fprintf_append_string_n.numbered_sgpr)
	.set .L__assert_fail.num_named_barrier, max(0, .L__ockl_fprintf_append_string_n.num_named_barrier)
	.set .L__assert_fail.private_seg_size, 64+max(.L__ockl_fprintf_append_string_n.private_seg_size)
	.set .L__assert_fail.uses_vcc, or(1, .L__ockl_fprintf_append_string_n.uses_vcc)
	.set .L__assert_fail.uses_flat_scratch, or(1, .L__ockl_fprintf_append_string_n.uses_flat_scratch)
	.set .L__assert_fail.has_dyn_sized_stack, or(0, .L__ockl_fprintf_append_string_n.has_dyn_sized_stack)
	.set .L__assert_fail.has_recursion, or(0, .L__ockl_fprintf_append_string_n.has_recursion)
	.set .L__assert_fail.has_indirect_call, or(0, .L__ockl_fprintf_append_string_n.has_indirect_call)
	.section	.AMDGPU.csdata,"",@progbits
; Function info:
; codeLenInByte = 15740
; TotalNumSgprs: 36
; NumVgprs: 49
; ScratchSize: 64
; MemoryBound: 0
	.text
	.p2align	2                               ; -- Begin function _ZN12_GLOBAL__N_17runRingI14__hip_fp8_e4m38FuncProdIS1_E11ProtoSimpleILi1ELi1ELi0ELi1ELi0ELi0EELi0ELi1ELi0EEEviiP15ncclDevWorkColl
	.type	_ZN12_GLOBAL__N_17runRingI14__hip_fp8_e4m38FuncProdIS1_E11ProtoSimpleILi1ELi1ELi0ELi1ELi0ELi0EELi0ELi1ELi0EEEviiP15ncclDevWorkColl,@function
_ZN12_GLOBAL__N_17runRingI14__hip_fp8_e4m38FuncProdIS1_E11ProtoSimpleILi1ELi1ELi0ELi1ELi0ELi0EELi0ELi1ELi0EEEviiP15ncclDevWorkColl: ; @_ZN12_GLOBAL__N_17runRingI14__hip_fp8_e4m38FuncProdIS1_E11ProtoSimpleILi1ELi1ELi0ELi1ELi0ELi0EELi0ELi1ELi0EEEviiP15ncclDevWorkColl
; %bb.0:
	s_wait_loadcnt_dscnt 0x0
	s_wait_kmcnt 0x0
	s_mov_b32 s47, s33
	s_mov_b32 s33, s32
	s_or_saveexec_b32 s0, -1
	scratch_store_b32 off, v72, s33 offset:64 ; 4-byte Folded Spill
	s_wait_xcnt 0x0
	s_mov_b32 exec_lo, s0
	s_addk_co_i32 s32, 0x50
	s_clause 0xf
	scratch_store_b32 off, v40, s33 offset:60
	; meta instruction
	scratch_store_b32 off, v41, s33 offset:56
	; meta instruction
	;; [unrolled: 2-line block ×15, first 2 shown]
	scratch_store_b32 off, v63, s33
	v_writelane_b32 v72, s30, 0
	v_writelane_b32 v72, s31, 1
	s_trap 2
	ds_load_b64 v[14:15], v0
	ds_load_b32 v9, v0
	flat_load_b64 v[6:7], v[2:3]
                                        ; implicit-def: $vgpr32_vgpr33
                                        ; implicit-def: $vgpr4_vgpr5
                                        ; implicit-def: $vgpr18_vgpr19
	s_wait_dscnt 0x2
	v_readfirstlane_b32 s0, v14
	v_readfirstlane_b32 s1, v15
	flat_load_u16 v17, v[2:3] offset:8
	flat_load_b32 v25, v15, s[0:1] offset:-4 scale_offset
	s_wait_xcnt 0x0
	s_mov_b32 s0, exec_lo
	s_wait_loadcnt_dscnt 0x202
	v_and_b32_e32 v8, 0xff, v6
	v_mov_b32_e32 v16, v7
	s_delay_alu instid0(VALU_DEP_2)
	v_cmpx_ne_u32_e64 v9, v8
	s_xor_b32 s0, exec_lo, s0
	s_cbranch_execz .LBB2_6
; %bb.1:
	v_bfe_u32 v10, v6, 8, 8
	v_not_b32_e32 v8, v8
	s_mov_b32 s1, exec_lo
                                        ; implicit-def: $vgpr32_vgpr33
                                        ; implicit-def: $vgpr4_vgpr5
                                        ; implicit-def: $vgpr18_vgpr19
	s_delay_alu instid0(VALU_DEP_2)
	v_cmpx_ne_u32_e64 v9, v10
	s_xor_b32 s1, exec_lo, s1
	s_cbranch_execz .LBB2_3
; %bb.2:
	s_clause 0x1
	flat_load_b128 v[4:7], v[2:3] offset:72
	flat_load_b64 v[10:11], v[2:3] offset:96
	v_add_nc_u32_e32 v8, v9, v8
	s_wait_loadcnt_dscnt 0x101
	s_delay_alu instid0(VALU_DEP_1) | instskip(SKIP_3) | instid1(VALU_DEP_3)
	v_mad_nc_u64_u32 v[18:19], v6, v8, v[4:5]
	v_ashrrev_i32_e32 v5, 31, v8
	s_wait_loadcnt_dscnt 0x0
	v_lshrrev_b64 v[32:33], 12, v[10:11]
                                        ; implicit-def: $vgpr10
	v_mad_u32 v4, v7, v8, v19
                                        ; implicit-def: $vgpr8
	s_delay_alu instid0(VALU_DEP_1)
	v_mad_u32 v19, v6, v5, v4
	v_mov_b64_e32 v[4:5], v[6:7]
.LBB2_3:
	s_wait_xcnt 0x0
	s_and_not1_saveexec_b32 s1, s1
	s_cbranch_execz .LBB2_5
; %bb.4:
	s_clause 0x1
	flat_load_b128 v[18:21], v[2:3] offset:72
	flat_load_b128 v[4:7], v[2:3] offset:88
	s_wait_loadcnt_dscnt 0x0
	v_dual_add_nc_u32 v6, v10, v8 :: v_dual_lshrrev_b32 v32, 1, v7
	s_delay_alu instid0(VALU_DEP_1) | instskip(NEXT) | instid1(VALU_DEP_1)
	v_mad_nc_u64_u32 v[18:19], v20, v6, v[18:19]
	v_mad_u32 v8, v21, v6, v19
	v_ashrrev_i32_e32 v6, 31, v6
	s_delay_alu instid0(VALU_DEP_1)
	v_mad_u32 v19, v20, v6, v8
.LBB2_5:
	s_wait_xcnt 0x0
	s_or_b32 exec_lo, exec_lo, s1
.LBB2_6:
	s_and_not1_saveexec_b32 s0, s0
	s_cbranch_execz .LBB2_8
; %bb.7:
	s_clause 0x1
	flat_load_b64 v[6:7], v[2:3] offset:96
	flat_load_b64 v[4:5], v[2:3] offset:72
	v_mov_b64_e32 v[18:19], 0
	s_wait_loadcnt_dscnt 0x101
	v_lshlrev_b64_e32 v[32:33], 9, v[6:7]
.LBB2_8:
	s_wait_xcnt 0x0
	s_or_b32 exec_lo, exec_lo, s0
	s_trap 2
	ds_load_b64 v[6:7], v0
	s_mov_b32 s1, 0
	s_mov_b32 s2, exec_lo
	s_wait_dscnt 0x0
	v_cmp_ne_u32_e32 vcc_lo, -1, v6
	v_cndmask_b32_e64 v15, 0, 1, vcc_lo
	v_cmp_ne_u32_e32 vcc_lo, -1, v7
	s_delay_alu instid0(VALU_DEP_2) | instskip(NEXT) | instid1(VALU_DEP_1)
	v_add_co_ci_u32_e64 v6, null, 0, v15, vcc_lo
	v_lshlrev_b32_e32 v7, 1, v6
	s_delay_alu instid0(VALU_DEP_1)
	v_cmpx_le_u32_e64 v7, v1
	s_xor_b32 s18, exec_lo, s2
	s_cbranch_execz .LBB2_3233
; %bb.9:
	s_clause 0x1
	flat_load_b128 v[10:13], v[2:3] offset:16
	flat_load_b64 v[34:35], v[2:3] offset:104
	s_trap 2
	s_load_b32 s0, s[8:9], 0x0
	s_bfe_u32 s2, ttmp6, 0x4000c
	s_and_b32 s3, ttmp6, 15
	s_add_co_i32 s2, s2, 1
	s_getreg_b32 s4, hwreg(HW_REG_IB_STS2, 6, 4)
	s_mul_i32 s2, ttmp9, s2
	v_dual_mov_b32 v2, 0 :: v_dual_mov_b32 v112, 4
	s_add_co_i32 s3, s3, s2
	s_cmp_eq_u32 s4, 0
	s_cselect_b32 s2, ttmp9, s3
	s_wait_kmcnt 0x0
	s_cmp_lt_u32 s2, s0
	s_cselect_b32 s0, 12, 18
	s_delay_alu instid0(SALU_CYCLE_1)
	s_add_nc_u64 s[0:1], s[8:9], s[0:1]
	global_load_u16 v30, v2, s[0:1]
	s_wait_xcnt 0x0
	ds_load_b32 v2, v0
	s_mov_b32 s1, exec_lo
	s_wait_dscnt 0x0
	v_readfirstlane_b32 s19, v2
	v_cmpx_ge_i32_e64 v0, v15
	s_cbranch_execz .LBB2_19
; %bb.10:
	v_cmp_ge_u32_e64 s0, v0, v6
                                        ; implicit-def: $vgpr112
	s_and_saveexec_b32 s2, s0
	s_delay_alu instid0(SALU_CYCLE_1)
	s_xor_b32 s0, exec_lo, s2
	s_cbranch_execz .LBB2_16
; %bb.11:
	v_cndmask_b32_e64 v2, 0, 1, vcc_lo
	s_mov_b32 s2, exec_lo
	s_delay_alu instid0(VALU_DEP_1) | instskip(NEXT) | instid1(VALU_DEP_1)
	v_sub_nc_u32_e32 v2, v1, v2
	v_cmpx_ge_u32_e64 v0, v2
	s_xor_b32 s2, exec_lo, s2
; %bb.12:
                                        ; implicit-def: $vgpr6
; %bb.13:
	s_delay_alu instid0(SALU_CYCLE_1)
	s_or_saveexec_b32 s2, s2
	v_mov_b32_e32 v112, 16
	s_xor_b32 exec_lo, exec_lo, s2
; %bb.14:
	v_sub_nc_u32_e32 v2, v1, v6
	s_delay_alu instid0(VALU_DEP_1)
	v_cmp_lt_i32_e32 vcc_lo, v0, v2
	v_cndmask_b32_e64 v112, 32, 0, vcc_lo
; %bb.15:
	s_or_b32 exec_lo, exec_lo, s2
.LBB2_16:
	s_and_not1_saveexec_b32 s0, s0
; %bb.17:
	v_mov_b32_e32 v112, 8
; %bb.18:
	s_or_b32 exec_lo, exec_lo, s0
.LBB2_19:
	s_delay_alu instid0(SALU_CYCLE_1) | instskip(NEXT) | instid1(VALU_DEP_1)
	s_or_b32 exec_lo, exec_lo, s1
	v_dual_mov_b32 v33, -1 :: v_dual_bitop2_b32 v2, 36, v112 bitop3:0x40
	s_delay_alu instid0(VALU_DEP_1)
	v_cmp_ne_u32_e32 vcc_lo, 0, v2
	s_and_saveexec_b32 s0, vcc_lo
	s_cbranch_execz .LBB2_21
; %bb.20:
	s_trap 2
	ds_load_b32 v33, v0
.LBB2_21:
	s_or_b32 exec_lo, exec_lo, s0
	v_and_b32_e32 v2, 24, v112
	s_mov_b32 s1, exec_lo
	s_delay_alu instid0(VALU_DEP_1)
	v_cmpx_ne_u32_e32 0, v2
	s_cbranch_execz .LBB2_23
; %bb.22:
	s_trap 2
	s_wait_dscnt 0x0
	ds_load_b32 v33, v0
.LBB2_23:
	s_or_b32 exec_lo, exec_lo, s1
	s_wait_loadcnt 0x4
	v_lshrrev_b64 v[2:3], 31, v[16:17]
	v_mov_b64_e32 v[20:21], 0
	v_mov_b64_e32 v[6:7], 0
                                        ; implicit-def: $vgpr24
                                        ; implicit-def: $vgpr28_vgpr29
                                        ; implicit-def: $vgpr26_vgpr27
                                        ; implicit-def: $vgpr22_vgpr23
	s_delay_alu instid0(VALU_DEP_3) | instskip(NEXT) | instid1(VALU_DEP_1)
	v_and_b32_e32 v2, 3, v2
	v_and_b32_e32 v17, 0xffff, v2
                                        ; implicit-def: $vgpr2_vgpr3
	s_and_saveexec_b32 s0, vcc_lo
	s_cbranch_execz .LBB2_33
; %bb.24:
	s_trap 2
	ds_load_b64 v[2:3], v0
	s_wait_dscnt 0x0
	v_readfirstlane_b32 s2, v2
	v_readfirstlane_b32 s3, v3
	flat_load_b64 v[2:3], v33, s[2:3] scale_offset
	s_wait_loadcnt_dscnt 0x0
	v_mad_nc_u64_u32 v[36:37], 0xa8, v17, v[2:3]
	flat_load_b32 v2, v[36:37] offset:640
	s_wait_loadcnt_dscnt 0x0
	v_cmp_eq_u32_e32 vcc_lo, 1, v2
                                        ; implicit-def: $vgpr2_vgpr3
	s_wait_xcnt 0x0
	s_and_saveexec_b32 s1, vcc_lo
	s_cbranch_execz .LBB2_26
; %bb.25:
	flat_load_b64 v[2:3], v[36:37] offset:648
	v_or_b32_e32 v112, 0x2000, v112
	s_wait_loadcnt_dscnt 0x0
	flat_load_b64 v[6:7], v[2:3]
	s_trap 2
	s_wait_loadcnt_dscnt 0x0
	ds_store_b64 v0, v[6:7]
	flat_load_b64 v[6:7], v[2:3] offset:8
	s_wait_loadcnt_dscnt 0x0
	ds_store_b64 v0, v[6:7]
	flat_load_b64 v[6:7], v[2:3] offset:16
	s_wait_loadcnt_dscnt 0x0
	ds_store_b64 v0, v[6:7]
.LBB2_26:
	s_wait_xcnt 0x0
	s_or_b32 exec_lo, exec_lo, s1
	flat_load_b64 v[8:9], v[36:37] offset:608
	v_and_b32_e32 v6, 32, v112
	s_mov_b32 s1, exec_lo
                                        ; implicit-def: $vgpr22_vgpr23
	s_wait_xcnt 0x0
	s_delay_alu instid0(VALU_DEP_1)
	v_cmpx_ne_u32_e32 0, v6
	s_cbranch_execz .LBB2_28
; %bb.27:
	flat_load_b64 v[22:23], v[36:37] offset:560
	global_wb scope:SCOPE_SYS
	s_wait_storecnt 0x0
	s_wait_xcnt 0x0
	s_wait_loadcnt_dscnt 0x0
	flat_store_b64 v[22:23], v[8:9] scope:SCOPE_SYS
.LBB2_28:
	s_wait_xcnt 0x0
	s_or_b32 exec_lo, exec_lo, s1
	v_and_b32_e32 v24, 4, v112
	v_add_nc_u64_e32 v[20:21], 0x1f8, v[36:37]
	v_mov_b64_e32 v[6:7], 0
                                        ; implicit-def: $vgpr28_vgpr29
                                        ; implicit-def: $vgpr26_vgpr27
	s_delay_alu instid0(VALU_DEP_3)
	v_cmp_ne_u32_e32 vcc_lo, 0, v24
                                        ; implicit-def: $vgpr24
	s_and_saveexec_b32 s1, vcc_lo
	s_cbranch_execz .LBB2_32
; %bb.29:
	v_and_b32_e32 v6, 0x800, v112
	s_mov_b32 s2, exec_lo
	s_delay_alu instid0(VALU_DEP_1)
	v_cmpx_eq_u32_e32 0, v6
	s_cbranch_execz .LBB2_31
; %bb.30:
	s_trap 2
	ds_store_b64 v0, v[20:21]
.LBB2_31:
	s_or_b32 exec_lo, exec_lo, s2
	flat_load_b64 v[22:23], v[36:37] offset:552
	s_wait_loadcnt_dscnt 0x0
	flat_load_b64 v[28:29], v[22:23] scope:SCOPE_SYS
	s_clause 0x2
	flat_load_b64 v[6:7], v[36:37] offset:600
	flat_load_b32 v24, v[36:37] offset:576
	flat_load_b64 v[26:27], v[36:37] offset:520
	s_wait_xcnt 0x0
	v_or_b32_e32 v36, 0x100, v112
	s_wait_loadcnt_dscnt 0x202
	v_cmp_eq_u64_e32 vcc_lo, 0, v[6:7]
	s_delay_alu instid0(VALU_DEP_2)
	v_cndmask_b32_e32 v112, v36, v112, vcc_lo
.LBB2_32:
	s_or_b32 exec_lo, exec_lo, s1
.LBB2_33:
	s_delay_alu instid0(SALU_CYCLE_1) | instskip(NEXT) | instid1(VALU_DEP_1)
	s_or_b32 exec_lo, exec_lo, s0
	v_and_b32_e32 v36, 24, v112
	s_delay_alu instid0(VALU_DEP_1)
	v_cmp_ne_u32_e32 vcc_lo, 0, v36
                                        ; implicit-def: $vgpr36_vgpr37
	s_and_saveexec_b32 s0, vcc_lo
	s_cbranch_execz .LBB2_41
; %bb.34:
	s_trap 2
	ds_load_b64 v[6:7], v0
	s_mov_b32 s1, exec_lo
                                        ; implicit-def: $vgpr36_vgpr37
	s_wait_dscnt 0x0
	v_readfirstlane_b32 s2, v6
	v_readfirstlane_b32 s3, v7
	flat_load_b64 v[6:7], v33, s[2:3] scale_offset
	s_wait_loadcnt_dscnt 0x0
	v_mad_nc_u64_u32 v[20:21], 0xa8, v17, v[6:7]
	v_or_b32_e32 v17, 0x100, v112
	flat_load_b128 v[6:9], v[20:21] offset:96
	s_wait_loadcnt_dscnt 0x0
	v_cmp_eq_u64_e32 vcc_lo, 0, v[6:7]
	v_cndmask_b32_e32 v112, v17, v112, vcc_lo
	s_delay_alu instid0(VALU_DEP_1) | instskip(SKIP_1) | instid1(VALU_DEP_1)
	v_and_b32_e32 v17, 16, v112
	s_wait_xcnt 0x0
	v_cmpx_ne_u32_e32 0, v17
	s_cbranch_execz .LBB2_36
; %bb.35:
	s_clause 0x2
	flat_load_b64 v[22:23], v[20:21] offset:48
	flat_load_b64 v[36:37], v[20:21] offset:120
	;; [unrolled: 1-line block ×3, first 2 shown]
.LBB2_36:
	s_wait_xcnt 0x0
	s_or_b32 exec_lo, exec_lo, s1
	v_and_b32_e32 v17, 8, v112
	s_mov_b32 s1, exec_lo
	s_delay_alu instid0(VALU_DEP_1)
	v_cmpx_ne_u32_e32 0, v17
	s_cbranch_execz .LBB2_40
; %bb.37:
	v_and_b32_e32 v17, 0x800, v112
	s_mov_b32 s2, exec_lo
	s_delay_alu instid0(VALU_DEP_1)
	v_cmpx_eq_u32_e32 0, v17
	s_cbranch_execz .LBB2_39
; %bb.38:
	s_trap 2
	ds_store_b64 v0, v[20:21]
.LBB2_39:
	s_or_b32 exec_lo, exec_lo, s2
	s_wait_loadcnt_dscnt 0x202
	flat_load_b64 v[22:23], v[20:21] offset:56
	s_wait_loadcnt_dscnt 0x0
	flat_load_b64 v[28:29], v[22:23] scope:SCOPE_SYS
	s_clause 0x1
	flat_load_b32 v24, v[20:21] offset:72
	flat_load_b64 v[26:27], v[20:21] offset:16
.LBB2_40:
	s_wait_xcnt 0x0
	s_or_b32 exec_lo, exec_lo, s1
.LBB2_41:
	s_delay_alu instid0(SALU_CYCLE_1)
	s_or_b32 exec_lo, exec_lo, s0
	v_cmp_eq_u32_e64 s0, 0, v0
	s_and_saveexec_b32 s1, s0
	s_cbranch_execz .LBB2_43
; %bb.42:
	v_mov_b64_e32 v[38:39], 0
	s_wait_loadcnt 0x2
	ds_store_2addr_b64 v0, v[12:13], v[10:11] offset1:1
	s_trap 2
	ds_store_b64 v0, v[38:39]
	s_wait_loadcnt 0x1
	ds_store_b64 v0, v[34:35]
.LBB2_43:
	s_or_b32 exec_lo, exec_lo, s1
	s_wait_loadcnt 0x2
	v_bfe_u32 v10, v16, 1, 30
	s_wait_loadcnt 0x1
	v_and_b32_e32 v34, 0x3ffffe00, v32
	v_mov_b32_e32 v35, 0
	s_wait_loadcnt 0x0
	v_and_b32_e32 v113, 0xffff, v30
                                        ; implicit-def: $vgpr32_vgpr33
	s_mov_b32 s1, exec_lo
	v_cmpx_ne_u32_e64 v25, v10
	s_xor_b32 s20, exec_lo, s1
	s_cbranch_execz .LBB2_3025
; %bb.44:
                                        ; implicit-def: $vgpr32_vgpr33
	s_mov_b32 s1, exec_lo
	v_cmpx_ne_u32_e64 v14, v10
	s_xor_b32 s13, exec_lo, s1
	s_cbranch_execz .LBB2_1540
; %bb.45:
	s_wait_dscnt 0x0
	v_mov_b64_e32 v[32:33], 0
	s_mov_b32 s21, exec_lo
	v_cmpx_ne_u64_e32 0, v[4:5]
	s_cbranch_execz .LBB2_1539
; %bb.46:
	v_dual_ashrrev_i32 v10, 31, v0 :: v_dual_bitop2_b32 v11, 31, v31 bitop3:0x40
	v_dual_ashrrev_i32 v25, 31, v24 :: v_dual_mov_b32 v49, 0
	s_delay_alu instid0(VALU_DEP_2)
	v_dual_lshlrev_b32 v50, 4, v0 :: v_dual_lshrrev_b32 v10, 27, v10
	s_ashr_i32 s4, s19, 31
	v_cmp_eq_u32_e32 vcc_lo, 32, v1
	s_lshr_b32 s4, s4, 24
	v_cmp_eq_u64_e64 s7, 0, v[36:37]
	v_dual_add_nc_u32 v10, v0, v10 :: v_dual_lshrrev_b32 v38, 5, v1
	v_mov_b32_e32 v39, v49
	v_mov_b64_e32 v[66:67], 0
	v_mov_b64_e32 v[32:33], 0
	s_delay_alu instid0(VALU_DEP_4)
	v_and_b32_e32 v12, 0xffffffe0, v10
	v_ashrrev_i32_e32 v10, 5, v10
	v_cmp_ge_i32_e64 s1, v0, v1
	v_cmp_ne_u32_e64 s2, 32, v1
	v_cmp_ne_u32_e64 s3, v1, v113
	v_dual_sub_nc_u32 v114, v0, v12 :: v_dual_ashrrev_i32 v51, 31, v50
	s_add_co_i32 s10, s19, s4
	v_cmp_eq_u32_e64 s4, 0, v11
	v_dual_mov_b32 v53, v49 :: v_dual_lshlrev_b32 v52, 9, v38
	v_dual_sub_nc_u32 v115, 0, v10 :: v_dual_mov_b32 v55, v49
	v_cmp_le_i32_e64 s5, v114, v15
	v_cmp_lt_i32_e64 s6, v114, v15
	v_dual_mov_b32 v65, v49 :: v_dual_lshlrev_b32 v54, 8, v38
	v_and_b32_e32 v64, 0x1fe0, v1
	v_dual_mov_b32 v116, 1 :: v_dual_mov_b32 v117, 0x90
	v_bfrev_b32_e32 v118, 1
	s_mov_b64 s[14:15], 0xffffffffffffff
	s_mov_b64 s[16:17], 0x100000000000000
	s_ashr_i32 s23, s10, 8
	s_mov_b32 s22, 0
	s_xor_b32 s24, vcc_lo, -1
	s_trap 2
	s_branch .LBB2_49
.LBB2_47:                               ;   in Loop: Header=BB2_49 Depth=1
	s_wait_xcnt 0x0
	s_or_b32 exec_lo, exec_lo, s10
.LBB2_48:                               ;   in Loop: Header=BB2_49 Depth=1
	s_delay_alu instid0(SALU_CYCLE_1) | instskip(SKIP_1) | instid1(VALU_DEP_1)
	s_or_b32 exec_lo, exec_lo, s11
	v_add_nc_u64_e32 v[66:67], v[66:67], v[34:35]
	v_cmp_ge_u64_e32 vcc_lo, v[66:67], v[4:5]
	s_or_b32 s22, vcc_lo, s22
	s_delay_alu instid0(SALU_CYCLE_1)
	s_and_not1_b32 exec_lo, exec_lo, s22
	s_cbranch_execz .LBB2_1538
.LBB2_49:                               ; =>This Loop Header: Depth=1
                                        ;     Child Loop BB2_58 Depth 2
                                        ;     Child Loop BB2_86 Depth 2
	;; [unrolled: 1-line block ×10, first 2 shown]
	v_sub_nc_u64_e32 v[10:11], v[4:5], v[66:67]
	s_delay_alu instid0(VALU_DEP_1) | instskip(NEXT) | instid1(VALU_DEP_1)
	v_min_u64 v[68:69], v[34:35], v[10:11]
	v_add_nc_u32_e32 v10, 15, v68
	s_delay_alu instid0(VALU_DEP_2) | instskip(NEXT) | instid1(VALU_DEP_2)
	v_cmp_eq_u64_e32 vcc_lo, 0, v[68:69]
	v_and_b32_e32 v10, 0x7ffffff0, v10
	s_or_b32 s25, s1, vcc_lo
	s_delay_alu instid0(SALU_CYCLE_1) | instskip(NEXT) | instid1(VALU_DEP_1)
	s_xor_b32 s10, s25, -1
	v_dual_mov_b32 v10, v49 :: v_dual_max_i32 v70, s23, v10
	s_and_saveexec_b32 s26, s10
	s_cbranch_execz .LBB2_1486
; %bb.50:                               ;   in Loop: Header=BB2_49 Depth=1
	s_and_saveexec_b32 s10, s0
	s_cbranch_execz .LBB2_52
; %bb.51:                               ;   in Loop: Header=BB2_49 Depth=1
	s_trap 2
	ds_load_b64 v[10:11], v0
	v_mov_b64_e32 v[12:13], 0
	s_wait_dscnt 0x0
	v_add_nc_u64_e32 v[10:11], v[10:11], v[18:19]
	s_delay_alu instid0(VALU_DEP_1)
	v_add_nc_u64_e32 v[10:11], v[10:11], v[66:67]
	ds_store_b64 v0, v[10:11]
	ds_store_b64 v0, v[12:13]
.LBB2_52:                               ;   in Loop: Header=BB2_49 Depth=1
	s_or_b32 exec_lo, exec_lo, s10
	v_and_b32_e32 v10, 12, v112
	v_min_u32_e32 v70, v70, v68
	s_mov_b32 s11, exec_lo
	s_delay_alu instid0(VALU_DEP_2)
	v_cmpx_ne_u32_e32 0, v10
	s_cbranch_execz .LBB2_78
; %bb.53:                               ;   in Loop: Header=BB2_49 Depth=1
	v_and_b32_e32 v48, 8, v112
	v_add_nc_u64_e32 v[10:11], 1, v[8:9]
	s_mov_b32 s12, exec_lo
	s_wait_loadcnt 0x0
	s_delay_alu instid0(VALU_DEP_2) | instskip(NEXT) | instid1(VALU_DEP_1)
	v_add_nc_u64_e32 v[12:13], v[28:29], v[48:49]
	v_cmpx_lt_u64_e64 v[12:13], v[10:11]
	s_cbranch_execz .LBB2_65
; %bb.54:                               ;   in Loop: Header=BB2_49 Depth=1
	v_and_b32_e32 v9, 64, v112
	s_mov_b32 s27, 0
	s_mov_b32 s41, 0
                                        ; implicit-def: $sgpr28
                                        ; implicit-def: $sgpr29
                                        ; implicit-def: $sgpr40
	s_delay_alu instid0(VALU_DEP_1)
	v_cmp_eq_u32_e32 vcc_lo, 0, v9
	s_branch .LBB2_58
.LBB2_55:                               ;   in Loop: Header=BB2_58 Depth=2
	s_wait_loadcnt_dscnt 0x0
	v_add_nc_u64_e32 v[12:13], v[28:29], v[48:49]
	s_or_b32 s44, s44, exec_lo
	s_delay_alu instid0(VALU_DEP_1)
	v_cmp_ge_u64_e64 s10, v[12:13], v[10:11]
	s_or_not1_b32 s43, s10, exec_lo
.LBB2_56:                               ;   in Loop: Header=BB2_58 Depth=2
	s_or_b32 exec_lo, exec_lo, s46
	s_delay_alu instid0(SALU_CYCLE_1)
	s_and_not1_b32 s10, s40, exec_lo
	s_and_b32 s40, s44, exec_lo
	s_and_not1_b32 s29, s29, exec_lo
	s_and_b32 s43, s43, exec_lo
	s_or_b32 s40, s10, s40
	s_or_b32 s29, s29, s43
.LBB2_57:                               ;   in Loop: Header=BB2_58 Depth=2
	s_or_b32 exec_lo, exec_lo, s42
	s_delay_alu instid0(SALU_CYCLE_1) | instskip(NEXT) | instid1(SALU_CYCLE_1)
	s_and_b32 s10, exec_lo, s29
	s_or_b32 s27, s10, s27
	s_and_not1_b32 s10, s28, exec_lo
	s_and_b32 s28, s40, exec_lo
	s_delay_alu instid0(SALU_CYCLE_1)
	s_or_b32 s28, s10, s28
	s_and_not1_b32 exec_lo, exec_lo, s27
	s_cbranch_execz .LBB2_62
.LBB2_58:                               ;   Parent Loop BB2_49 Depth=1
                                        ; =>  This Inner Loop Header: Depth=2
	s_sleep 1
	s_wait_loadcnt_dscnt 0x0
	flat_load_b64 v[28:29], v[22:23] scope:SCOPE_SYS
	s_or_b32 s40, s40, exec_lo
	s_or_b32 s29, s29, exec_lo
                                        ; implicit-def: $vgpr9
	s_wait_xcnt 0x0
	s_and_saveexec_b32 s42, vcc_lo
	s_cbranch_execz .LBB2_57
; %bb.59:                               ;   in Loop: Header=BB2_58 Depth=2
	s_cmp_lt_i32 s41, 0x270f
	s_mov_b32 s43, -1
	s_cselect_b32 s45, -1, 0
	s_cmp_gt_i32 s41, 0x270e
	s_cbranch_scc0 .LBB2_61
; %bb.60:                               ;   in Loop: Header=BB2_58 Depth=2
	s_trap 2
	ds_load_b64 v[12:13], v0
	s_and_not1_b32 s41, s45, exec_lo
	s_mov_b32 s44, 0
	s_wait_storecnt 0x0
	s_wait_loadcnt_dscnt 0x0
	flat_load_b32 v9, v[12:13] scope:SCOPE_SYS
	s_wait_loadcnt_dscnt 0x0
	global_inv scope:SCOPE_SYS
	v_cmp_eq_u32_e64 s10, 0, v9
	s_and_b32 s10, s10, exec_lo
	s_delay_alu instid0(SALU_CYCLE_1)
	s_or_b32 s45, s41, s10
	s_mov_b32 s41, 0
	s_and_saveexec_b32 s46, s45
	s_cbranch_execz .LBB2_56
	s_branch .LBB2_55
.LBB2_61:                               ;   in Loop: Header=BB2_58 Depth=2
	s_add_co_i32 s41, s41, 1
	s_mov_b32 s44, -1
                                        ; implicit-def: $vgpr9
	s_and_saveexec_b32 s46, s45
	s_cbranch_execz .LBB2_56
	s_branch .LBB2_55
.LBB2_62:                               ;   in Loop: Header=BB2_49 Depth=1
	s_or_b32 exec_lo, exec_lo, s27
	s_xor_b32 s10, s28, -1
	s_delay_alu instid0(SALU_CYCLE_1) | instskip(NEXT) | instid1(SALU_CYCLE_1)
	s_and_saveexec_b32 s27, s10
	s_xor_b32 s10, exec_lo, s27
	s_cbranch_execz .LBB2_64
; %bb.63:                               ;   in Loop: Header=BB2_49 Depth=1
	v_or_b32_e32 v112, 64, v112
	s_wait_storecnt 0x0
	s_wait_loadcnt_dscnt 0x0
	ds_store_b32 v0, v9
	s_trap 2
.LBB2_64:                               ;   in Loop: Header=BB2_49 Depth=1
	s_or_b32 exec_lo, exec_lo, s10
.LBB2_65:                               ;   in Loop: Header=BB2_49 Depth=1
	s_delay_alu instid0(SALU_CYCLE_1) | instskip(SKIP_2) | instid1(VALU_DEP_1)
	s_or_b32 exec_lo, exec_lo, s12
	v_and_b32_e32 v9, 0x108, v112
	;;#ASMSTART
	s_wakeup
	;;#ASMEND
	v_cmp_ne_u32_e32 vcc_lo, 0x108, v9
	v_and_b32_e32 v8, 7, v8
	s_and_saveexec_b32 s10, vcc_lo
	s_delay_alu instid0(SALU_CYCLE_1)
	s_xor_b32 s10, exec_lo, s10
; %bb.66:                               ;   in Loop: Header=BB2_49 Depth=1
	v_mov_b32_e32 v9, v49
; %bb.67:                               ;   in Loop: Header=BB2_49 Depth=1
	s_and_not1_saveexec_b32 s10, s10
	s_cbranch_execz .LBB2_69
; %bb.68:                               ;   in Loop: Header=BB2_49 Depth=1
	v_mad_nc_u64_u32 v[12:13], v8, 24, v[6:7]
	v_dual_mov_b32 v71, v49 :: v_dual_mov_b32 v9, v49
	flat_store_b64 v[12:13], v[70:71] offset:8
.LBB2_69:                               ;   in Loop: Header=BB2_49 Depth=1
	s_wait_xcnt 0x0
	s_or_b32 exec_lo, exec_lo, s10
	v_and_b32_e32 v12, 0x100, v112
	s_mov_b32 s10, -1
	s_delay_alu instid0(VALU_DEP_1)
	v_cmp_ne_u32_e32 vcc_lo, 0, v12
                                        ; implicit-def: $vgpr12_vgpr13
	s_and_saveexec_b32 s12, vcc_lo
	s_cbranch_execz .LBB2_73
; %bb.70:                               ;   in Loop: Header=BB2_49 Depth=1
	v_mad_nc_u64_u32 v[14:15], v8, 24, v[6:7]
	s_delay_alu instid0(VALU_DEP_1)
	v_mad_u32 v15, v9, 24, v15
	flat_load_b32 v12, v[14:15]
	s_wait_loadcnt_dscnt 0x0
	v_cmp_eq_u32_e64 s10, 1, v12
	v_cmp_ne_u32_e32 vcc_lo, 1, v12
                                        ; implicit-def: $vgpr12_vgpr13
	s_wait_xcnt 0x0
	s_and_saveexec_b32 s27, s10
	s_cbranch_execz .LBB2_72
; %bb.71:                               ;   in Loop: Header=BB2_49 Depth=1
	flat_load_b32 v12, v[14:15] offset:4 scope:SCOPE_SYS
	s_wait_loadcnt_dscnt 0x0
	v_ashrrev_i32_e32 v13, 31, v12
.LBB2_72:                               ;   in Loop: Header=BB2_49 Depth=1
	s_wait_xcnt 0x0
	s_or_b32 exec_lo, exec_lo, s27
	s_delay_alu instid0(SALU_CYCLE_1)
	s_or_not1_b32 s10, vcc_lo, exec_lo
.LBB2_73:                               ;   in Loop: Header=BB2_49 Depth=1
	s_or_b32 exec_lo, exec_lo, s12
	s_and_saveexec_b32 s12, s10
; %bb.74:                               ;   in Loop: Header=BB2_49 Depth=1
	v_mul_u64_e32 v[12:13], v[8:9], v[24:25]
; %bb.75:                               ;   in Loop: Header=BB2_49 Depth=1
	s_or_b32 exec_lo, exec_lo, s12
	v_cmp_eq_u32_e32 vcc_lo, 0, v48
	s_delay_alu instid0(VALU_DEP_2) | instskip(SKIP_3) | instid1(VALU_DEP_1)
	v_add_nc_u64_e32 v[8:9], v[26:27], v[12:13]
	v_and_b32_e32 v15, 0x2000, v112
	s_mov_b32 s10, exec_lo
	v_cndmask_b32_e32 v14, 0xc8, v117, vcc_lo
	v_add_nc_u32_e32 v12, v0, v14
	ds_store_b64 v12, v[8:9] offset:584
	v_cmpx_ne_u32_e32 0, v15
	s_cbranch_execz .LBB2_77
; %bb.76:                               ;   in Loop: Header=BB2_49 Depth=1
	ds_load_b64 v[8:9], v0 offset:872
	s_wait_dscnt 0x0
	v_add_nc_u64_e32 v[8:9], 1, v[8:9]
	ds_store_b64 v0, v[8:9] offset:872
.LBB2_77:                               ;   in Loop: Header=BB2_49 Depth=1
	s_or_b32 exec_lo, exec_lo, s10
	v_mov_b64_e32 v[8:9], v[10:11]
.LBB2_78:                               ;   in Loop: Header=BB2_49 Depth=1
	s_or_b32 exec_lo, exec_lo, s11
	s_and_saveexec_b32 s10, s2
	s_cbranch_execz .LBB2_97
; %bb.79:                               ;   in Loop: Header=BB2_49 Depth=1
	s_and_saveexec_b32 s11, s3
	s_delay_alu instid0(SALU_CYCLE_1)
	s_xor_b32 s11, exec_lo, s11
	s_cbranch_execz .LBB2_94
; %bb.80:                               ;   in Loop: Header=BB2_49 Depth=1
	s_and_saveexec_b32 s12, s4
	s_cbranch_execz .LBB2_93
; %bb.81:                               ;   in Loop: Header=BB2_49 Depth=1
	s_mov_b32 s28, exec_lo
	s_mov_b32 s27, exec_lo
	v_mbcnt_lo_u32_b32 v10, s28, 0
	global_wb scope:SCOPE_DEV
	s_wait_storecnt 0x0
	s_wait_loadcnt_dscnt 0x0
	global_inv scope:SCOPE_DEV
	v_cmpx_eq_u32_e32 0, v10
	s_cbranch_execz .LBB2_83
; %bb.82:                               ;   in Loop: Header=BB2_49 Depth=1
	s_bcnt1_i32_b32 s28, s28
	s_delay_alu instid0(SALU_CYCLE_1)
	v_mov_b32_e32 v48, s28
	s_wait_loadcnt 0x0
	ds_add_u64 v0, v[48:49]
	s_trap 2
.LBB2_83:                               ;   in Loop: Header=BB2_49 Depth=1
	s_or_b32 exec_lo, exec_lo, s27
	s_trap 2
	ds_load_b64 v[10:11], v0
	s_wait_dscnt 0x0
	v_add_nc_u64_e32 v[32:33], v[32:33], v[38:39]
	s_mov_b32 s27, exec_lo
	s_delay_alu instid0(VALU_DEP_1)
	v_cmpx_lt_u64_e64 v[10:11], v[32:33]
	s_cbranch_execz .LBB2_92
; %bb.84:                               ;   in Loop: Header=BB2_49 Depth=1
	s_mov_b32 s28, 0
	s_mov_b32 s41, 0
                                        ; implicit-def: $sgpr29
                                        ; implicit-def: $sgpr40
	s_branch .LBB2_86
.LBB2_85:                               ;   in Loop: Header=BB2_86 Depth=2
	s_or_b32 exec_lo, exec_lo, s43
	s_delay_alu instid0(SALU_CYCLE_1) | instskip(NEXT) | instid1(SALU_CYCLE_1)
	s_and_b32 s42, exec_lo, s44
	s_or_b32 s28, s42, s28
	s_and_not1_b32 s29, s29, exec_lo
	s_and_b32 s42, s40, exec_lo
	s_delay_alu instid0(SALU_CYCLE_1)
	s_or_b32 s29, s29, s42
	s_and_not1_b32 exec_lo, exec_lo, s28
	s_cbranch_execz .LBB2_90
.LBB2_86:                               ;   Parent Loop BB2_49 Depth=1
                                        ; =>  This Inner Loop Header: Depth=2
	s_add_co_i32 s41, s41, 1
	s_delay_alu instid0(SALU_CYCLE_1) | instskip(SKIP_1) | instid1(SALU_CYCLE_1)
	s_cmp_lg_u32 s41, 0x2710
	s_cselect_b32 s42, -1, 0
	s_and_b32 vcc_lo, exec_lo, s42
	s_cbranch_vccz .LBB2_88
; %bb.87:                               ;   in Loop: Header=BB2_86 Depth=2
	s_mov_b32 s44, -1
	s_or_b32 s40, s40, exec_lo
	s_and_saveexec_b32 s43, s42
	s_cbranch_execz .LBB2_85
	s_branch .LBB2_89
.LBB2_88:                               ;   in Loop: Header=BB2_86 Depth=2
	s_trap 2
	ds_load_b64 v[10:11], v0
	s_and_not1_b32 s42, s42, exec_lo
	s_mov_b32 s41, 0
	s_wait_loadcnt_dscnt 0x0
	flat_load_b32 v10, v[10:11] scope:SCOPE_SYS
	s_wait_loadcnt_dscnt 0x0
	global_inv scope:SCOPE_SYS
	v_cmp_eq_u32_e32 vcc_lo, 0, v10
	s_and_b32 s43, vcc_lo, exec_lo
	s_delay_alu instid0(SALU_CYCLE_1)
	s_or_b32 s42, s42, s43
	s_mov_b32 s44, -1
	s_or_b32 s40, s40, exec_lo
	s_and_saveexec_b32 s43, s42
	s_cbranch_execz .LBB2_85
.LBB2_89:                               ;   in Loop: Header=BB2_86 Depth=2
	s_sleep 1
	s_trap 2
	ds_load_b64 v[10:11], v0
	s_wait_dscnt 0x0
	s_and_not1_b32 s40, s40, exec_lo
	v_cmp_ge_u64_e32 vcc_lo, v[10:11], v[32:33]
	s_or_not1_b32 s44, vcc_lo, exec_lo
	s_branch .LBB2_85
.LBB2_90:                               ;   in Loop: Header=BB2_49 Depth=1
	s_or_b32 exec_lo, exec_lo, s28
	s_and_saveexec_b32 s28, s29
	s_delay_alu instid0(SALU_CYCLE_1)
	s_xor_b32 s28, exec_lo, s28
	s_cbranch_execz .LBB2_92
; %bb.91:                               ;   in Loop: Header=BB2_49 Depth=1
	ds_store_b32 v0, v116
	s_trap 2
.LBB2_92:                               ;   in Loop: Header=BB2_49 Depth=1
	s_or_b32 exec_lo, exec_lo, s27
	;;#ASMSTART
	s_wakeup
	;;#ASMEND
.LBB2_93:                               ;   in Loop: Header=BB2_49 Depth=1
	s_or_b32 exec_lo, exec_lo, s12
.LBB2_94:                               ;   in Loop: Header=BB2_49 Depth=1
	s_and_not1_saveexec_b32 s11, s11
	s_cbranch_execz .LBB2_96
; %bb.95:                               ;   in Loop: Header=BB2_49 Depth=1
	global_wb scope:SCOPE_DEV
	s_wait_storecnt 0x0
	s_wait_loadcnt_dscnt 0x0
	global_inv scope:SCOPE_DEV
	s_barrier_signal -1
	s_barrier_wait -1
.LBB2_96:                               ;   in Loop: Header=BB2_49 Depth=1
	s_or_b32 exec_lo, exec_lo, s11
.LBB2_97:                               ;   in Loop: Header=BB2_49 Depth=1
	s_delay_alu instid0(SALU_CYCLE_1) | instskip(SKIP_3) | instid1(VALU_DEP_1)
	s_or_b32 exec_lo, exec_lo, s10
	s_trap 2
	ds_load_b32 v10, v0
	v_and_b32_e32 v11, 0x4000, v112
	v_cmp_ne_u32_e32 vcc_lo, 0, v11
	s_and_b32 s11, s24, vcc_lo
	s_delay_alu instid0(SALU_CYCLE_1)
	s_and_saveexec_b32 s10, s11
	s_cbranch_execz .LBB2_116
; %bb.98:                               ;   in Loop: Header=BB2_49 Depth=1
	s_and_saveexec_b32 s11, s3
	s_delay_alu instid0(SALU_CYCLE_1)
	s_xor_b32 s11, exec_lo, s11
	s_cbranch_execz .LBB2_113
; %bb.99:                               ;   in Loop: Header=BB2_49 Depth=1
	s_and_saveexec_b32 s12, s4
	s_cbranch_execz .LBB2_112
; %bb.100:                              ;   in Loop: Header=BB2_49 Depth=1
	s_mov_b32 s28, exec_lo
	s_mov_b32 s27, exec_lo
	v_mbcnt_lo_u32_b32 v11, s28, 0
	global_wb scope:SCOPE_DEV
	s_wait_storecnt 0x0
	s_wait_loadcnt_dscnt 0x0
	global_inv scope:SCOPE_DEV
	v_cmpx_eq_u32_e32 0, v11
	s_cbranch_execz .LBB2_102
; %bb.101:                              ;   in Loop: Header=BB2_49 Depth=1
	s_bcnt1_i32_b32 s28, s28
	s_delay_alu instid0(SALU_CYCLE_1)
	v_mov_b32_e32 v48, s28
	s_wait_loadcnt 0x0
	ds_add_u64 v0, v[48:49]
	s_trap 2
.LBB2_102:                              ;   in Loop: Header=BB2_49 Depth=1
	s_or_b32 exec_lo, exec_lo, s27
	s_trap 2
	ds_load_b64 v[12:13], v0
	s_wait_dscnt 0x0
	v_add_nc_u64_e32 v[32:33], v[32:33], v[38:39]
	s_mov_b32 s27, exec_lo
	s_delay_alu instid0(VALU_DEP_1)
	v_cmpx_lt_u64_e64 v[12:13], v[32:33]
	s_cbranch_execz .LBB2_111
; %bb.103:                              ;   in Loop: Header=BB2_49 Depth=1
	s_mov_b32 s28, 0
	s_mov_b32 s41, 0
                                        ; implicit-def: $sgpr29
                                        ; implicit-def: $sgpr40
	s_branch .LBB2_105
.LBB2_104:                              ;   in Loop: Header=BB2_105 Depth=2
	s_or_b32 exec_lo, exec_lo, s43
	s_delay_alu instid0(SALU_CYCLE_1) | instskip(NEXT) | instid1(SALU_CYCLE_1)
	s_and_b32 s42, exec_lo, s44
	s_or_b32 s28, s42, s28
	s_and_not1_b32 s29, s29, exec_lo
	s_and_b32 s42, s40, exec_lo
	s_delay_alu instid0(SALU_CYCLE_1)
	s_or_b32 s29, s29, s42
	s_and_not1_b32 exec_lo, exec_lo, s28
	s_cbranch_execz .LBB2_109
.LBB2_105:                              ;   Parent Loop BB2_49 Depth=1
                                        ; =>  This Inner Loop Header: Depth=2
	s_add_co_i32 s41, s41, 1
	s_delay_alu instid0(SALU_CYCLE_1) | instskip(SKIP_1) | instid1(SALU_CYCLE_1)
	s_cmp_lg_u32 s41, 0x2710
	s_cselect_b32 s42, -1, 0
	s_and_b32 vcc_lo, exec_lo, s42
	s_cbranch_vccz .LBB2_107
; %bb.106:                              ;   in Loop: Header=BB2_105 Depth=2
	s_mov_b32 s44, -1
	s_or_b32 s40, s40, exec_lo
	s_and_saveexec_b32 s43, s42
	s_cbranch_execz .LBB2_104
	s_branch .LBB2_108
.LBB2_107:                              ;   in Loop: Header=BB2_105 Depth=2
	s_trap 2
	ds_load_b64 v[12:13], v0
	s_and_not1_b32 s42, s42, exec_lo
	s_mov_b32 s41, 0
	s_wait_loadcnt_dscnt 0x0
	flat_load_b32 v11, v[12:13] scope:SCOPE_SYS
	s_wait_loadcnt_dscnt 0x0
	global_inv scope:SCOPE_SYS
	v_cmp_eq_u32_e32 vcc_lo, 0, v11
	s_and_b32 s43, vcc_lo, exec_lo
	s_delay_alu instid0(SALU_CYCLE_1)
	s_or_b32 s42, s42, s43
	s_mov_b32 s44, -1
	s_or_b32 s40, s40, exec_lo
	s_and_saveexec_b32 s43, s42
	s_cbranch_execz .LBB2_104
.LBB2_108:                              ;   in Loop: Header=BB2_105 Depth=2
	s_sleep 1
	s_trap 2
	ds_load_b64 v[12:13], v0
	s_wait_dscnt 0x0
	s_and_not1_b32 s40, s40, exec_lo
	v_cmp_ge_u64_e32 vcc_lo, v[12:13], v[32:33]
	s_or_not1_b32 s44, vcc_lo, exec_lo
	s_branch .LBB2_104
.LBB2_109:                              ;   in Loop: Header=BB2_49 Depth=1
	s_or_b32 exec_lo, exec_lo, s28
	s_and_saveexec_b32 s28, s29
	s_delay_alu instid0(SALU_CYCLE_1)
	s_xor_b32 s28, exec_lo, s28
	s_cbranch_execz .LBB2_111
; %bb.110:                              ;   in Loop: Header=BB2_49 Depth=1
	ds_store_b32 v0, v116
	s_trap 2
.LBB2_111:                              ;   in Loop: Header=BB2_49 Depth=1
	s_or_b32 exec_lo, exec_lo, s27
	;;#ASMSTART
	s_wakeup
	;;#ASMEND
.LBB2_112:                              ;   in Loop: Header=BB2_49 Depth=1
	s_or_b32 exec_lo, exec_lo, s12
.LBB2_113:                              ;   in Loop: Header=BB2_49 Depth=1
	s_and_not1_saveexec_b32 s11, s11
	s_cbranch_execz .LBB2_115
; %bb.114:                              ;   in Loop: Header=BB2_49 Depth=1
	global_wb scope:SCOPE_DEV
	s_wait_storecnt 0x0
	s_wait_loadcnt_dscnt 0x0
	global_inv scope:SCOPE_DEV
	s_barrier_signal -1
	s_barrier_wait -1
.LBB2_115:                              ;   in Loop: Header=BB2_49 Depth=1
	s_or_b32 exec_lo, exec_lo, s11
.LBB2_116:                              ;   in Loop: Header=BB2_49 Depth=1
	s_delay_alu instid0(SALU_CYCLE_1)
	s_or_b32 exec_lo, exec_lo, s10
	s_trap 2
	ds_load_b64 v[80:81], v0
	s_wait_dscnt 0x0
	v_cmp_eq_u64_e32 vcc_lo, 0, v[80:81]
	s_cbranch_vccnz .LBB2_124
; %bb.117:                              ;   in Loop: Header=BB2_49 Depth=1
	s_trap 2
	ds_load_b64 v[82:83], v0
	s_wait_dscnt 0x0
	v_cmp_eq_u64_e32 vcc_lo, 0, v[82:83]
	s_cbranch_vccnz .LBB2_124
; %bb.118:                              ;   in Loop: Header=BB2_49 Depth=1
	s_mov_b32 s10, -1
	s_and_saveexec_b32 s11, s5
	s_cbranch_execz .LBB2_120
; %bb.119:                              ;   in Loop: Header=BB2_49 Depth=1
	ds_load_b32 v11, v0 offset:720
	s_wait_dscnt 0x0
	v_and_b32_e32 v11, 15, v11
	s_delay_alu instid0(VALU_DEP_1)
	v_cmp_eq_u32_e32 vcc_lo, 0, v11
	s_or_not1_b32 s10, vcc_lo, exec_lo
.LBB2_120:                              ;   in Loop: Header=BB2_49 Depth=1
	s_or_b32 exec_lo, exec_lo, s11
	s_and_saveexec_b32 s11, s6
	s_cbranch_execz .LBB2_122
; %bb.121:                              ;   in Loop: Header=BB2_49 Depth=1
	ds_load_b32 v11, v0 offset:784
	s_wait_dscnt 0x0
	v_and_b32_e32 v11, 15, v11
	s_delay_alu instid0(VALU_DEP_1) | instskip(SKIP_3) | instid1(SALU_CYCLE_1)
	v_cmp_eq_u32_e32 vcc_lo, 0, v11
	s_and_b32 s12, s10, vcc_lo
	s_and_not1_b32 s10, s10, exec_lo
	s_and_b32 s12, s12, exec_lo
	s_or_b32 s10, s10, s12
.LBB2_122:                              ;   in Loop: Header=BB2_49 Depth=1
	s_or_b32 exec_lo, exec_lo, s11
	v_cmp_eq_u32_e32 vcc_lo, 0, v10
	s_xor_b32 s10, s10, -1
	s_mov_b32 s27, -1
	v_cndmask_b32_e64 v11, 0, 1, s10
	v_dual_mov_b32 v71, 0 :: v_dual_cndmask_b32 v69, 0, v70, vcc_lo
	v_mov_b32_e32 v30, v0
	s_delay_alu instid0(VALU_DEP_3) | instskip(NEXT) | instid1(VALU_DEP_3)
	v_cmp_ne_u32_e32 vcc_lo, 0, v11
	v_mov_b32_e32 v119, v69
	s_cbranch_vccz .LBB2_125
; %bb.123:                              ;   in Loop: Header=BB2_49 Depth=1
	s_and_saveexec_b32 s11, s27
	s_cbranch_execnz .LBB2_1128
	s_branch .LBB2_1460
.LBB2_124:                              ;   in Loop: Header=BB2_49 Depth=1
	s_mov_b32 s10, 0
	s_and_saveexec_b32 s11, s2
	s_cbranch_execnz .LBB2_1461
	s_branch .LBB2_1479
.LBB2_125:                              ;   in Loop: Header=BB2_49 Depth=1
	v_and_b32_e32 v71, 0x1ff, v69
	v_dual_lshrrev_b32 v10, 9, v69 :: v_dual_sub_nc_u32 v119, v69, v50
	s_mov_b32 s27, exec_lo
	s_delay_alu instid0(VALU_DEP_2) | instskip(NEXT) | instid1(VALU_DEP_2)
	v_cmp_lt_u32_e32 vcc_lo, 15, v71
	v_add_co_ci_u32_e64 v40, null, v10, v115, vcc_lo
	s_delay_alu instid0(VALU_DEP_3)
	v_cmpx_lt_i32_e32 15, v119
	s_cbranch_execz .LBB2_625
; %bb.126:                              ;   in Loop: Header=BB2_49 Depth=1
	s_trap 2
	ds_load_b64 v[10:11], v0
	v_add_nc_u64_e32 v[84:85], v[80:81], v[50:51]
	v_add_nc_u64_e32 v[96:97], v[82:83], v[50:51]
	s_mov_b32 s28, 0
	s_wait_dscnt 0x0
	v_add_nc_u64_e32 v[86:87], v[10:11], v[50:51]
	s_branch .LBB2_128
.LBB2_127:                              ;   in Loop: Header=BB2_128 Depth=2
	s_or_b32 exec_lo, exec_lo, s10
	v_lshl_or_b32 v11, v103, 8, v102
	v_dual_lshlrev_b32 v12, 16, v30 :: v_dual_lshlrev_b32 v13, 24, v100
	v_lshl_or_b32 v15, v42, 8, v41
	v_dual_lshlrev_b32 v16, 16, v43 :: v_dual_lshlrev_b32 v17, 24, v44
	;; [unrolled: 2-line block ×3, first 2 shown]
	v_dual_lshlrev_b32 v101, 24, v10 :: v_dual_sub_nc_u32 v119, v119, v52
	v_lshlrev_b32_e32 v14, 16, v14
	v_lshl_or_b32 v98, v99, 8, v98
	v_or3_b32 v11, v11, v12, v13
	v_or3_b32 v10, v15, v16, v17
	;; [unrolled: 1-line block ×3, first 2 shown]
	v_add_nc_u64_e32 v[84:85], v[84:85], v[52:53]
	v_or3_b32 v13, v98, v14, v101
	v_add_nc_u64_e32 v[86:87], v[86:87], v[52:53]
	v_cmp_gt_i32_e64 s10, 16, v119
	v_sub_nc_u32_e32 v40, v40, v38
	global_store_b128 v[96:97], v[10:13], off th:TH_STORE_NT
	s_wait_xcnt 0x0
	v_add_nc_u64_e32 v[96:97], v[96:97], v[52:53]
	s_or_b32 s28, s10, s28
	s_delay_alu instid0(SALU_CYCLE_1)
	s_and_not1_b32 exec_lo, exec_lo, s28
	s_cbranch_execz .LBB2_624
.LBB2_128:                              ;   Parent Loop BB2_49 Depth=1
                                        ; =>  This Inner Loop Header: Depth=2
	global_load_b128 v[14:17], v[84:85], off th:TH_LOAD_NT
	global_load_b128 v[10:13], v[86:87], off th:TH_LOAD_NT
	v_mov_b32_e32 v30, 0
	s_mov_b32 s11, exec_lo
	s_wait_loadcnt 0x1
	v_and_b32_e32 v48, 0xff, v14
	s_wait_xcnt 0x0
	s_delay_alu instid0(VALU_DEP_1)
	v_cmpx_ne_u16_e32 0, v48
	s_cbranch_execz .LBB2_134
; %bb.129:                              ;   in Loop: Header=BB2_128 Depth=2
	v_bfrev_b32_e32 v30, 1
	s_mov_b32 s12, exec_lo
	v_cmpx_ne_u16_e32 0x80, v48
	s_cbranch_execz .LBB2_133
; %bb.130:                              ;   in Loop: Header=BB2_128 Depth=2
	v_and_b32_e32 v48, 0x7f, v14
	v_mov_b32_e32 v30, 0x7f800001
	s_mov_b32 s29, exec_lo
	s_delay_alu instid0(VALU_DEP_2)
	v_cmpx_ne_u32_e32 0x7f, v48
	s_cbranch_execz .LBB2_132
; %bb.131:                              ;   in Loop: Header=BB2_128 Depth=2
	v_dual_lshrrev_b32 v98, 3, v48 :: v_dual_bitop2_b32 v30, 7, v14 bitop3:0x40
	v_cmp_gt_u32_e64 s10, 8, v48
	s_delay_alu instid0(VALU_DEP_2) | instskip(NEXT) | instid1(VALU_DEP_1)
	v_clz_i32_u32_e32 v30, v30
	v_min_u32_e32 v30, 32, v30
	s_delay_alu instid0(VALU_DEP_1) | instskip(NEXT) | instid1(VALU_DEP_1)
	v_subrev_nc_u32_e32 v99, 28, v30
	v_dual_sub_nc_u32 v30, 29, v30 :: v_dual_cndmask_b32 v48, 0, v99, s10
	s_delay_alu instid0(VALU_DEP_1) | instskip(NEXT) | instid1(VALU_DEP_2)
	v_cndmask_b32_e64 v30, v98, v30, s10
	v_lshlrev_b64_e32 v[98:99], v48, v[14:15]
	v_lshlrev_b32_e32 v48, 24, v14
	s_delay_alu instid0(VALU_DEP_3) | instskip(NEXT) | instid1(VALU_DEP_2)
	v_lshl_add_u32 v30, v30, 23, 0x3c000000
	v_and_b32_e32 v48, 0x80000000, v48
	s_delay_alu instid0(VALU_DEP_4) | instskip(NEXT) | instid1(VALU_DEP_1)
	v_lshlrev_b32_e32 v98, 20, v98
	v_and_b32_e32 v98, 0x700000, v98
	s_delay_alu instid0(VALU_DEP_1)
	v_or3_b32 v30, v98, v48, v30
.LBB2_132:                              ;   in Loop: Header=BB2_128 Depth=2
	s_or_b32 exec_lo, exec_lo, s29
.LBB2_133:                              ;   in Loop: Header=BB2_128 Depth=2
	s_delay_alu instid0(SALU_CYCLE_1)
	s_or_b32 exec_lo, exec_lo, s12
.LBB2_134:                              ;   in Loop: Header=BB2_128 Depth=2
	s_delay_alu instid0(SALU_CYCLE_1) | instskip(SKIP_4) | instid1(VALU_DEP_1)
	s_or_b32 exec_lo, exec_lo, s11
	s_wait_loadcnt 0x0
	v_and_b32_e32 v98, 0xff, v10
	s_mov_b32 s11, 0
	s_mov_b32 s12, exec_lo
	v_cmpx_lt_i16_e32 0x7f, v98
	s_xor_b32 s12, exec_lo, s12
	s_cbranch_execz .LBB2_169
; %bb.135:                              ;   in Loop: Header=BB2_128 Depth=2
	s_mov_b32 s11, -1
	s_mov_b32 s29, exec_lo
	v_cmpx_eq_u16_e32 0x80, v98
; %bb.136:                              ;   in Loop: Header=BB2_128 Depth=2
	s_xor_b32 s11, exec_lo, -1
; %bb.137:                              ;   in Loop: Header=BB2_128 Depth=2
	s_or_b32 exec_lo, exec_lo, s29
	s_delay_alu instid0(SALU_CYCLE_1)
	s_and_b32 s11, s11, exec_lo
                                        ; implicit-def: $vgpr98
	s_or_saveexec_b32 s12, s12
	v_bfrev_b32_e32 v48, 1
	s_xor_b32 exec_lo, exec_lo, s12
	s_cbranch_execnz .LBB2_170
.LBB2_138:                              ;   in Loop: Header=BB2_128 Depth=2
	s_or_b32 exec_lo, exec_lo, s12
	s_and_saveexec_b32 s12, s11
	s_cbranch_execz .LBB2_140
.LBB2_139:                              ;   in Loop: Header=BB2_128 Depth=2
	v_and_b32_e32 v100, 0x7f, v10
	v_bfe_u32 v98, v10, 3, 4
	s_delay_alu instid0(VALU_DEP_2) | instskip(SKIP_1) | instid1(VALU_DEP_1)
	v_cmp_gt_u32_e64 s10, 8, v100
	v_and_b32_e32 v48, 7, v10
	v_clz_i32_u32_e32 v48, v48
	s_delay_alu instid0(VALU_DEP_1) | instskip(NEXT) | instid1(VALU_DEP_1)
	v_min_u32_e32 v48, 32, v48
	v_subrev_nc_u32_e32 v99, 28, v48
	v_sub_nc_u32_e32 v48, 29, v48
	s_delay_alu instid0(VALU_DEP_1) | instskip(SKIP_1) | instid1(VALU_DEP_2)
	v_dual_cndmask_b32 v48, v98, v48, s10 :: v_dual_cndmask_b32 v98, 0, v99, s10
	v_cmp_ne_u32_e64 s10, 0x7f, v100
	v_lshlrev_b64_e32 v[98:99], v98, v[10:11]
	v_lshlrev_b32_e32 v99, 24, v10
	s_delay_alu instid0(VALU_DEP_1) | instskip(NEXT) | instid1(VALU_DEP_3)
	v_and_b32_e32 v99, 0x80000000, v99
	v_lshlrev_b32_e32 v98, 20, v98
	v_lshl_add_u32 v48, v48, 23, 0x3c000000
	s_delay_alu instid0(VALU_DEP_2) | instskip(NEXT) | instid1(VALU_DEP_1)
	v_and_b32_e32 v98, 0x700000, v98
	v_or3_b32 v48, v98, v99, v48
	s_delay_alu instid0(VALU_DEP_1)
	v_cndmask_b32_e64 v48, 0x7f800001, v48, s10
.LBB2_140:                              ;   in Loop: Header=BB2_128 Depth=2
	s_or_b32 exec_lo, exec_lo, s12
	s_delay_alu instid0(VALU_DEP_1) | instskip(SKIP_1) | instid1(VALU_DEP_1)
	v_mul_f32_e32 v98, v30, v48
                                        ; implicit-def: $vgpr41
	s_mov_b32 s11, exec_lo
	v_and_b32_e32 v48, 0x7f800000, v98
	v_lshrrev_b32_e32 v30, 24, v98
	s_delay_alu instid0(VALU_DEP_2)
	v_cmpx_ne_u64_e32 0x7f800000, v[48:49]
	s_xor_b32 s12, exec_lo, s11
	s_cbranch_execz .LBB2_154
; %bb.141:                              ;   in Loop: Header=BB2_128 Depth=2
	v_and_b32_e32 v48, 0x7fffffff, v98
	v_and_b32_e32 v30, 0x80, v30
                                        ; implicit-def: $vgpr41
	s_mov_b32 s11, exec_lo
	s_delay_alu instid0(VALU_DEP_2)
	v_cmpx_gt_u64_e32 0x43e00001, v[48:49]
	s_xor_b32 s29, exec_lo, s11
	s_cbranch_execz .LBB2_151
; %bb.142:                              ;   in Loop: Header=BB2_128 Depth=2
	v_mov_b32_e32 v41, 0
	s_mov_b32 s40, exec_lo
	v_cmpx_ne_u32_e32 0, v98
	s_cbranch_execz .LBB2_150
; %bb.143:                              ;   in Loop: Header=BB2_128 Depth=2
	v_bfe_u32 v102, v98, 23, 8
	s_delay_alu instid0(VALU_DEP_1) | instskip(SKIP_1) | instid1(VALU_DEP_1)
	v_sub_nc_u32_e32 v48, 0x79, v102
	v_cmp_gt_u32_e64 s10, 0x7a, v102
	v_cndmask_b32_e64 v48, 0, v48, s10
	v_cmp_eq_u32_e64 s10, 0, v102
	s_delay_alu instid0(VALU_DEP_1) | instskip(SKIP_1) | instid1(VALU_DEP_2)
	v_cndmask_b32_e64 v103, v48, 0x78, s10
	v_and_b32_e32 v48, 0x7fffff, v98
	v_add_nc_u32_e32 v98, 20, v103
	s_delay_alu instid0(VALU_DEP_2) | instskip(SKIP_1) | instid1(VALU_DEP_3)
	v_or_b32_e32 v100, 0x800000, v48
	v_add_nc_u32_e32 v101, 19, v103
	v_lshlrev_b64_e64 v[98:99], v98, -1
	s_delay_alu instid0(VALU_DEP_3) | instskip(NEXT) | instid1(VALU_DEP_3)
	v_cndmask_b32_e64 v48, v100, v48, s10
	v_lshlrev_b64_e64 v[100:101], v101, 1
	s_delay_alu instid0(VALU_DEP_3) | instskip(NEXT) | instid1(VALU_DEP_3)
	v_bfi_b32 v43, v99, 0, 0
	v_bfi_b32 v42, v98, 0, v48
	v_lshrrev_b64 v[98:99], v103, v[48:49]
	s_delay_alu instid0(VALU_DEP_2) | instskip(NEXT) | instid1(VALU_DEP_2)
	v_cmp_eq_u64_e64 s11, v[42:43], v[100:101]
	v_mov_b64_e32 v[100:101], v[98:99]
	s_and_saveexec_b32 s41, s11
; %bb.144:                              ;   in Loop: Header=BB2_128 Depth=2
	v_bfe_u32 v48, v98, 20, 1
	s_delay_alu instid0(VALU_DEP_1) | instskip(NEXT) | instid1(VALU_DEP_1)
	v_add_nc_u64_e32 v[100:101], v[98:99], v[48:49]
	v_add_nc_u64_e32 v[100:101], -1, v[100:101]
; %bb.145:                              ;   in Loop: Header=BB2_128 Depth=2
	s_or_b32 exec_lo, exec_lo, s41
	v_add_nc_u32_e32 v48, 0xffffff81, v102
	v_lshrrev_b32_e32 v99, 23, v98
	s_mov_b32 s11, exec_lo
	s_delay_alu instid0(VALU_DEP_2) | instskip(NEXT) | instid1(VALU_DEP_1)
	v_cndmask_b32_e64 v48, v48, 0xffffff82, s10
	v_add3_u32 v101, v103, v48, v99
	v_and_b32_e32 v48, 0xfffff, v100
                                        ; implicit-def: $vgpr100
	s_delay_alu instid0(VALU_DEP_1) | instskip(NEXT) | instid1(VALU_DEP_1)
	v_dual_add_nc_u32 v102, 6, v101 :: v_dual_add_nc_u32 v48, v48, v98
                                        ; implicit-def: $vgpr98_vgpr99
	v_cmpx_ne_u32_e32 0, v102
	s_xor_b32 s11, exec_lo, s11
; %bb.146:                              ;   in Loop: Header=BB2_128 Depth=2
	s_delay_alu instid0(VALU_DEP_2) | instskip(SKIP_1) | instid1(VALU_DEP_1)
	v_cmp_lt_u64_e64 s10, 0xffffff, v[48:49]
	v_add_nc_u32_e32 v98, 7, v101
	v_cndmask_b32_e64 v100, v102, v98, s10
	v_cndmask_b32_e64 v98, 0, 1, s10
	s_delay_alu instid0(VALU_DEP_1)
	v_lshrrev_b64 v[98:99], v98, v[48:49]
; %bb.147:                              ;   in Loop: Header=BB2_128 Depth=2
	s_and_not1_saveexec_b32 s10, s11
; %bb.148:                              ;   in Loop: Header=BB2_128 Depth=2
	v_mov_b64_e32 v[98:99], v[48:49]
	v_bfe_u32 v100, v48, 23, 1
; %bb.149:                              ;   in Loop: Header=BB2_128 Depth=2
	s_or_b32 exec_lo, exec_lo, s10
	s_delay_alu instid0(VALU_DEP_2) | instskip(NEXT) | instid1(VALU_DEP_2)
	v_lshrrev_b64 v[98:99], 20, v[98:99]
	v_cmp_gt_i32_e64 s10, 16, v100
	v_min_i32_e32 v48, 15, v100
	v_cmp_eq_u32_e64 s11, 0, v100
	s_delay_alu instid0(VALU_DEP_2) | instskip(SKIP_1) | instid1(VALU_DEP_2)
	v_dual_cndmask_b32 v99, 0, v99, s10 :: v_dual_lshlrev_b32 v48, 3, v48
	v_cndmask_b32_e64 v98, 7, v98, s10
	v_and_b32_e32 v48, 0xf8, v48
	s_delay_alu instid0(VALU_DEP_2) | instskip(NEXT) | instid1(VALU_DEP_2)
	v_cmp_eq_u64_e64 s10, 0, v[98:99]
	v_and_or_b32 v48, v98, 7, v48
	s_and_b32 s10, s11, s10
	s_delay_alu instid0(VALU_DEP_1) | instid1(SALU_CYCLE_1)
	v_cndmask_b32_e64 v48, v48, 0, s10
	s_delay_alu instid0(VALU_DEP_1)
	v_or_b32_e32 v41, v48, v30
.LBB2_150:                              ;   in Loop: Header=BB2_128 Depth=2
	s_or_b32 exec_lo, exec_lo, s40
                                        ; implicit-def: $vgpr30
.LBB2_151:                              ;   in Loop: Header=BB2_128 Depth=2
	s_and_not1_saveexec_b32 s10, s29
; %bb.152:                              ;   in Loop: Header=BB2_128 Depth=2
	v_or_b32_e32 v41, 0x7e, v30
; %bb.153:                              ;   in Loop: Header=BB2_128 Depth=2
	s_or_b32 exec_lo, exec_lo, s10
                                        ; implicit-def: $vgpr30
.LBB2_154:                              ;   in Loop: Header=BB2_128 Depth=2
	s_and_not1_saveexec_b32 s10, s12
; %bb.155:                              ;   in Loop: Header=BB2_128 Depth=2
	v_or_b32_e32 v41, 0x7f, v30
; %bb.156:                              ;   in Loop: Header=BB2_128 Depth=2
	s_or_b32 exec_lo, exec_lo, s10
	v_lshrrev_b16 v30, 8, v14
	v_mov_b32_e32 v48, 0
	s_mov_b32 s11, exec_lo
	s_delay_alu instid0(VALU_DEP_2)
	v_cmpx_ne_u16_e32 0, v30
	s_cbranch_execz .LBB2_164
; %bb.157:                              ;   in Loop: Header=BB2_128 Depth=2
	v_bfrev_b32_e32 v48, 1
	s_mov_b32 s12, exec_lo
	v_cmpx_ne_u16_e32 0x80, v30
	s_cbranch_execz .LBB2_163
; %bb.158:                              ;   in Loop: Header=BB2_128 Depth=2
	v_and_b32_e32 v30, 0xffff, v30
	v_mov_b32_e32 v48, 0x7f800001
	s_mov_b32 s29, exec_lo
	s_delay_alu instid0(VALU_DEP_2) | instskip(NEXT) | instid1(VALU_DEP_1)
	v_and_b32_e32 v98, 0x7f, v30
	v_cmpx_ne_u32_e32 0x7f, v98
	s_cbranch_execz .LBB2_162
; %bb.159:                              ;   in Loop: Header=BB2_128 Depth=2
	v_and_b32_e32 v48, 7, v30
	v_lshrrev_b32_e32 v30, 3, v98
	s_mov_b32 s40, exec_lo
	v_cmpx_gt_u32_e32 8, v98
; %bb.160:                              ;   in Loop: Header=BB2_128 Depth=2
	s_delay_alu instid0(VALU_DEP_3) | instskip(NEXT) | instid1(VALU_DEP_1)
	v_clz_i32_u32_e32 v30, v48
	v_min_u32_e32 v30, 32, v30
	s_delay_alu instid0(VALU_DEP_1) | instskip(SKIP_1) | instid1(VALU_DEP_2)
	v_subrev_nc_u32_e32 v98, 28, v30
	v_sub_nc_u32_e32 v30, 29, v30
	v_lshlrev_b64_e32 v[98:99], v98, v[48:49]
	s_delay_alu instid0(VALU_DEP_1)
	v_and_b32_e32 v48, 7, v98
; %bb.161:                              ;   in Loop: Header=BB2_128 Depth=2
	s_or_b32 exec_lo, exec_lo, s40
	s_delay_alu instid0(VALU_DEP_1) | instskip(SKIP_1) | instid1(VALU_DEP_2)
	v_dual_lshlrev_b32 v98, 16, v14 :: v_dual_lshlrev_b32 v48, 20, v48
	v_lshl_add_u32 v30, v30, 23, 0x3c000000
	v_and_b32_e32 v98, 0x80000000, v98
	s_delay_alu instid0(VALU_DEP_1)
	v_or3_b32 v48, v48, v98, v30
.LBB2_162:                              ;   in Loop: Header=BB2_128 Depth=2
	s_or_b32 exec_lo, exec_lo, s29
.LBB2_163:                              ;   in Loop: Header=BB2_128 Depth=2
	s_delay_alu instid0(SALU_CYCLE_1)
	s_or_b32 exec_lo, exec_lo, s12
.LBB2_164:                              ;   in Loop: Header=BB2_128 Depth=2
	s_delay_alu instid0(SALU_CYCLE_1) | instskip(SKIP_3) | instid1(VALU_DEP_1)
	s_or_b32 exec_lo, exec_lo, s11
	v_lshrrev_b16 v98, 8, v10
	s_mov_b32 s12, 0
	s_mov_b32 s11, exec_lo
	v_cmpx_lt_i16_e32 0x7f, v98
	s_xor_b32 s11, exec_lo, s11
	s_cbranch_execz .LBB2_171
; %bb.165:                              ;   in Loop: Header=BB2_128 Depth=2
	s_mov_b32 s12, -1
	s_mov_b32 s29, exec_lo
	v_cmpx_eq_u16_e32 0x80, v98
; %bb.166:                              ;   in Loop: Header=BB2_128 Depth=2
	s_xor_b32 s12, exec_lo, -1
; %bb.167:                              ;   in Loop: Header=BB2_128 Depth=2
	s_or_b32 exec_lo, exec_lo, s29
	s_delay_alu instid0(SALU_CYCLE_1)
	s_and_b32 s12, s12, exec_lo
	s_or_saveexec_b32 s11, s11
	v_bfrev_b32_e32 v99, 1
	s_xor_b32 exec_lo, exec_lo, s11
	s_cbranch_execnz .LBB2_172
.LBB2_168:                              ;   in Loop: Header=BB2_128 Depth=2
	s_or_b32 exec_lo, exec_lo, s11
	s_and_saveexec_b32 s11, s12
	s_cbranch_execnz .LBB2_173
	s_branch .LBB2_176
.LBB2_169:                              ;   in Loop: Header=BB2_128 Depth=2
	s_or_saveexec_b32 s12, s12
	v_bfrev_b32_e32 v48, 1
	s_xor_b32 exec_lo, exec_lo, s12
	s_cbranch_execz .LBB2_138
.LBB2_170:                              ;   in Loop: Header=BB2_128 Depth=2
	v_cmp_ne_u16_e64 s10, 0, v98
	v_mov_b32_e32 v48, 0
	s_and_not1_b32 s11, s11, exec_lo
	s_and_b32 s10, s10, exec_lo
	s_delay_alu instid0(SALU_CYCLE_1)
	s_or_b32 s11, s11, s10
	s_or_b32 exec_lo, exec_lo, s12
	s_and_saveexec_b32 s12, s11
	s_cbranch_execnz .LBB2_139
	s_branch .LBB2_140
.LBB2_171:                              ;   in Loop: Header=BB2_128 Depth=2
	s_or_saveexec_b32 s11, s11
	v_bfrev_b32_e32 v99, 1
	s_xor_b32 exec_lo, exec_lo, s11
	s_cbranch_execz .LBB2_168
.LBB2_172:                              ;   in Loop: Header=BB2_128 Depth=2
	v_cmp_ne_u16_e64 s10, 0, v98
	v_mov_b32_e32 v99, 0
	s_and_not1_b32 s12, s12, exec_lo
	s_and_b32 s10, s10, exec_lo
	s_delay_alu instid0(SALU_CYCLE_1)
	s_or_b32 s12, s12, s10
	s_or_b32 exec_lo, exec_lo, s11
	s_and_saveexec_b32 s11, s12
	s_cbranch_execz .LBB2_176
.LBB2_173:                              ;   in Loop: Header=BB2_128 Depth=2
	v_and_b32_e32 v30, 0xffff, v98
	v_mov_b32_e32 v99, 0x7f800001
	s_mov_b32 s12, exec_lo
	s_delay_alu instid0(VALU_DEP_2) | instskip(NEXT) | instid1(VALU_DEP_1)
	v_and_b32_e32 v100, 0x7f, v30
	v_cmpx_ne_u32_e32 0x7f, v100
	s_cbranch_execz .LBB2_175
; %bb.174:                              ;   in Loop: Header=BB2_128 Depth=2
	v_and_b32_e32 v99, 7, v30
	v_cmp_gt_u32_e64 s10, 8, v100
	s_delay_alu instid0(VALU_DEP_2) | instskip(NEXT) | instid1(VALU_DEP_1)
	v_clz_i32_u32_e32 v101, v99
	v_min_u32_e32 v101, 32, v101
	s_delay_alu instid0(VALU_DEP_1) | instskip(NEXT) | instid1(VALU_DEP_1)
	v_subrev_nc_u32_e32 v102, 28, v101
	v_lshlrev_b64_e32 v[102:103], v102, v[30:31]
	v_dual_lshrrev_b32 v30, 3, v100 :: v_dual_sub_nc_u32 v101, 29, v101
	s_delay_alu instid0(VALU_DEP_2) | instskip(NEXT) | instid1(VALU_DEP_2)
	v_and_b32_e32 v100, 7, v102
	v_dual_lshlrev_b32 v98, 24, v98 :: v_dual_cndmask_b32 v30, v30, v101, s10
	s_delay_alu instid0(VALU_DEP_2) | instskip(NEXT) | instid1(VALU_DEP_2)
	v_cndmask_b32_e64 v99, v99, v100, s10
	v_and_b32_e32 v98, 0x80000000, v98
	s_delay_alu instid0(VALU_DEP_3) | instskip(NEXT) | instid1(VALU_DEP_3)
	v_lshl_add_u32 v30, v30, 23, 0x3c000000
	v_lshlrev_b32_e32 v99, 20, v99
	s_delay_alu instid0(VALU_DEP_1)
	v_or3_b32 v99, v99, v98, v30
.LBB2_175:                              ;   in Loop: Header=BB2_128 Depth=2
	s_or_b32 exec_lo, exec_lo, s12
.LBB2_176:                              ;   in Loop: Header=BB2_128 Depth=2
	s_delay_alu instid0(SALU_CYCLE_1) | instskip(NEXT) | instid1(VALU_DEP_1)
	s_or_b32 exec_lo, exec_lo, s11
	v_mul_f32_e32 v98, v48, v99
                                        ; implicit-def: $vgpr42
	s_mov_b32 s11, exec_lo
	s_delay_alu instid0(VALU_DEP_1) | instskip(SKIP_1) | instid1(VALU_DEP_2)
	v_and_b32_e32 v48, 0x7f800000, v98
	v_lshrrev_b32_e32 v30, 24, v98
	v_cmpx_ne_u64_e32 0x7f800000, v[48:49]
	s_xor_b32 s12, exec_lo, s11
	s_cbranch_execz .LBB2_190
; %bb.177:                              ;   in Loop: Header=BB2_128 Depth=2
	v_and_b32_e32 v48, 0x7fffffff, v98
	v_and_b32_e32 v30, 0x80, v30
                                        ; implicit-def: $vgpr42
	s_mov_b32 s11, exec_lo
	s_delay_alu instid0(VALU_DEP_2)
	v_cmpx_gt_u64_e32 0x43e00001, v[48:49]
	s_xor_b32 s29, exec_lo, s11
	s_cbranch_execz .LBB2_187
; %bb.178:                              ;   in Loop: Header=BB2_128 Depth=2
	v_mov_b32_e32 v42, 0
	s_mov_b32 s40, exec_lo
	v_cmpx_ne_u32_e32 0, v98
	s_cbranch_execz .LBB2_186
; %bb.179:                              ;   in Loop: Header=BB2_128 Depth=2
	v_bfe_u32 v102, v98, 23, 8
	s_delay_alu instid0(VALU_DEP_1) | instskip(SKIP_1) | instid1(VALU_DEP_1)
	v_sub_nc_u32_e32 v48, 0x79, v102
	v_cmp_gt_u32_e64 s10, 0x7a, v102
	v_cndmask_b32_e64 v48, 0, v48, s10
	v_cmp_eq_u32_e64 s10, 0, v102
	s_delay_alu instid0(VALU_DEP_1) | instskip(SKIP_1) | instid1(VALU_DEP_2)
	v_cndmask_b32_e64 v103, v48, 0x78, s10
	v_and_b32_e32 v48, 0x7fffff, v98
	v_add_nc_u32_e32 v98, 20, v103
	s_delay_alu instid0(VALU_DEP_2) | instskip(SKIP_1) | instid1(VALU_DEP_3)
	v_or_b32_e32 v100, 0x800000, v48
	v_add_nc_u32_e32 v101, 19, v103
	v_lshlrev_b64_e64 v[98:99], v98, -1
	s_delay_alu instid0(VALU_DEP_3) | instskip(NEXT) | instid1(VALU_DEP_3)
	v_cndmask_b32_e64 v48, v100, v48, s10
	v_lshlrev_b64_e64 v[100:101], v101, 1
	s_delay_alu instid0(VALU_DEP_3) | instskip(NEXT) | instid1(VALU_DEP_3)
	v_bfi_b32 v43, v99, 0, 0
	v_bfi_b32 v42, v98, 0, v48
	v_lshrrev_b64 v[98:99], v103, v[48:49]
	s_delay_alu instid0(VALU_DEP_2) | instskip(NEXT) | instid1(VALU_DEP_2)
	v_cmp_eq_u64_e64 s11, v[42:43], v[100:101]
	v_mov_b64_e32 v[100:101], v[98:99]
	s_and_saveexec_b32 s41, s11
; %bb.180:                              ;   in Loop: Header=BB2_128 Depth=2
	v_bfe_u32 v48, v98, 20, 1
	s_delay_alu instid0(VALU_DEP_1) | instskip(NEXT) | instid1(VALU_DEP_1)
	v_add_nc_u64_e32 v[100:101], v[98:99], v[48:49]
	v_add_nc_u64_e32 v[100:101], -1, v[100:101]
; %bb.181:                              ;   in Loop: Header=BB2_128 Depth=2
	s_or_b32 exec_lo, exec_lo, s41
	v_add_nc_u32_e32 v48, 0xffffff81, v102
	v_lshrrev_b32_e32 v99, 23, v98
	s_mov_b32 s11, exec_lo
	s_delay_alu instid0(VALU_DEP_2) | instskip(NEXT) | instid1(VALU_DEP_1)
	v_cndmask_b32_e64 v48, v48, 0xffffff82, s10
	v_add3_u32 v101, v103, v48, v99
	v_and_b32_e32 v48, 0xfffff, v100
                                        ; implicit-def: $vgpr100
	s_delay_alu instid0(VALU_DEP_1) | instskip(NEXT) | instid1(VALU_DEP_1)
	v_dual_add_nc_u32 v102, 6, v101 :: v_dual_add_nc_u32 v48, v48, v98
                                        ; implicit-def: $vgpr98_vgpr99
	v_cmpx_ne_u32_e32 0, v102
	s_xor_b32 s11, exec_lo, s11
; %bb.182:                              ;   in Loop: Header=BB2_128 Depth=2
	s_delay_alu instid0(VALU_DEP_2) | instskip(SKIP_1) | instid1(VALU_DEP_1)
	v_cmp_lt_u64_e64 s10, 0xffffff, v[48:49]
	v_add_nc_u32_e32 v98, 7, v101
	v_cndmask_b32_e64 v100, v102, v98, s10
	v_cndmask_b32_e64 v98, 0, 1, s10
	s_delay_alu instid0(VALU_DEP_1)
	v_lshrrev_b64 v[98:99], v98, v[48:49]
; %bb.183:                              ;   in Loop: Header=BB2_128 Depth=2
	s_and_not1_saveexec_b32 s10, s11
; %bb.184:                              ;   in Loop: Header=BB2_128 Depth=2
	v_mov_b64_e32 v[98:99], v[48:49]
	v_bfe_u32 v100, v48, 23, 1
; %bb.185:                              ;   in Loop: Header=BB2_128 Depth=2
	s_or_b32 exec_lo, exec_lo, s10
	s_delay_alu instid0(VALU_DEP_2) | instskip(NEXT) | instid1(VALU_DEP_2)
	v_lshrrev_b64 v[98:99], 20, v[98:99]
	v_cmp_gt_i32_e64 s10, 16, v100
	v_min_i32_e32 v48, 15, v100
	v_cmp_eq_u32_e64 s11, 0, v100
	s_delay_alu instid0(VALU_DEP_2) | instskip(SKIP_1) | instid1(VALU_DEP_2)
	v_dual_cndmask_b32 v99, 0, v99, s10 :: v_dual_lshlrev_b32 v48, 3, v48
	v_cndmask_b32_e64 v98, 7, v98, s10
	v_and_b32_e32 v48, 0xf8, v48
	s_delay_alu instid0(VALU_DEP_2) | instskip(NEXT) | instid1(VALU_DEP_2)
	v_cmp_eq_u64_e64 s10, 0, v[98:99]
	v_and_or_b32 v48, v98, 7, v48
	s_and_b32 s10, s11, s10
	s_delay_alu instid0(VALU_DEP_1) | instid1(SALU_CYCLE_1)
	v_cndmask_b32_e64 v48, v48, 0, s10
	s_delay_alu instid0(VALU_DEP_1)
	v_or_b32_e32 v42, v48, v30
.LBB2_186:                              ;   in Loop: Header=BB2_128 Depth=2
	s_or_b32 exec_lo, exec_lo, s40
                                        ; implicit-def: $vgpr30
.LBB2_187:                              ;   in Loop: Header=BB2_128 Depth=2
	s_and_not1_saveexec_b32 s10, s29
; %bb.188:                              ;   in Loop: Header=BB2_128 Depth=2
	v_or_b32_e32 v42, 0x7e, v30
; %bb.189:                              ;   in Loop: Header=BB2_128 Depth=2
	s_or_b32 exec_lo, exec_lo, s10
                                        ; implicit-def: $vgpr30
.LBB2_190:                              ;   in Loop: Header=BB2_128 Depth=2
	s_and_not1_saveexec_b32 s10, s12
; %bb.191:                              ;   in Loop: Header=BB2_128 Depth=2
	v_or_b32_e32 v42, 0x7f, v30
; %bb.192:                              ;   in Loop: Header=BB2_128 Depth=2
	s_or_b32 exec_lo, exec_lo, s10
	v_dual_lshrrev_b32 v30, 16, v14 :: v_dual_mov_b32 v48, 0
	s_mov_b32 s11, exec_lo
	s_delay_alu instid0(VALU_DEP_1) | instskip(NEXT) | instid1(VALU_DEP_1)
	v_and_b32_e32 v98, 0xff, v30
	v_cmpx_ne_u16_e32 0, v98
	s_cbranch_execz .LBB2_200
; %bb.193:                              ;   in Loop: Header=BB2_128 Depth=2
	v_bfrev_b32_e32 v48, 1
	s_mov_b32 s12, exec_lo
	v_cmpx_ne_u16_e32 0x80, v98
	s_cbranch_execz .LBB2_199
; %bb.194:                              ;   in Loop: Header=BB2_128 Depth=2
	v_bfe_u32 v99, v14, 16, 7
	v_mov_b32_e32 v48, 0x7f800001
	s_mov_b32 s29, exec_lo
	s_delay_alu instid0(VALU_DEP_2)
	v_cmpx_ne_u32_e32 0x7f, v99
	s_cbranch_execz .LBB2_198
; %bb.195:                              ;   in Loop: Header=BB2_128 Depth=2
	v_dual_lshrrev_b32 v98, 3, v99 :: v_dual_bitop2_b32 v48, 7, v30 bitop3:0x40
	s_mov_b32 s40, exec_lo
	v_cmpx_gt_u32_e32 8, v99
; %bb.196:                              ;   in Loop: Header=BB2_128 Depth=2
	s_delay_alu instid0(VALU_DEP_2) | instskip(NEXT) | instid1(VALU_DEP_1)
	v_clz_i32_u32_e32 v98, v48
	v_min_u32_e32 v98, 32, v98
	s_delay_alu instid0(VALU_DEP_1) | instskip(NEXT) | instid1(VALU_DEP_1)
	v_subrev_nc_u32_e32 v99, 28, v98
	v_lshlrev_b64_e32 v[100:101], v99, v[48:49]
	s_delay_alu instid0(VALU_DEP_1)
	v_dual_sub_nc_u32 v98, 29, v98 :: v_dual_bitop2_b32 v48, 7, v100 bitop3:0x40
; %bb.197:                              ;   in Loop: Header=BB2_128 Depth=2
	s_or_b32 exec_lo, exec_lo, s40
	s_delay_alu instid0(VALU_DEP_1) | instskip(NEXT) | instid1(VALU_DEP_2)
	v_dual_lshlrev_b32 v30, 24, v30 :: v_dual_lshlrev_b32 v48, 20, v48
	v_lshl_add_u32 v98, v98, 23, 0x3c000000
	s_delay_alu instid0(VALU_DEP_2) | instskip(NEXT) | instid1(VALU_DEP_1)
	v_and_b32_e32 v30, 0x80000000, v30
	v_or3_b32 v48, v48, v30, v98
.LBB2_198:                              ;   in Loop: Header=BB2_128 Depth=2
	s_or_b32 exec_lo, exec_lo, s29
.LBB2_199:                              ;   in Loop: Header=BB2_128 Depth=2
	s_delay_alu instid0(SALU_CYCLE_1)
	s_or_b32 exec_lo, exec_lo, s12
.LBB2_200:                              ;   in Loop: Header=BB2_128 Depth=2
	s_delay_alu instid0(SALU_CYCLE_1) | instskip(SKIP_3) | instid1(VALU_DEP_1)
	s_or_b32 exec_lo, exec_lo, s11
	v_lshrrev_b32_e32 v30, 16, v10
	s_mov_b32 s12, 0
	s_mov_b32 s11, exec_lo
	v_and_b32_e32 v99, 0xff, v30
	s_delay_alu instid0(VALU_DEP_1)
	v_cmpx_lt_i16_e32 0x7f, v99
	s_xor_b32 s11, exec_lo, s11
	s_cbranch_execz .LBB2_205
; %bb.201:                              ;   in Loop: Header=BB2_128 Depth=2
	s_mov_b32 s12, -1
	s_mov_b32 s29, exec_lo
	v_cmpx_eq_u16_e32 0x80, v99
; %bb.202:                              ;   in Loop: Header=BB2_128 Depth=2
	s_xor_b32 s12, exec_lo, -1
; %bb.203:                              ;   in Loop: Header=BB2_128 Depth=2
	s_or_b32 exec_lo, exec_lo, s29
	s_delay_alu instid0(SALU_CYCLE_1)
	s_and_b32 s12, s12, exec_lo
                                        ; implicit-def: $vgpr99
	s_or_saveexec_b32 s11, s11
	v_bfrev_b32_e32 v98, 1
	s_xor_b32 exec_lo, exec_lo, s11
	s_cbranch_execnz .LBB2_206
.LBB2_204:                              ;   in Loop: Header=BB2_128 Depth=2
	s_or_b32 exec_lo, exec_lo, s11
	s_and_saveexec_b32 s11, s12
	s_cbranch_execnz .LBB2_207
	s_branch .LBB2_210
.LBB2_205:                              ;   in Loop: Header=BB2_128 Depth=2
	s_or_saveexec_b32 s11, s11
	v_bfrev_b32_e32 v98, 1
	s_xor_b32 exec_lo, exec_lo, s11
	s_cbranch_execz .LBB2_204
.LBB2_206:                              ;   in Loop: Header=BB2_128 Depth=2
	v_cmp_ne_u16_e64 s10, 0, v99
	v_mov_b32_e32 v98, 0
	s_and_not1_b32 s12, s12, exec_lo
	s_and_b32 s10, s10, exec_lo
	s_delay_alu instid0(SALU_CYCLE_1)
	s_or_b32 s12, s12, s10
	s_or_b32 exec_lo, exec_lo, s11
	s_and_saveexec_b32 s11, s12
	s_cbranch_execz .LBB2_210
.LBB2_207:                              ;   in Loop: Header=BB2_128 Depth=2
	v_and_b32_e32 v99, 0x7f, v30
	v_mov_b32_e32 v98, 0x7f800001
	s_mov_b32 s12, exec_lo
	s_delay_alu instid0(VALU_DEP_2)
	v_cmpx_ne_u32_e32 0x7f, v99
	s_cbranch_execz .LBB2_209
; %bb.208:                              ;   in Loop: Header=BB2_128 Depth=2
	v_and_b32_e32 v98, 7, v30
	v_cmp_gt_u32_e64 s10, 8, v99
	s_delay_alu instid0(VALU_DEP_2) | instskip(NEXT) | instid1(VALU_DEP_1)
	v_clz_i32_u32_e32 v100, v98
	v_min_u32_e32 v102, 32, v100
	s_delay_alu instid0(VALU_DEP_1) | instskip(NEXT) | instid1(VALU_DEP_1)
	v_subrev_nc_u32_e32 v100, 28, v102
	v_lshlrev_b64_e32 v[100:101], v100, v[30:31]
	v_dual_lshrrev_b32 v101, 3, v99 :: v_dual_sub_nc_u32 v102, 29, v102
	s_delay_alu instid0(VALU_DEP_2) | instskip(NEXT) | instid1(VALU_DEP_1)
	v_dual_lshlrev_b32 v30, 24, v30 :: v_dual_bitop2_b32 v99, 7, v100 bitop3:0x40
	v_dual_cndmask_b32 v100, v101, v102, s10 :: v_dual_cndmask_b32 v98, v98, v99, s10
	s_delay_alu instid0(VALU_DEP_2) | instskip(NEXT) | instid1(VALU_DEP_2)
	v_and_b32_e32 v30, 0x80000000, v30
	v_lshl_add_u32 v99, v100, 23, 0x3c000000
	s_delay_alu instid0(VALU_DEP_3) | instskip(NEXT) | instid1(VALU_DEP_1)
	v_lshlrev_b32_e32 v98, 20, v98
	v_or3_b32 v98, v98, v30, v99
.LBB2_209:                              ;   in Loop: Header=BB2_128 Depth=2
	s_or_b32 exec_lo, exec_lo, s12
.LBB2_210:                              ;   in Loop: Header=BB2_128 Depth=2
	s_delay_alu instid0(SALU_CYCLE_1) | instskip(NEXT) | instid1(VALU_DEP_1)
	s_or_b32 exec_lo, exec_lo, s11
	v_mul_f32_e32 v98, v48, v98
                                        ; implicit-def: $vgpr43
	s_mov_b32 s11, exec_lo
	s_delay_alu instid0(VALU_DEP_1) | instskip(SKIP_1) | instid1(VALU_DEP_2)
	v_and_b32_e32 v48, 0x7f800000, v98
	v_lshrrev_b32_e32 v30, 24, v98
	v_cmpx_ne_u64_e32 0x7f800000, v[48:49]
	s_xor_b32 s12, exec_lo, s11
	s_cbranch_execz .LBB2_224
; %bb.211:                              ;   in Loop: Header=BB2_128 Depth=2
	v_and_b32_e32 v48, 0x7fffffff, v98
	v_and_b32_e32 v30, 0x80, v30
                                        ; implicit-def: $vgpr43
	s_mov_b32 s11, exec_lo
	s_delay_alu instid0(VALU_DEP_2)
	v_cmpx_gt_u64_e32 0x43e00001, v[48:49]
	s_xor_b32 s29, exec_lo, s11
	s_cbranch_execz .LBB2_221
; %bb.212:                              ;   in Loop: Header=BB2_128 Depth=2
	v_mov_b32_e32 v43, 0
	s_mov_b32 s40, exec_lo
	v_cmpx_ne_u32_e32 0, v98
	s_cbranch_execz .LBB2_220
; %bb.213:                              ;   in Loop: Header=BB2_128 Depth=2
	v_bfe_u32 v102, v98, 23, 8
	s_delay_alu instid0(VALU_DEP_1) | instskip(SKIP_1) | instid1(VALU_DEP_1)
	v_sub_nc_u32_e32 v48, 0x79, v102
	v_cmp_gt_u32_e64 s10, 0x7a, v102
	v_cndmask_b32_e64 v48, 0, v48, s10
	v_cmp_eq_u32_e64 s10, 0, v102
	s_delay_alu instid0(VALU_DEP_1) | instskip(SKIP_1) | instid1(VALU_DEP_2)
	v_cndmask_b32_e64 v103, v48, 0x78, s10
	v_and_b32_e32 v48, 0x7fffff, v98
	v_add_nc_u32_e32 v98, 20, v103
	s_delay_alu instid0(VALU_DEP_2) | instskip(SKIP_1) | instid1(VALU_DEP_3)
	v_or_b32_e32 v100, 0x800000, v48
	v_add_nc_u32_e32 v101, 19, v103
	v_lshlrev_b64_e64 v[98:99], v98, -1
	s_delay_alu instid0(VALU_DEP_3) | instskip(NEXT) | instid1(VALU_DEP_3)
	v_cndmask_b32_e64 v48, v100, v48, s10
	v_lshlrev_b64_e64 v[100:101], v101, 1
	s_delay_alu instid0(VALU_DEP_3) | instskip(NEXT) | instid1(VALU_DEP_3)
	v_bfi_b32 v45, v99, 0, 0
	v_bfi_b32 v44, v98, 0, v48
	v_lshrrev_b64 v[98:99], v103, v[48:49]
	s_delay_alu instid0(VALU_DEP_2) | instskip(NEXT) | instid1(VALU_DEP_2)
	v_cmp_eq_u64_e64 s11, v[44:45], v[100:101]
	v_mov_b64_e32 v[100:101], v[98:99]
	s_and_saveexec_b32 s41, s11
; %bb.214:                              ;   in Loop: Header=BB2_128 Depth=2
	v_bfe_u32 v48, v98, 20, 1
	s_delay_alu instid0(VALU_DEP_1) | instskip(NEXT) | instid1(VALU_DEP_1)
	v_add_nc_u64_e32 v[100:101], v[98:99], v[48:49]
	v_add_nc_u64_e32 v[100:101], -1, v[100:101]
; %bb.215:                              ;   in Loop: Header=BB2_128 Depth=2
	s_or_b32 exec_lo, exec_lo, s41
	v_add_nc_u32_e32 v48, 0xffffff81, v102
	v_lshrrev_b32_e32 v99, 23, v98
	s_mov_b32 s11, exec_lo
	s_delay_alu instid0(VALU_DEP_2) | instskip(NEXT) | instid1(VALU_DEP_1)
	v_cndmask_b32_e64 v48, v48, 0xffffff82, s10
	v_add3_u32 v101, v103, v48, v99
	v_and_b32_e32 v48, 0xfffff, v100
                                        ; implicit-def: $vgpr100
	s_delay_alu instid0(VALU_DEP_1) | instskip(NEXT) | instid1(VALU_DEP_1)
	v_dual_add_nc_u32 v102, 6, v101 :: v_dual_add_nc_u32 v48, v48, v98
                                        ; implicit-def: $vgpr98_vgpr99
	v_cmpx_ne_u32_e32 0, v102
	s_xor_b32 s11, exec_lo, s11
; %bb.216:                              ;   in Loop: Header=BB2_128 Depth=2
	s_delay_alu instid0(VALU_DEP_2) | instskip(SKIP_1) | instid1(VALU_DEP_1)
	v_cmp_lt_u64_e64 s10, 0xffffff, v[48:49]
	v_add_nc_u32_e32 v98, 7, v101
	v_cndmask_b32_e64 v100, v102, v98, s10
	v_cndmask_b32_e64 v98, 0, 1, s10
	s_delay_alu instid0(VALU_DEP_1)
	v_lshrrev_b64 v[98:99], v98, v[48:49]
; %bb.217:                              ;   in Loop: Header=BB2_128 Depth=2
	s_and_not1_saveexec_b32 s10, s11
; %bb.218:                              ;   in Loop: Header=BB2_128 Depth=2
	v_mov_b64_e32 v[98:99], v[48:49]
	v_bfe_u32 v100, v48, 23, 1
; %bb.219:                              ;   in Loop: Header=BB2_128 Depth=2
	s_or_b32 exec_lo, exec_lo, s10
	s_delay_alu instid0(VALU_DEP_2) | instskip(NEXT) | instid1(VALU_DEP_2)
	v_lshrrev_b64 v[98:99], 20, v[98:99]
	v_cmp_gt_i32_e64 s10, 16, v100
	v_min_i32_e32 v48, 15, v100
	v_cmp_eq_u32_e64 s11, 0, v100
	s_delay_alu instid0(VALU_DEP_2) | instskip(SKIP_1) | instid1(VALU_DEP_2)
	v_dual_cndmask_b32 v99, 0, v99, s10 :: v_dual_lshlrev_b32 v48, 3, v48
	v_cndmask_b32_e64 v98, 7, v98, s10
	v_and_b32_e32 v48, 0xf8, v48
	s_delay_alu instid0(VALU_DEP_2) | instskip(NEXT) | instid1(VALU_DEP_2)
	v_cmp_eq_u64_e64 s10, 0, v[98:99]
	v_and_or_b32 v48, v98, 7, v48
	s_and_b32 s10, s11, s10
	s_delay_alu instid0(VALU_DEP_1) | instid1(SALU_CYCLE_1)
	v_cndmask_b32_e64 v48, v48, 0, s10
	s_delay_alu instid0(VALU_DEP_1)
	v_or_b32_e32 v43, v48, v30
.LBB2_220:                              ;   in Loop: Header=BB2_128 Depth=2
	s_or_b32 exec_lo, exec_lo, s40
                                        ; implicit-def: $vgpr30
.LBB2_221:                              ;   in Loop: Header=BB2_128 Depth=2
	s_and_not1_saveexec_b32 s10, s29
; %bb.222:                              ;   in Loop: Header=BB2_128 Depth=2
	v_or_b32_e32 v43, 0x7e, v30
; %bb.223:                              ;   in Loop: Header=BB2_128 Depth=2
	s_or_b32 exec_lo, exec_lo, s10
                                        ; implicit-def: $vgpr30
.LBB2_224:                              ;   in Loop: Header=BB2_128 Depth=2
	s_and_not1_saveexec_b32 s10, s12
; %bb.225:                              ;   in Loop: Header=BB2_128 Depth=2
	v_or_b32_e32 v43, 0x7f, v30
; %bb.226:                              ;   in Loop: Header=BB2_128 Depth=2
	s_or_b32 exec_lo, exec_lo, s10
	v_mov_b32_e32 v48, 0
	s_mov_b32 s11, exec_lo
	v_cmpx_lt_u32_e32 0xffffff, v14
	s_cbranch_execz .LBB2_234
; %bb.227:                              ;   in Loop: Header=BB2_128 Depth=2
	v_lshrrev_b32_e32 v30, 24, v14
	v_bfrev_b32_e32 v48, 1
	s_mov_b32 s12, exec_lo
	s_delay_alu instid0(VALU_DEP_2)
	v_cmpx_ne_u32_e32 0x80, v30
	s_cbranch_execz .LBB2_233
; %bb.228:                              ;   in Loop: Header=BB2_128 Depth=2
	v_bfe_u32 v99, v14, 24, 7
	v_mov_b32_e32 v48, 0x7f800001
	s_mov_b32 s29, exec_lo
	s_delay_alu instid0(VALU_DEP_2)
	v_cmpx_ne_u32_e32 0x7f, v99
	s_cbranch_execz .LBB2_232
; %bb.229:                              ;   in Loop: Header=BB2_128 Depth=2
	v_dual_lshrrev_b32 v98, 3, v99 :: v_dual_bitop2_b32 v48, 7, v30 bitop3:0x40
	s_mov_b32 s40, exec_lo
	v_cmpx_gt_u32_e32 8, v99
; %bb.230:                              ;   in Loop: Header=BB2_128 Depth=2
	s_delay_alu instid0(VALU_DEP_2) | instskip(NEXT) | instid1(VALU_DEP_1)
	v_clz_i32_u32_e32 v98, v48
	v_min_u32_e32 v98, 32, v98
	s_delay_alu instid0(VALU_DEP_1) | instskip(NEXT) | instid1(VALU_DEP_1)
	v_subrev_nc_u32_e32 v99, 28, v98
	v_lshlrev_b64_e32 v[100:101], v99, v[48:49]
	s_delay_alu instid0(VALU_DEP_1)
	v_dual_sub_nc_u32 v98, 29, v98 :: v_dual_bitop2_b32 v48, 7, v100 bitop3:0x40
; %bb.231:                              ;   in Loop: Header=BB2_128 Depth=2
	s_or_b32 exec_lo, exec_lo, s40
	s_delay_alu instid0(VALU_DEP_1) | instskip(NEXT) | instid1(VALU_DEP_2)
	v_dual_lshlrev_b32 v30, 24, v30 :: v_dual_lshlrev_b32 v48, 20, v48
	v_lshl_add_u32 v98, v98, 23, 0x3c000000
	s_delay_alu instid0(VALU_DEP_2) | instskip(NEXT) | instid1(VALU_DEP_1)
	v_and_b32_e32 v30, 0x80000000, v30
	v_or3_b32 v48, v48, v30, v98
.LBB2_232:                              ;   in Loop: Header=BB2_128 Depth=2
	s_or_b32 exec_lo, exec_lo, s29
.LBB2_233:                              ;   in Loop: Header=BB2_128 Depth=2
	s_delay_alu instid0(SALU_CYCLE_1)
	s_or_b32 exec_lo, exec_lo, s12
.LBB2_234:                              ;   in Loop: Header=BB2_128 Depth=2
	s_delay_alu instid0(SALU_CYCLE_1) | instskip(SKIP_3) | instid1(VALU_DEP_3)
	s_or_b32 exec_lo, exec_lo, s11
	v_lshrrev_b32_e32 v30, 24, v10
	v_bfe_u32 v98, v10, 24, 7
	v_cmp_gt_u32_e64 s12, 0x1000000, v10
	v_cmp_eq_u32_e64 s10, 0x80, v30
	s_delay_alu instid0(VALU_DEP_3) | instskip(NEXT) | instid1(VALU_DEP_2)
	v_cmp_eq_u32_e64 s11, 0x7f, v98
	v_cndmask_b32_e64 v99, 0x7f800001, v118, s10
	s_or_b32 s10, s10, s11
	s_delay_alu instid0(SALU_CYCLE_1) | instskip(NEXT) | instid1(VALU_DEP_1)
	s_nor_b32 s10, s12, s10
	v_cndmask_b32_e64 v99, v99, 0, s12
	s_and_saveexec_b32 s11, s10
	s_cbranch_execz .LBB2_236
; %bb.235:                              ;   in Loop: Header=BB2_128 Depth=2
	v_and_b32_e32 v99, 7, v30
	v_cmp_gt_u32_e64 s10, 8, v98
	s_delay_alu instid0(VALU_DEP_2) | instskip(NEXT) | instid1(VALU_DEP_1)
	v_clz_i32_u32_e32 v100, v99
	v_min_u32_e32 v102, 32, v100
	s_delay_alu instid0(VALU_DEP_1) | instskip(SKIP_1) | instid1(VALU_DEP_2)
	v_subrev_nc_u32_e32 v100, 28, v102
	v_sub_nc_u32_e32 v102, 29, v102
	v_lshlrev_b64_e32 v[100:101], v100, v[30:31]
	v_lshrrev_b32_e32 v101, 3, v98
	v_lshlrev_b32_e32 v30, 24, v30
	s_delay_alu instid0(VALU_DEP_1) | instskip(NEXT) | instid1(VALU_DEP_3)
	v_and_b32_e32 v30, 0x80000000, v30
	v_dual_cndmask_b32 v100, v101, v102, s10 :: v_dual_bitop2_b32 v98, 7, v100 bitop3:0x40
	s_delay_alu instid0(VALU_DEP_1) | instskip(NEXT) | instid1(VALU_DEP_2)
	v_cndmask_b32_e64 v98, v99, v98, s10
	v_lshl_add_u32 v99, v100, 23, 0x3c000000
	s_delay_alu instid0(VALU_DEP_2) | instskip(NEXT) | instid1(VALU_DEP_1)
	v_lshlrev_b32_e32 v98, 20, v98
	v_or3_b32 v99, v98, v30, v99
.LBB2_236:                              ;   in Loop: Header=BB2_128 Depth=2
	s_or_b32 exec_lo, exec_lo, s11
	s_delay_alu instid0(VALU_DEP_1) | instskip(SKIP_1) | instid1(VALU_DEP_1)
	v_mul_f32_e32 v98, v48, v99
                                        ; implicit-def: $vgpr44
	s_mov_b32 s11, exec_lo
	v_and_b32_e32 v48, 0x7f800000, v98
	v_lshrrev_b32_e32 v30, 24, v98
	s_delay_alu instid0(VALU_DEP_2)
	v_cmpx_ne_u64_e32 0x7f800000, v[48:49]
	s_xor_b32 s12, exec_lo, s11
	s_cbranch_execz .LBB2_250
; %bb.237:                              ;   in Loop: Header=BB2_128 Depth=2
	v_and_b32_e32 v48, 0x7fffffff, v98
	v_and_b32_e32 v30, 0x80, v30
                                        ; implicit-def: $vgpr44
	s_mov_b32 s11, exec_lo
	s_delay_alu instid0(VALU_DEP_2)
	v_cmpx_gt_u64_e32 0x43e00001, v[48:49]
	s_xor_b32 s29, exec_lo, s11
	s_cbranch_execz .LBB2_247
; %bb.238:                              ;   in Loop: Header=BB2_128 Depth=2
	v_mov_b32_e32 v44, 0
	s_mov_b32 s40, exec_lo
	v_cmpx_ne_u32_e32 0, v98
	s_cbranch_execz .LBB2_246
; %bb.239:                              ;   in Loop: Header=BB2_128 Depth=2
	v_bfe_u32 v102, v98, 23, 8
	s_delay_alu instid0(VALU_DEP_1) | instskip(SKIP_1) | instid1(VALU_DEP_1)
	v_sub_nc_u32_e32 v48, 0x79, v102
	v_cmp_gt_u32_e64 s10, 0x7a, v102
	v_cndmask_b32_e64 v48, 0, v48, s10
	v_cmp_eq_u32_e64 s10, 0, v102
	s_delay_alu instid0(VALU_DEP_1) | instskip(SKIP_1) | instid1(VALU_DEP_2)
	v_cndmask_b32_e64 v103, v48, 0x78, s10
	v_and_b32_e32 v48, 0x7fffff, v98
	v_add_nc_u32_e32 v98, 20, v103
	s_delay_alu instid0(VALU_DEP_2) | instskip(SKIP_1) | instid1(VALU_DEP_3)
	v_or_b32_e32 v100, 0x800000, v48
	v_add_nc_u32_e32 v101, 19, v103
	v_lshlrev_b64_e64 v[98:99], v98, -1
	s_delay_alu instid0(VALU_DEP_3) | instskip(NEXT) | instid1(VALU_DEP_3)
	v_cndmask_b32_e64 v48, v100, v48, s10
	v_lshlrev_b64_e64 v[100:101], v101, 1
	s_delay_alu instid0(VALU_DEP_3) | instskip(NEXT) | instid1(VALU_DEP_3)
	v_bfi_b32 v45, v99, 0, 0
	v_bfi_b32 v44, v98, 0, v48
	v_lshrrev_b64 v[98:99], v103, v[48:49]
	s_delay_alu instid0(VALU_DEP_2) | instskip(NEXT) | instid1(VALU_DEP_2)
	v_cmp_eq_u64_e64 s11, v[44:45], v[100:101]
	v_mov_b64_e32 v[100:101], v[98:99]
	s_and_saveexec_b32 s41, s11
; %bb.240:                              ;   in Loop: Header=BB2_128 Depth=2
	v_bfe_u32 v48, v98, 20, 1
	s_delay_alu instid0(VALU_DEP_1) | instskip(NEXT) | instid1(VALU_DEP_1)
	v_add_nc_u64_e32 v[100:101], v[98:99], v[48:49]
	v_add_nc_u64_e32 v[100:101], -1, v[100:101]
; %bb.241:                              ;   in Loop: Header=BB2_128 Depth=2
	s_or_b32 exec_lo, exec_lo, s41
	v_add_nc_u32_e32 v48, 0xffffff81, v102
	v_lshrrev_b32_e32 v99, 23, v98
	s_mov_b32 s11, exec_lo
	s_delay_alu instid0(VALU_DEP_2) | instskip(NEXT) | instid1(VALU_DEP_1)
	v_cndmask_b32_e64 v48, v48, 0xffffff82, s10
	v_add3_u32 v101, v103, v48, v99
	v_and_b32_e32 v48, 0xfffff, v100
                                        ; implicit-def: $vgpr100
	s_delay_alu instid0(VALU_DEP_1) | instskip(NEXT) | instid1(VALU_DEP_1)
	v_dual_add_nc_u32 v102, 6, v101 :: v_dual_add_nc_u32 v48, v48, v98
                                        ; implicit-def: $vgpr98_vgpr99
	v_cmpx_ne_u32_e32 0, v102
	s_xor_b32 s11, exec_lo, s11
; %bb.242:                              ;   in Loop: Header=BB2_128 Depth=2
	s_delay_alu instid0(VALU_DEP_2) | instskip(SKIP_1) | instid1(VALU_DEP_1)
	v_cmp_lt_u64_e64 s10, 0xffffff, v[48:49]
	v_add_nc_u32_e32 v98, 7, v101
	v_cndmask_b32_e64 v100, v102, v98, s10
	v_cndmask_b32_e64 v98, 0, 1, s10
	s_delay_alu instid0(VALU_DEP_1)
	v_lshrrev_b64 v[98:99], v98, v[48:49]
; %bb.243:                              ;   in Loop: Header=BB2_128 Depth=2
	s_and_not1_saveexec_b32 s10, s11
; %bb.244:                              ;   in Loop: Header=BB2_128 Depth=2
	v_mov_b64_e32 v[98:99], v[48:49]
	v_bfe_u32 v100, v48, 23, 1
; %bb.245:                              ;   in Loop: Header=BB2_128 Depth=2
	s_or_b32 exec_lo, exec_lo, s10
	s_delay_alu instid0(VALU_DEP_2) | instskip(NEXT) | instid1(VALU_DEP_2)
	v_lshrrev_b64 v[98:99], 20, v[98:99]
	v_cmp_gt_i32_e64 s10, 16, v100
	v_min_i32_e32 v48, 15, v100
	v_cmp_eq_u32_e64 s11, 0, v100
	s_delay_alu instid0(VALU_DEP_2) | instskip(SKIP_1) | instid1(VALU_DEP_2)
	v_dual_cndmask_b32 v99, 0, v99, s10 :: v_dual_lshlrev_b32 v48, 3, v48
	v_cndmask_b32_e64 v98, 7, v98, s10
	v_and_b32_e32 v48, 0xf8, v48
	s_delay_alu instid0(VALU_DEP_2) | instskip(NEXT) | instid1(VALU_DEP_2)
	v_cmp_eq_u64_e64 s10, 0, v[98:99]
	v_and_or_b32 v48, v98, 7, v48
	s_and_b32 s10, s11, s10
	s_delay_alu instid0(VALU_DEP_1) | instid1(SALU_CYCLE_1)
	v_cndmask_b32_e64 v48, v48, 0, s10
	s_delay_alu instid0(VALU_DEP_1)
	v_or_b32_e32 v44, v48, v30
.LBB2_246:                              ;   in Loop: Header=BB2_128 Depth=2
	s_or_b32 exec_lo, exec_lo, s40
                                        ; implicit-def: $vgpr30
.LBB2_247:                              ;   in Loop: Header=BB2_128 Depth=2
	s_and_not1_saveexec_b32 s10, s29
; %bb.248:                              ;   in Loop: Header=BB2_128 Depth=2
	v_or_b32_e32 v44, 0x7e, v30
; %bb.249:                              ;   in Loop: Header=BB2_128 Depth=2
	s_or_b32 exec_lo, exec_lo, s10
                                        ; implicit-def: $vgpr30
.LBB2_250:                              ;   in Loop: Header=BB2_128 Depth=2
	s_and_not1_saveexec_b32 s10, s12
; %bb.251:                              ;   in Loop: Header=BB2_128 Depth=2
	v_or_b32_e32 v44, 0x7f, v30
; %bb.252:                              ;   in Loop: Header=BB2_128 Depth=2
	s_or_b32 exec_lo, exec_lo, s10
	v_and_b32_e32 v98, 0xff, v15
	v_dual_mov_b32 v48, v15 :: v_dual_mov_b32 v30, 0
	s_mov_b32 s11, exec_lo
	s_delay_alu instid0(VALU_DEP_2)
	v_cmpx_ne_u16_e32 0, v98
	s_cbranch_execz .LBB2_258
; %bb.253:                              ;   in Loop: Header=BB2_128 Depth=2
	v_bfrev_b32_e32 v30, 1
	s_mov_b32 s12, exec_lo
	v_cmpx_ne_u16_e32 0x80, v98
	s_cbranch_execz .LBB2_257
; %bb.254:                              ;   in Loop: Header=BB2_128 Depth=2
	v_and_b32_e32 v98, 0x7f, v15
	v_mov_b32_e32 v30, 0x7f800001
	s_mov_b32 s29, exec_lo
	s_delay_alu instid0(VALU_DEP_2)
	v_cmpx_ne_u32_e32 0x7f, v98
	s_cbranch_execz .LBB2_256
; %bb.255:                              ;   in Loop: Header=BB2_128 Depth=2
	v_dual_lshrrev_b32 v99, 3, v98 :: v_dual_bitop2_b32 v30, 7, v15 bitop3:0x40
	v_cmp_gt_u32_e64 s10, 8, v98
	s_delay_alu instid0(VALU_DEP_2) | instskip(NEXT) | instid1(VALU_DEP_1)
	v_clz_i32_u32_e32 v30, v30
	v_min_u32_e32 v30, 32, v30
	s_delay_alu instid0(VALU_DEP_1) | instskip(NEXT) | instid1(VALU_DEP_1)
	v_subrev_nc_u32_e32 v100, 28, v30
	v_dual_sub_nc_u32 v30, 29, v30 :: v_dual_cndmask_b32 v98, 0, v100, s10
	s_delay_alu instid0(VALU_DEP_1) | instskip(NEXT) | instid1(VALU_DEP_2)
	v_cndmask_b32_e64 v30, v99, v30, s10
	v_lshlrev_b64_e32 v[98:99], v98, v[48:49]
	v_lshlrev_b32_e32 v99, 24, v48
	s_delay_alu instid0(VALU_DEP_3) | instskip(NEXT) | instid1(VALU_DEP_2)
	v_lshl_add_u32 v30, v30, 23, 0x3c000000
	v_and_b32_e32 v99, 0x80000000, v99
	s_delay_alu instid0(VALU_DEP_4) | instskip(NEXT) | instid1(VALU_DEP_1)
	v_lshlrev_b32_e32 v98, 20, v98
	v_and_b32_e32 v98, 0x700000, v98
	s_delay_alu instid0(VALU_DEP_1)
	v_or3_b32 v30, v98, v99, v30
.LBB2_256:                              ;   in Loop: Header=BB2_128 Depth=2
	s_or_b32 exec_lo, exec_lo, s29
.LBB2_257:                              ;   in Loop: Header=BB2_128 Depth=2
	s_delay_alu instid0(SALU_CYCLE_1)
	s_or_b32 exec_lo, exec_lo, s12
.LBB2_258:                              ;   in Loop: Header=BB2_128 Depth=2
	s_delay_alu instid0(SALU_CYCLE_1) | instskip(SKIP_4) | instid1(VALU_DEP_2)
	s_or_b32 exec_lo, exec_lo, s11
	v_and_b32_e32 v99, 0xff, v11
	v_mov_b32_e32 v98, v11
	s_mov_b32 s11, 0
	s_mov_b32 s12, exec_lo
	v_cmpx_lt_i16_e32 0x7f, v99
	s_xor_b32 s12, exec_lo, s12
	s_cbranch_execz .LBB2_293
; %bb.259:                              ;   in Loop: Header=BB2_128 Depth=2
	s_mov_b32 s11, -1
	s_mov_b32 s29, exec_lo
	v_cmpx_eq_u16_e32 0x80, v99
; %bb.260:                              ;   in Loop: Header=BB2_128 Depth=2
	s_xor_b32 s11, exec_lo, -1
; %bb.261:                              ;   in Loop: Header=BB2_128 Depth=2
	s_or_b32 exec_lo, exec_lo, s29
	s_delay_alu instid0(SALU_CYCLE_1)
	s_and_b32 s11, s11, exec_lo
                                        ; implicit-def: $vgpr99
	s_or_saveexec_b32 s12, s12
	v_bfrev_b32_e32 v100, 1
	s_xor_b32 exec_lo, exec_lo, s12
	s_cbranch_execnz .LBB2_294
.LBB2_262:                              ;   in Loop: Header=BB2_128 Depth=2
	s_or_b32 exec_lo, exec_lo, s12
	v_mov_b32_e32 v99, v49
	s_and_saveexec_b32 s12, s11
	s_cbranch_execz .LBB2_264
.LBB2_263:                              ;   in Loop: Header=BB2_128 Depth=2
	v_and_b32_e32 v100, 7, v11
	v_and_b32_e32 v102, 0x7f, v11
	v_bfe_u32 v101, v11, 3, 4
	s_delay_alu instid0(VALU_DEP_3) | instskip(NEXT) | instid1(VALU_DEP_3)
	v_clz_i32_u32_e32 v100, v100
	v_cmp_gt_u32_e64 s10, 8, v102
	s_delay_alu instid0(VALU_DEP_2) | instskip(NEXT) | instid1(VALU_DEP_1)
	v_min_u32_e32 v100, 32, v100
	v_subrev_nc_u32_e32 v103, 28, v100
	v_sub_nc_u32_e32 v100, 29, v100
	s_delay_alu instid0(VALU_DEP_1) | instskip(SKIP_1) | instid1(VALU_DEP_2)
	v_dual_cndmask_b32 v45, v101, v100, s10 :: v_dual_cndmask_b32 v100, 0, v103, s10
	v_cmp_ne_u32_e64 s10, 0x7f, v102
	v_lshlrev_b64_e32 v[100:101], v100, v[98:99]
	v_lshlrev_b32_e32 v99, 24, v98
	s_delay_alu instid0(VALU_DEP_4) | instskip(NEXT) | instid1(VALU_DEP_2)
	v_lshl_add_u32 v101, v45, 23, 0x3c000000
	v_and_b32_e32 v99, 0x80000000, v99
	s_delay_alu instid0(VALU_DEP_4) | instskip(NEXT) | instid1(VALU_DEP_1)
	v_lshlrev_b32_e32 v100, 20, v100
	v_and_b32_e32 v100, 0x700000, v100
	s_delay_alu instid0(VALU_DEP_1) | instskip(NEXT) | instid1(VALU_DEP_1)
	v_or3_b32 v99, v100, v99, v101
	v_cndmask_b32_e64 v100, 0x7f800001, v99, s10
.LBB2_264:                              ;   in Loop: Header=BB2_128 Depth=2
	s_or_b32 exec_lo, exec_lo, s12
	s_delay_alu instid0(VALU_DEP_1) | instskip(SKIP_1) | instid1(VALU_DEP_1)
	v_dual_mul_f32 v99, v30, v100 :: v_dual_mov_b32 v101, v49
                                        ; implicit-def: $vgpr102
	s_mov_b32 s11, exec_lo
	v_and_b32_e32 v100, 0x7f800000, v99
	v_lshrrev_b32_e32 v30, 24, v99
	s_delay_alu instid0(VALU_DEP_2)
	v_cmpx_ne_u64_e32 0x7f800000, v[100:101]
	s_xor_b32 s12, exec_lo, s11
	s_cbranch_execz .LBB2_278
; %bb.265:                              ;   in Loop: Header=BB2_128 Depth=2
	v_and_b32_e32 v100, 0x7fffffff, v99
	v_mov_b32_e32 v101, v49
	v_and_b32_e32 v30, 0x80, v30
                                        ; implicit-def: $vgpr102
	s_mov_b32 s11, exec_lo
	s_delay_alu instid0(VALU_DEP_2)
	v_cmpx_gt_u64_e32 0x43e00001, v[100:101]
	s_xor_b32 s29, exec_lo, s11
	s_cbranch_execz .LBB2_275
; %bb.266:                              ;   in Loop: Header=BB2_128 Depth=2
	v_mov_b32_e32 v102, 0
	s_mov_b32 s40, exec_lo
	v_cmpx_ne_u32_e32 0, v99
	s_cbranch_execz .LBB2_274
; %bb.267:                              ;   in Loop: Header=BB2_128 Depth=2
	v_bfe_u32 v45, v99, 23, 8
	v_and_b32_e32 v99, 0x7fffff, v99
	s_mov_b32 s41, exec_lo
	s_delay_alu instid0(VALU_DEP_2) | instskip(SKIP_1) | instid1(VALU_DEP_3)
	v_dual_mov_b32 v103, v49 :: v_dual_sub_nc_u32 v100, 0x79, v45
	v_cmp_gt_u32_e64 s10, 0x7a, v45
	v_or_b32_e32 v102, 0x800000, v99
	s_delay_alu instid0(VALU_DEP_2) | instskip(SKIP_1) | instid1(VALU_DEP_1)
	v_cndmask_b32_e64 v100, 0, v100, s10
	v_cmp_eq_u32_e64 s10, 0, v45
	v_cndmask_b32_e64 v46, v100, 0x78, s10
	s_delay_alu instid0(VALU_DEP_1) | instskip(SKIP_1) | instid1(VALU_DEP_2)
	v_dual_cndmask_b32 v102, v102, v99, s10 :: v_dual_add_nc_u32 v100, 20, v46
	v_add_nc_u32_e32 v47, 19, v46
	v_lshlrev_b64_e64 v[100:101], v100, -1
	s_delay_alu instid0(VALU_DEP_2) | instskip(NEXT) | instid1(VALU_DEP_2)
	v_lshlrev_b64_e64 v[56:57], v47, 1
	v_bfi_b32 v59, v101, 0, 0
	s_delay_alu instid0(VALU_DEP_3) | instskip(SKIP_1) | instid1(VALU_DEP_1)
	v_bfi_b32 v58, v100, 0, v102
	v_lshrrev_b64 v[100:101], v46, v[102:103]
	v_mov_b64_e32 v[102:103], v[100:101]
	s_delay_alu instid0(VALU_DEP_3)
	v_cmpx_eq_u64_e64 v[58:59], v[56:57]
; %bb.268:                              ;   in Loop: Header=BB2_128 Depth=2
	v_bfe_u32 v102, v100, 20, 1
	v_mov_b32_e32 v103, v49
	s_delay_alu instid0(VALU_DEP_1) | instskip(NEXT) | instid1(VALU_DEP_1)
	v_add_nc_u64_e32 v[102:103], v[100:101], v[102:103]
	v_add_nc_u64_e32 v[102:103], -1, v[102:103]
; %bb.269:                              ;   in Loop: Header=BB2_128 Depth=2
	s_or_b32 exec_lo, exec_lo, s41
	v_add_nc_u32_e32 v99, 0xffffff81, v45
	v_lshrrev_b32_e32 v101, 23, v100
	s_mov_b32 s11, exec_lo
	s_delay_alu instid0(VALU_DEP_2) | instskip(NEXT) | instid1(VALU_DEP_1)
	v_cndmask_b32_e64 v99, v99, 0xffffff82, s10
	v_add3_u32 v103, v46, v99, v101
	v_and_b32_e32 v99, 0xfffff, v102
	s_delay_alu instid0(VALU_DEP_2) | instskip(NEXT) | instid1(VALU_DEP_2)
	v_dual_mov_b32 v101, v49 :: v_dual_add_nc_u32 v102, 6, v103
	v_add_nc_u32_e32 v100, v99, v100
                                        ; implicit-def: $vgpr99
	s_delay_alu instid0(VALU_DEP_2)
	v_cmpx_ne_u32_e32 0, v102
	s_xor_b32 s11, exec_lo, s11
; %bb.270:                              ;   in Loop: Header=BB2_128 Depth=2
	s_delay_alu instid0(VALU_DEP_2) | instskip(SKIP_1) | instid1(VALU_DEP_1)
	v_cmp_lt_u64_e64 s10, 0xffffff, v[100:101]
	v_add_nc_u32_e32 v99, 7, v103
	v_cndmask_b32_e64 v99, v102, v99, s10
	v_cndmask_b32_e64 v102, 0, 1, s10
	s_delay_alu instid0(VALU_DEP_1)
	v_lshrrev_b64 v[100:101], v102, v[100:101]
; %bb.271:                              ;   in Loop: Header=BB2_128 Depth=2
	s_and_not1_saveexec_b32 s10, s11
; %bb.272:                              ;   in Loop: Header=BB2_128 Depth=2
	s_delay_alu instid0(VALU_DEP_1)
	v_bfe_u32 v99, v100, 23, 1
; %bb.273:                              ;   in Loop: Header=BB2_128 Depth=2
	s_or_b32 exec_lo, exec_lo, s10
	s_delay_alu instid0(VALU_DEP_2) | instskip(NEXT) | instid1(VALU_DEP_2)
	v_lshrrev_b64 v[100:101], 20, v[100:101]
	v_cmp_gt_i32_e64 s10, 16, v99
	v_min_i32_e32 v102, 15, v99
	v_cmp_eq_u32_e64 s11, 0, v99
	s_delay_alu instid0(VALU_DEP_2) | instskip(SKIP_1) | instid1(VALU_DEP_2)
	v_dual_cndmask_b32 v101, 0, v101, s10 :: v_dual_lshlrev_b32 v102, 3, v102
	v_cndmask_b32_e64 v100, 7, v100, s10
	v_and_b32_e32 v102, 0xf8, v102
	s_delay_alu instid0(VALU_DEP_2) | instskip(NEXT) | instid1(VALU_DEP_2)
	v_cmp_eq_u64_e64 s10, 0, v[100:101]
	v_and_or_b32 v99, v100, 7, v102
	s_and_b32 s10, s11, s10
	s_delay_alu instid0(VALU_DEP_1) | instid1(SALU_CYCLE_1)
	v_cndmask_b32_e64 v99, v99, 0, s10
	s_delay_alu instid0(VALU_DEP_1)
	v_or_b32_e32 v102, v99, v30
.LBB2_274:                              ;   in Loop: Header=BB2_128 Depth=2
	s_or_b32 exec_lo, exec_lo, s40
                                        ; implicit-def: $vgpr30
.LBB2_275:                              ;   in Loop: Header=BB2_128 Depth=2
	s_and_not1_saveexec_b32 s10, s29
; %bb.276:                              ;   in Loop: Header=BB2_128 Depth=2
	v_or_b32_e32 v102, 0x7e, v30
; %bb.277:                              ;   in Loop: Header=BB2_128 Depth=2
	s_or_b32 exec_lo, exec_lo, s10
                                        ; implicit-def: $vgpr30
.LBB2_278:                              ;   in Loop: Header=BB2_128 Depth=2
	s_and_not1_saveexec_b32 s10, s12
; %bb.279:                              ;   in Loop: Header=BB2_128 Depth=2
	v_or_b32_e32 v102, 0x7f, v30
; %bb.280:                              ;   in Loop: Header=BB2_128 Depth=2
	s_or_b32 exec_lo, exec_lo, s10
	v_lshrrev_b16 v30, 8, v48
	v_mov_b32_e32 v99, 0
	s_mov_b32 s11, exec_lo
	s_delay_alu instid0(VALU_DEP_2)
	v_cmpx_ne_u16_e32 0, v30
	s_cbranch_execz .LBB2_288
; %bb.281:                              ;   in Loop: Header=BB2_128 Depth=2
	v_bfrev_b32_e32 v99, 1
	s_mov_b32 s12, exec_lo
	v_cmpx_ne_u16_e32 0x80, v30
	s_cbranch_execz .LBB2_287
; %bb.282:                              ;   in Loop: Header=BB2_128 Depth=2
	v_and_b32_e32 v30, 0xffff, v30
	v_mov_b32_e32 v99, 0x7f800001
	s_mov_b32 s29, exec_lo
	s_delay_alu instid0(VALU_DEP_2) | instskip(NEXT) | instid1(VALU_DEP_1)
	v_and_b32_e32 v103, 0x7f, v30
	v_cmpx_ne_u32_e32 0x7f, v103
	s_cbranch_execz .LBB2_286
; %bb.283:                              ;   in Loop: Header=BB2_128 Depth=2
	v_dual_mov_b32 v101, v49 :: v_dual_bitop2_b32 v100, 7, v30 bitop3:0x40
	v_lshrrev_b32_e32 v30, 3, v103
	s_mov_b32 s40, exec_lo
	v_cmpx_gt_u32_e32 8, v103
; %bb.284:                              ;   in Loop: Header=BB2_128 Depth=2
	s_delay_alu instid0(VALU_DEP_3) | instskip(NEXT) | instid1(VALU_DEP_1)
	v_clz_i32_u32_e32 v30, v100
	v_min_u32_e32 v30, 32, v30
	s_delay_alu instid0(VALU_DEP_1) | instskip(NEXT) | instid1(VALU_DEP_1)
	v_subrev_nc_u32_e32 v99, 28, v30
	v_lshlrev_b64_e32 v[100:101], v99, v[100:101]
	s_delay_alu instid0(VALU_DEP_1)
	v_dual_sub_nc_u32 v30, 29, v30 :: v_dual_bitop2_b32 v100, 7, v100 bitop3:0x40
; %bb.285:                              ;   in Loop: Header=BB2_128 Depth=2
	s_or_b32 exec_lo, exec_lo, s40
	v_lshlrev_b32_e32 v48, 16, v48
	s_delay_alu instid0(VALU_DEP_2) | instskip(NEXT) | instid1(VALU_DEP_3)
	v_lshlrev_b32_e32 v99, 20, v100
	v_lshl_add_u32 v30, v30, 23, 0x3c000000
	s_delay_alu instid0(VALU_DEP_3) | instskip(NEXT) | instid1(VALU_DEP_1)
	v_and_b32_e32 v48, 0x80000000, v48
	v_or3_b32 v99, v99, v48, v30
.LBB2_286:                              ;   in Loop: Header=BB2_128 Depth=2
	s_or_b32 exec_lo, exec_lo, s29
.LBB2_287:                              ;   in Loop: Header=BB2_128 Depth=2
	s_delay_alu instid0(SALU_CYCLE_1)
	s_or_b32 exec_lo, exec_lo, s12
.LBB2_288:                              ;   in Loop: Header=BB2_128 Depth=2
	s_delay_alu instid0(SALU_CYCLE_1) | instskip(SKIP_3) | instid1(VALU_DEP_1)
	s_or_b32 exec_lo, exec_lo, s11
	v_lshrrev_b16 v48, 8, v98
	s_mov_b32 s12, 0
	s_mov_b32 s11, exec_lo
	v_cmpx_lt_i16_e32 0x7f, v48
	s_xor_b32 s11, exec_lo, s11
	s_cbranch_execz .LBB2_295
; %bb.289:                              ;   in Loop: Header=BB2_128 Depth=2
	s_mov_b32 s12, -1
	s_mov_b32 s29, exec_lo
	v_cmpx_eq_u16_e32 0x80, v48
; %bb.290:                              ;   in Loop: Header=BB2_128 Depth=2
	s_xor_b32 s12, exec_lo, -1
; %bb.291:                              ;   in Loop: Header=BB2_128 Depth=2
	s_or_b32 exec_lo, exec_lo, s29
	s_delay_alu instid0(SALU_CYCLE_1)
	s_and_b32 s12, s12, exec_lo
	s_or_saveexec_b32 s11, s11
	v_bfrev_b32_e32 v98, 1
	s_xor_b32 exec_lo, exec_lo, s11
	s_cbranch_execnz .LBB2_296
.LBB2_292:                              ;   in Loop: Header=BB2_128 Depth=2
	s_or_b32 exec_lo, exec_lo, s11
	s_and_saveexec_b32 s11, s12
	s_cbranch_execnz .LBB2_297
	s_branch .LBB2_300
.LBB2_293:                              ;   in Loop: Header=BB2_128 Depth=2
	s_or_saveexec_b32 s12, s12
	v_bfrev_b32_e32 v100, 1
	s_xor_b32 exec_lo, exec_lo, s12
	s_cbranch_execz .LBB2_262
.LBB2_294:                              ;   in Loop: Header=BB2_128 Depth=2
	v_cmp_ne_u16_e64 s10, 0, v99
	v_mov_b32_e32 v100, 0
	s_and_not1_b32 s11, s11, exec_lo
	s_and_b32 s10, s10, exec_lo
	s_delay_alu instid0(SALU_CYCLE_1)
	s_or_b32 s11, s11, s10
	s_or_b32 exec_lo, exec_lo, s12
	v_mov_b32_e32 v99, v49
	s_and_saveexec_b32 s12, s11
	s_cbranch_execnz .LBB2_263
	s_branch .LBB2_264
.LBB2_295:                              ;   in Loop: Header=BB2_128 Depth=2
	s_or_saveexec_b32 s11, s11
	v_bfrev_b32_e32 v98, 1
	s_xor_b32 exec_lo, exec_lo, s11
	s_cbranch_execz .LBB2_292
.LBB2_296:                              ;   in Loop: Header=BB2_128 Depth=2
	v_cmp_ne_u16_e64 s10, 0, v48
	v_mov_b32_e32 v98, 0
	s_and_not1_b32 s12, s12, exec_lo
	s_and_b32 s10, s10, exec_lo
	s_delay_alu instid0(SALU_CYCLE_1)
	s_or_b32 s12, s12, s10
	s_or_b32 exec_lo, exec_lo, s11
	s_and_saveexec_b32 s11, s12
	s_cbranch_execz .LBB2_300
.LBB2_297:                              ;   in Loop: Header=BB2_128 Depth=2
	v_and_b32_e32 v30, 0xffff, v48
	v_mov_b32_e32 v98, 0x7f800001
	s_mov_b32 s12, exec_lo
	s_delay_alu instid0(VALU_DEP_2) | instskip(NEXT) | instid1(VALU_DEP_1)
	v_and_b32_e32 v100, 0x7f, v30
	v_cmpx_ne_u32_e32 0x7f, v100
	s_cbranch_execz .LBB2_299
; %bb.298:                              ;   in Loop: Header=BB2_128 Depth=2
	v_and_b32_e32 v98, 7, v30
	v_cmp_gt_u32_e64 s10, 8, v100
	s_delay_alu instid0(VALU_DEP_2) | instskip(NEXT) | instid1(VALU_DEP_1)
	v_clz_i32_u32_e32 v101, v98
	v_min_u32_e32 v101, 32, v101
	s_delay_alu instid0(VALU_DEP_1) | instskip(NEXT) | instid1(VALU_DEP_1)
	v_subrev_nc_u32_e32 v103, 28, v101
	v_lshlrev_b64_e32 v[46:47], v103, v[30:31]
	v_dual_lshrrev_b32 v30, 3, v100 :: v_dual_sub_nc_u32 v101, 29, v101
	s_delay_alu instid0(VALU_DEP_2) | instskip(NEXT) | instid1(VALU_DEP_2)
	v_dual_lshlrev_b32 v48, 24, v48 :: v_dual_bitop2_b32 v100, 7, v46 bitop3:0x40
	v_cndmask_b32_e64 v30, v30, v101, s10
	s_delay_alu instid0(VALU_DEP_2) | instskip(NEXT) | instid1(VALU_DEP_3)
	v_cndmask_b32_e64 v98, v98, v100, s10
	v_and_b32_e32 v48, 0x80000000, v48
	s_delay_alu instid0(VALU_DEP_3) | instskip(NEXT) | instid1(VALU_DEP_3)
	v_lshl_add_u32 v30, v30, 23, 0x3c000000
	v_lshlrev_b32_e32 v98, 20, v98
	s_delay_alu instid0(VALU_DEP_1)
	v_or3_b32 v98, v98, v48, v30
.LBB2_299:                              ;   in Loop: Header=BB2_128 Depth=2
	s_or_b32 exec_lo, exec_lo, s12
.LBB2_300:                              ;   in Loop: Header=BB2_128 Depth=2
	s_delay_alu instid0(SALU_CYCLE_1) | instskip(NEXT) | instid1(VALU_DEP_1)
	s_or_b32 exec_lo, exec_lo, s11
	v_mul_f32_e32 v98, v99, v98
                                        ; implicit-def: $vgpr103
	s_mov_b32 s11, exec_lo
	s_delay_alu instid0(VALU_DEP_1) | instskip(SKIP_1) | instid1(VALU_DEP_2)
	v_and_b32_e32 v48, 0x7f800000, v98
	v_lshrrev_b32_e32 v30, 24, v98
	v_cmpx_ne_u64_e32 0x7f800000, v[48:49]
	s_xor_b32 s12, exec_lo, s11
	s_cbranch_execz .LBB2_314
; %bb.301:                              ;   in Loop: Header=BB2_128 Depth=2
	v_and_b32_e32 v48, 0x7fffffff, v98
	v_and_b32_e32 v30, 0x80, v30
                                        ; implicit-def: $vgpr103
	s_mov_b32 s11, exec_lo
	s_delay_alu instid0(VALU_DEP_2)
	v_cmpx_gt_u64_e32 0x43e00001, v[48:49]
	s_xor_b32 s29, exec_lo, s11
	s_cbranch_execz .LBB2_311
; %bb.302:                              ;   in Loop: Header=BB2_128 Depth=2
	v_mov_b32_e32 v103, 0
	s_mov_b32 s40, exec_lo
	v_cmpx_ne_u32_e32 0, v98
	s_cbranch_execz .LBB2_310
; %bb.303:                              ;   in Loop: Header=BB2_128 Depth=2
	v_bfe_u32 v103, v98, 23, 8
	s_delay_alu instid0(VALU_DEP_1) | instskip(SKIP_1) | instid1(VALU_DEP_1)
	v_sub_nc_u32_e32 v48, 0x79, v103
	v_cmp_gt_u32_e64 s10, 0x7a, v103
	v_cndmask_b32_e64 v48, 0, v48, s10
	v_cmp_eq_u32_e64 s10, 0, v103
	s_delay_alu instid0(VALU_DEP_1) | instskip(SKIP_1) | instid1(VALU_DEP_2)
	v_cndmask_b32_e64 v45, v48, 0x78, s10
	v_and_b32_e32 v48, 0x7fffff, v98
	v_add_nc_u32_e32 v98, 20, v45
	s_delay_alu instid0(VALU_DEP_2) | instskip(SKIP_1) | instid1(VALU_DEP_3)
	v_or_b32_e32 v100, 0x800000, v48
	v_add_nc_u32_e32 v101, 19, v45
	v_lshlrev_b64_e64 v[98:99], v98, -1
	s_delay_alu instid0(VALU_DEP_3) | instskip(NEXT) | instid1(VALU_DEP_3)
	v_cndmask_b32_e64 v48, v100, v48, s10
	v_lshlrev_b64_e64 v[100:101], v101, 1
	s_delay_alu instid0(VALU_DEP_3) | instskip(NEXT) | instid1(VALU_DEP_3)
	v_bfi_b32 v47, v99, 0, 0
	v_bfi_b32 v46, v98, 0, v48
	v_lshrrev_b64 v[98:99], v45, v[48:49]
	s_delay_alu instid0(VALU_DEP_2) | instskip(NEXT) | instid1(VALU_DEP_2)
	v_cmp_eq_u64_e64 s11, v[46:47], v[100:101]
	v_mov_b64_e32 v[100:101], v[98:99]
	s_and_saveexec_b32 s41, s11
; %bb.304:                              ;   in Loop: Header=BB2_128 Depth=2
	v_bfe_u32 v48, v98, 20, 1
	s_delay_alu instid0(VALU_DEP_1) | instskip(NEXT) | instid1(VALU_DEP_1)
	v_add_nc_u64_e32 v[100:101], v[98:99], v[48:49]
	v_add_nc_u64_e32 v[100:101], -1, v[100:101]
; %bb.305:                              ;   in Loop: Header=BB2_128 Depth=2
	s_or_b32 exec_lo, exec_lo, s41
	v_add_nc_u32_e32 v48, 0xffffff81, v103
	v_lshrrev_b32_e32 v99, 23, v98
	s_mov_b32 s11, exec_lo
	s_delay_alu instid0(VALU_DEP_2) | instskip(NEXT) | instid1(VALU_DEP_1)
	v_cndmask_b32_e64 v48, v48, 0xffffff82, s10
	v_add3_u32 v101, v45, v48, v99
	v_and_b32_e32 v48, 0xfffff, v100
                                        ; implicit-def: $vgpr100
	s_delay_alu instid0(VALU_DEP_1) | instskip(NEXT) | instid1(VALU_DEP_1)
	v_dual_add_nc_u32 v103, 6, v101 :: v_dual_add_nc_u32 v48, v48, v98
                                        ; implicit-def: $vgpr98_vgpr99
	v_cmpx_ne_u32_e32 0, v103
	s_xor_b32 s11, exec_lo, s11
; %bb.306:                              ;   in Loop: Header=BB2_128 Depth=2
	s_delay_alu instid0(VALU_DEP_2) | instskip(SKIP_1) | instid1(VALU_DEP_1)
	v_cmp_lt_u64_e64 s10, 0xffffff, v[48:49]
	v_add_nc_u32_e32 v98, 7, v101
	v_cndmask_b32_e64 v100, v103, v98, s10
	v_cndmask_b32_e64 v98, 0, 1, s10
	s_delay_alu instid0(VALU_DEP_1)
	v_lshrrev_b64 v[98:99], v98, v[48:49]
; %bb.307:                              ;   in Loop: Header=BB2_128 Depth=2
	s_and_not1_saveexec_b32 s10, s11
; %bb.308:                              ;   in Loop: Header=BB2_128 Depth=2
	v_mov_b64_e32 v[98:99], v[48:49]
	v_bfe_u32 v100, v48, 23, 1
; %bb.309:                              ;   in Loop: Header=BB2_128 Depth=2
	s_or_b32 exec_lo, exec_lo, s10
	s_delay_alu instid0(VALU_DEP_2) | instskip(NEXT) | instid1(VALU_DEP_2)
	v_lshrrev_b64 v[98:99], 20, v[98:99]
	v_cmp_gt_i32_e64 s10, 16, v100
	v_min_i32_e32 v48, 15, v100
	v_cmp_eq_u32_e64 s11, 0, v100
	s_delay_alu instid0(VALU_DEP_2) | instskip(SKIP_1) | instid1(VALU_DEP_2)
	v_dual_cndmask_b32 v99, 0, v99, s10 :: v_dual_lshlrev_b32 v48, 3, v48
	v_cndmask_b32_e64 v98, 7, v98, s10
	v_and_b32_e32 v48, 0xf8, v48
	s_delay_alu instid0(VALU_DEP_2) | instskip(NEXT) | instid1(VALU_DEP_2)
	v_cmp_eq_u64_e64 s10, 0, v[98:99]
	v_and_or_b32 v48, v98, 7, v48
	s_and_b32 s10, s11, s10
	s_delay_alu instid0(VALU_DEP_1) | instid1(SALU_CYCLE_1)
	v_cndmask_b32_e64 v48, v48, 0, s10
	s_delay_alu instid0(VALU_DEP_1)
	v_or_b32_e32 v103, v48, v30
.LBB2_310:                              ;   in Loop: Header=BB2_128 Depth=2
	s_or_b32 exec_lo, exec_lo, s40
                                        ; implicit-def: $vgpr30
.LBB2_311:                              ;   in Loop: Header=BB2_128 Depth=2
	s_and_not1_saveexec_b32 s10, s29
; %bb.312:                              ;   in Loop: Header=BB2_128 Depth=2
	v_or_b32_e32 v103, 0x7e, v30
; %bb.313:                              ;   in Loop: Header=BB2_128 Depth=2
	s_or_b32 exec_lo, exec_lo, s10
                                        ; implicit-def: $vgpr30
.LBB2_314:                              ;   in Loop: Header=BB2_128 Depth=2
	s_and_not1_saveexec_b32 s10, s12
; %bb.315:                              ;   in Loop: Header=BB2_128 Depth=2
	v_or_b32_e32 v103, 0x7f, v30
; %bb.316:                              ;   in Loop: Header=BB2_128 Depth=2
	s_or_b32 exec_lo, exec_lo, s10
	v_dual_lshrrev_b32 v30, 16, v15 :: v_dual_mov_b32 v48, 0
	s_mov_b32 s11, exec_lo
	s_delay_alu instid0(VALU_DEP_1) | instskip(NEXT) | instid1(VALU_DEP_1)
	v_and_b32_e32 v98, 0xff, v30
	v_cmpx_ne_u16_e32 0, v98
	s_cbranch_execz .LBB2_324
; %bb.317:                              ;   in Loop: Header=BB2_128 Depth=2
	v_bfrev_b32_e32 v48, 1
	s_mov_b32 s12, exec_lo
	v_cmpx_ne_u16_e32 0x80, v98
	s_cbranch_execz .LBB2_323
; %bb.318:                              ;   in Loop: Header=BB2_128 Depth=2
	v_bfe_u32 v99, v15, 16, 7
	v_mov_b32_e32 v48, 0x7f800001
	s_mov_b32 s29, exec_lo
	s_delay_alu instid0(VALU_DEP_2)
	v_cmpx_ne_u32_e32 0x7f, v99
	s_cbranch_execz .LBB2_322
; %bb.319:                              ;   in Loop: Header=BB2_128 Depth=2
	v_dual_lshrrev_b32 v98, 3, v99 :: v_dual_bitop2_b32 v48, 7, v30 bitop3:0x40
	s_mov_b32 s40, exec_lo
	v_cmpx_gt_u32_e32 8, v99
; %bb.320:                              ;   in Loop: Header=BB2_128 Depth=2
	s_delay_alu instid0(VALU_DEP_2) | instskip(NEXT) | instid1(VALU_DEP_1)
	v_clz_i32_u32_e32 v98, v48
	v_min_u32_e32 v98, 32, v98
	s_delay_alu instid0(VALU_DEP_1) | instskip(NEXT) | instid1(VALU_DEP_1)
	v_subrev_nc_u32_e32 v99, 28, v98
	v_lshlrev_b64_e32 v[100:101], v99, v[48:49]
	s_delay_alu instid0(VALU_DEP_1)
	v_dual_sub_nc_u32 v98, 29, v98 :: v_dual_bitop2_b32 v48, 7, v100 bitop3:0x40
; %bb.321:                              ;   in Loop: Header=BB2_128 Depth=2
	s_or_b32 exec_lo, exec_lo, s40
	s_delay_alu instid0(VALU_DEP_1) | instskip(NEXT) | instid1(VALU_DEP_2)
	v_dual_lshlrev_b32 v30, 24, v30 :: v_dual_lshlrev_b32 v48, 20, v48
	v_lshl_add_u32 v98, v98, 23, 0x3c000000
	s_delay_alu instid0(VALU_DEP_2) | instskip(NEXT) | instid1(VALU_DEP_1)
	v_and_b32_e32 v30, 0x80000000, v30
	v_or3_b32 v48, v48, v30, v98
.LBB2_322:                              ;   in Loop: Header=BB2_128 Depth=2
	s_or_b32 exec_lo, exec_lo, s29
.LBB2_323:                              ;   in Loop: Header=BB2_128 Depth=2
	s_delay_alu instid0(SALU_CYCLE_1)
	s_or_b32 exec_lo, exec_lo, s12
.LBB2_324:                              ;   in Loop: Header=BB2_128 Depth=2
	s_delay_alu instid0(SALU_CYCLE_1) | instskip(SKIP_3) | instid1(VALU_DEP_1)
	s_or_b32 exec_lo, exec_lo, s11
	v_lshrrev_b32_e32 v30, 16, v11
	s_mov_b32 s12, 0
	s_mov_b32 s11, exec_lo
	v_and_b32_e32 v99, 0xff, v30
	s_delay_alu instid0(VALU_DEP_1)
	v_cmpx_lt_i16_e32 0x7f, v99
	s_xor_b32 s11, exec_lo, s11
	s_cbranch_execz .LBB2_329
; %bb.325:                              ;   in Loop: Header=BB2_128 Depth=2
	s_mov_b32 s12, -1
	s_mov_b32 s29, exec_lo
	v_cmpx_eq_u16_e32 0x80, v99
; %bb.326:                              ;   in Loop: Header=BB2_128 Depth=2
	s_xor_b32 s12, exec_lo, -1
; %bb.327:                              ;   in Loop: Header=BB2_128 Depth=2
	s_or_b32 exec_lo, exec_lo, s29
	s_delay_alu instid0(SALU_CYCLE_1)
	s_and_b32 s12, s12, exec_lo
                                        ; implicit-def: $vgpr99
	s_or_saveexec_b32 s11, s11
	v_bfrev_b32_e32 v98, 1
	s_xor_b32 exec_lo, exec_lo, s11
	s_cbranch_execnz .LBB2_330
.LBB2_328:                              ;   in Loop: Header=BB2_128 Depth=2
	s_or_b32 exec_lo, exec_lo, s11
	s_and_saveexec_b32 s11, s12
	s_cbranch_execnz .LBB2_331
	s_branch .LBB2_334
.LBB2_329:                              ;   in Loop: Header=BB2_128 Depth=2
	s_or_saveexec_b32 s11, s11
	v_bfrev_b32_e32 v98, 1
	s_xor_b32 exec_lo, exec_lo, s11
	s_cbranch_execz .LBB2_328
.LBB2_330:                              ;   in Loop: Header=BB2_128 Depth=2
	v_cmp_ne_u16_e64 s10, 0, v99
	v_mov_b32_e32 v98, 0
	s_and_not1_b32 s12, s12, exec_lo
	s_and_b32 s10, s10, exec_lo
	s_delay_alu instid0(SALU_CYCLE_1)
	s_or_b32 s12, s12, s10
	s_or_b32 exec_lo, exec_lo, s11
	s_and_saveexec_b32 s11, s12
	s_cbranch_execz .LBB2_334
.LBB2_331:                              ;   in Loop: Header=BB2_128 Depth=2
	v_and_b32_e32 v99, 0x7f, v30
	v_mov_b32_e32 v98, 0x7f800001
	s_mov_b32 s12, exec_lo
	s_delay_alu instid0(VALU_DEP_2)
	v_cmpx_ne_u32_e32 0x7f, v99
	s_cbranch_execz .LBB2_333
; %bb.332:                              ;   in Loop: Header=BB2_128 Depth=2
	v_and_b32_e32 v98, 7, v30
	v_cmp_gt_u32_e64 s10, 8, v99
	s_delay_alu instid0(VALU_DEP_2) | instskip(NEXT) | instid1(VALU_DEP_1)
	v_clz_i32_u32_e32 v100, v98
	v_min_u32_e32 v45, 32, v100
	s_delay_alu instid0(VALU_DEP_1) | instskip(NEXT) | instid1(VALU_DEP_1)
	v_subrev_nc_u32_e32 v100, 28, v45
	v_lshlrev_b64_e32 v[100:101], v100, v[30:31]
	v_dual_lshrrev_b32 v101, 3, v99 :: v_dual_sub_nc_u32 v45, 29, v45
	s_delay_alu instid0(VALU_DEP_2) | instskip(NEXT) | instid1(VALU_DEP_2)
	v_dual_lshlrev_b32 v30, 24, v30 :: v_dual_bitop2_b32 v99, 7, v100 bitop3:0x40
	v_cndmask_b32_e64 v100, v101, v45, s10
	s_delay_alu instid0(VALU_DEP_2) | instskip(NEXT) | instid1(VALU_DEP_3)
	v_and_b32_e32 v30, 0x80000000, v30
	v_cndmask_b32_e64 v98, v98, v99, s10
	s_delay_alu instid0(VALU_DEP_3) | instskip(NEXT) | instid1(VALU_DEP_2)
	v_lshl_add_u32 v99, v100, 23, 0x3c000000
	v_lshlrev_b32_e32 v98, 20, v98
	s_delay_alu instid0(VALU_DEP_1)
	v_or3_b32 v98, v98, v30, v99
.LBB2_333:                              ;   in Loop: Header=BB2_128 Depth=2
	s_or_b32 exec_lo, exec_lo, s12
.LBB2_334:                              ;   in Loop: Header=BB2_128 Depth=2
	s_delay_alu instid0(SALU_CYCLE_1) | instskip(NEXT) | instid1(VALU_DEP_1)
	s_or_b32 exec_lo, exec_lo, s11
	v_mul_f32_e32 v98, v48, v98
                                        ; implicit-def: $vgpr30
	s_mov_b32 s11, exec_lo
	s_delay_alu instid0(VALU_DEP_1) | instskip(SKIP_1) | instid1(VALU_DEP_2)
	v_and_b32_e32 v48, 0x7f800000, v98
	v_lshrrev_b32_e32 v99, 24, v98
	v_cmpx_ne_u64_e32 0x7f800000, v[48:49]
	s_xor_b32 s12, exec_lo, s11
	s_cbranch_execz .LBB2_348
; %bb.335:                              ;   in Loop: Header=BB2_128 Depth=2
	v_and_b32_e32 v48, 0x7fffffff, v98
	v_and_b32_e32 v45, 0x80, v99
                                        ; implicit-def: $vgpr30
	s_mov_b32 s11, exec_lo
	s_delay_alu instid0(VALU_DEP_2)
	v_cmpx_gt_u64_e32 0x43e00001, v[48:49]
	s_xor_b32 s29, exec_lo, s11
	s_cbranch_execz .LBB2_345
; %bb.336:                              ;   in Loop: Header=BB2_128 Depth=2
	v_mov_b32_e32 v30, 0
	s_mov_b32 s40, exec_lo
	v_cmpx_ne_u32_e32 0, v98
	s_cbranch_execz .LBB2_344
; %bb.337:                              ;   in Loop: Header=BB2_128 Depth=2
	v_bfe_u32 v30, v98, 23, 8
	s_delay_alu instid0(VALU_DEP_1) | instskip(SKIP_1) | instid1(VALU_DEP_1)
	v_sub_nc_u32_e32 v48, 0x79, v30
	v_cmp_gt_u32_e64 s10, 0x7a, v30
	v_cndmask_b32_e64 v48, 0, v48, s10
	v_cmp_eq_u32_e64 s10, 0, v30
	s_delay_alu instid0(VALU_DEP_1) | instskip(SKIP_1) | instid1(VALU_DEP_2)
	v_cndmask_b32_e64 v46, v48, 0x78, s10
	v_and_b32_e32 v48, 0x7fffff, v98
	v_add_nc_u32_e32 v98, 20, v46
	s_delay_alu instid0(VALU_DEP_2) | instskip(SKIP_1) | instid1(VALU_DEP_3)
	v_or_b32_e32 v100, 0x800000, v48
	v_add_nc_u32_e32 v101, 19, v46
	v_lshlrev_b64_e64 v[98:99], v98, -1
	s_delay_alu instid0(VALU_DEP_3) | instskip(NEXT) | instid1(VALU_DEP_3)
	v_cndmask_b32_e64 v48, v100, v48, s10
	v_lshlrev_b64_e64 v[100:101], v101, 1
	s_delay_alu instid0(VALU_DEP_3) | instskip(NEXT) | instid1(VALU_DEP_3)
	v_bfi_b32 v57, v99, 0, 0
	v_bfi_b32 v56, v98, 0, v48
	v_lshrrev_b64 v[98:99], v46, v[48:49]
	s_delay_alu instid0(VALU_DEP_2) | instskip(NEXT) | instid1(VALU_DEP_2)
	v_cmp_eq_u64_e64 s11, v[56:57], v[100:101]
	v_mov_b64_e32 v[100:101], v[98:99]
	s_and_saveexec_b32 s41, s11
; %bb.338:                              ;   in Loop: Header=BB2_128 Depth=2
	v_bfe_u32 v48, v98, 20, 1
	s_delay_alu instid0(VALU_DEP_1) | instskip(NEXT) | instid1(VALU_DEP_1)
	v_add_nc_u64_e32 v[100:101], v[98:99], v[48:49]
	v_add_nc_u64_e32 v[100:101], -1, v[100:101]
; %bb.339:                              ;   in Loop: Header=BB2_128 Depth=2
	s_or_b32 exec_lo, exec_lo, s41
	v_add_nc_u32_e32 v30, 0xffffff81, v30
	v_lshrrev_b32_e32 v48, 23, v98
	s_mov_b32 s11, exec_lo
	s_delay_alu instid0(VALU_DEP_2) | instskip(NEXT) | instid1(VALU_DEP_1)
	v_cndmask_b32_e64 v30, v30, 0xffffff82, s10
	v_add3_u32 v101, v46, v30, v48
	v_and_b32_e32 v30, 0xfffff, v100
	s_delay_alu instid0(VALU_DEP_1) | instskip(NEXT) | instid1(VALU_DEP_1)
	v_dual_add_nc_u32 v100, 6, v101 :: v_dual_add_nc_u32 v48, v30, v98
                                        ; implicit-def: $vgpr98_vgpr99
                                        ; implicit-def: $vgpr30
	v_cmpx_ne_u32_e32 0, v100
	s_xor_b32 s11, exec_lo, s11
; %bb.340:                              ;   in Loop: Header=BB2_128 Depth=2
	s_delay_alu instid0(VALU_DEP_2) | instskip(SKIP_1) | instid1(VALU_DEP_2)
	v_cmp_lt_u64_e64 s10, 0xffffff, v[48:49]
	v_add_nc_u32_e32 v30, 7, v101
	v_cndmask_b32_e64 v98, 0, 1, s10
	s_delay_alu instid0(VALU_DEP_2) | instskip(NEXT) | instid1(VALU_DEP_2)
	v_cndmask_b32_e64 v30, v100, v30, s10
	v_lshrrev_b64 v[98:99], v98, v[48:49]
; %bb.341:                              ;   in Loop: Header=BB2_128 Depth=2
	s_and_not1_saveexec_b32 s10, s11
; %bb.342:                              ;   in Loop: Header=BB2_128 Depth=2
	v_mov_b64_e32 v[98:99], v[48:49]
	v_bfe_u32 v30, v48, 23, 1
; %bb.343:                              ;   in Loop: Header=BB2_128 Depth=2
	s_or_b32 exec_lo, exec_lo, s10
	s_delay_alu instid0(VALU_DEP_2) | instskip(NEXT) | instid1(VALU_DEP_2)
	v_lshrrev_b64 v[98:99], 20, v[98:99]
	v_cmp_gt_i32_e64 s10, 16, v30
	v_min_i32_e32 v48, 15, v30
	v_cmp_eq_u32_e64 s11, 0, v30
	s_delay_alu instid0(VALU_DEP_2) | instskip(SKIP_1) | instid1(VALU_DEP_2)
	v_dual_cndmask_b32 v99, 0, v99, s10 :: v_dual_lshlrev_b32 v48, 3, v48
	v_cndmask_b32_e64 v98, 7, v98, s10
	v_and_b32_e32 v48, 0xf8, v48
	s_delay_alu instid0(VALU_DEP_2) | instskip(NEXT) | instid1(VALU_DEP_2)
	v_cmp_eq_u64_e64 s10, 0, v[98:99]
	v_and_or_b32 v30, v98, 7, v48
	s_and_b32 s10, s11, s10
	s_delay_alu instid0(VALU_DEP_1) | instid1(SALU_CYCLE_1)
	v_cndmask_b32_e64 v30, v30, 0, s10
	s_delay_alu instid0(VALU_DEP_1)
	v_or_b32_e32 v30, v30, v45
.LBB2_344:                              ;   in Loop: Header=BB2_128 Depth=2
	s_or_b32 exec_lo, exec_lo, s40
                                        ; implicit-def: $vgpr45
.LBB2_345:                              ;   in Loop: Header=BB2_128 Depth=2
	s_and_not1_saveexec_b32 s10, s29
; %bb.346:                              ;   in Loop: Header=BB2_128 Depth=2
	v_or_b32_e32 v30, 0x7e, v45
; %bb.347:                              ;   in Loop: Header=BB2_128 Depth=2
	s_or_b32 exec_lo, exec_lo, s10
                                        ; implicit-def: $vgpr99
.LBB2_348:                              ;   in Loop: Header=BB2_128 Depth=2
	s_and_not1_saveexec_b32 s10, s12
; %bb.349:                              ;   in Loop: Header=BB2_128 Depth=2
	v_or_b32_e32 v30, 0x7f, v99
; %bb.350:                              ;   in Loop: Header=BB2_128 Depth=2
	s_or_b32 exec_lo, exec_lo, s10
	v_mov_b32_e32 v48, 0
	s_mov_b32 s11, exec_lo
	v_cmpx_lt_u64_e64 s[14:15], v[14:15]
	s_cbranch_execz .LBB2_358
; %bb.351:                              ;   in Loop: Header=BB2_128 Depth=2
	v_lshrrev_b32_e32 v14, 24, v15
	v_bfrev_b32_e32 v48, 1
	s_mov_b32 s12, exec_lo
	s_delay_alu instid0(VALU_DEP_2)
	v_cmpx_ne_u32_e32 0x80, v14
	s_cbranch_execz .LBB2_357
; %bb.352:                              ;   in Loop: Header=BB2_128 Depth=2
	v_bfe_u32 v98, v15, 24, 7
	v_mov_b32_e32 v48, 0x7f800001
	s_mov_b32 s29, exec_lo
	s_delay_alu instid0(VALU_DEP_2)
	v_cmpx_ne_u32_e32 0x7f, v98
	s_cbranch_execz .LBB2_356
; %bb.353:                              ;   in Loop: Header=BB2_128 Depth=2
	v_and_b32_e32 v48, 7, v14
	v_lshrrev_b32_e32 v15, 3, v98
	s_mov_b32 s40, exec_lo
	v_cmpx_gt_u32_e32 8, v98
; %bb.354:                              ;   in Loop: Header=BB2_128 Depth=2
	s_delay_alu instid0(VALU_DEP_3) | instskip(NEXT) | instid1(VALU_DEP_1)
	v_clz_i32_u32_e32 v15, v48
	v_min_u32_e32 v15, 32, v15
	s_delay_alu instid0(VALU_DEP_1) | instskip(NEXT) | instid1(VALU_DEP_1)
	v_subrev_nc_u32_e32 v98, 28, v15
	v_lshlrev_b64_e32 v[98:99], v98, v[48:49]
	s_delay_alu instid0(VALU_DEP_1)
	v_dual_sub_nc_u32 v15, 29, v15 :: v_dual_bitop2_b32 v48, 7, v98 bitop3:0x40
; %bb.355:                              ;   in Loop: Header=BB2_128 Depth=2
	s_or_b32 exec_lo, exec_lo, s40
	s_delay_alu instid0(VALU_DEP_1) | instskip(NEXT) | instid1(VALU_DEP_2)
	v_dual_lshlrev_b32 v14, 24, v14 :: v_dual_lshlrev_b32 v48, 20, v48
	v_lshl_add_u32 v15, v15, 23, 0x3c000000
	s_delay_alu instid0(VALU_DEP_2) | instskip(NEXT) | instid1(VALU_DEP_1)
	v_and_b32_e32 v14, 0x80000000, v14
	v_or3_b32 v48, v48, v14, v15
.LBB2_356:                              ;   in Loop: Header=BB2_128 Depth=2
	s_or_b32 exec_lo, exec_lo, s29
.LBB2_357:                              ;   in Loop: Header=BB2_128 Depth=2
	s_delay_alu instid0(SALU_CYCLE_1)
	s_or_b32 exec_lo, exec_lo, s12
.LBB2_358:                              ;   in Loop: Header=BB2_128 Depth=2
	s_delay_alu instid0(SALU_CYCLE_1) | instskip(SKIP_3) | instid1(VALU_DEP_3)
	s_or_b32 exec_lo, exec_lo, s11
	v_lshrrev_b32_e32 v14, 24, v11
	v_bfe_u32 v15, v11, 24, 7
	v_cmp_gt_u64_e64 s12, s[16:17], v[10:11]
	v_cmp_eq_u32_e64 s11, 0x80, v14
	s_delay_alu instid0(VALU_DEP_3) | instskip(NEXT) | instid1(VALU_DEP_2)
	v_cmp_eq_u32_e64 s10, 0x7f, v15
	v_cndmask_b32_e64 v98, 0x7f800001, v118, s11
	s_or_b32 s10, s11, s10
	s_delay_alu instid0(SALU_CYCLE_1) | instskip(NEXT) | instid1(VALU_DEP_1)
	s_nor_b32 s10, s12, s10
	v_cndmask_b32_e64 v10, v98, 0, s12
	s_and_saveexec_b32 s11, s10
	s_cbranch_execz .LBB2_360
; %bb.359:                              ;   in Loop: Header=BB2_128 Depth=2
	v_and_b32_e32 v98, 7, v14
	v_cmp_gt_u32_e64 s10, 8, v15
	s_delay_alu instid0(VALU_DEP_2) | instskip(NEXT) | instid1(VALU_DEP_1)
	v_clz_i32_u32_e32 v10, v98
	v_min_u32_e32 v99, 32, v10
	s_delay_alu instid0(VALU_DEP_1) | instskip(NEXT) | instid1(VALU_DEP_1)
	v_subrev_nc_u32_e32 v10, 28, v99
	v_lshlrev_b64_e32 v[10:11], v10, v[14:15]
	v_lshrrev_b32_e32 v11, 3, v15
	s_delay_alu instid0(VALU_DEP_2) | instskip(NEXT) | instid1(VALU_DEP_1)
	v_dual_sub_nc_u32 v99, 29, v99 :: v_dual_bitop2_b32 v10, 7, v10 bitop3:0x40
	v_dual_lshlrev_b32 v14, 24, v14 :: v_dual_cndmask_b32 v11, v11, v99, s10
	s_delay_alu instid0(VALU_DEP_2) | instskip(NEXT) | instid1(VALU_DEP_2)
	v_cndmask_b32_e64 v10, v98, v10, s10
	v_and_b32_e32 v14, 0x80000000, v14
	s_delay_alu instid0(VALU_DEP_3) | instskip(NEXT) | instid1(VALU_DEP_3)
	v_lshl_add_u32 v11, v11, 23, 0x3c000000
	v_lshlrev_b32_e32 v10, 20, v10
	s_delay_alu instid0(VALU_DEP_1)
	v_or3_b32 v10, v10, v14, v11
.LBB2_360:                              ;   in Loop: Header=BB2_128 Depth=2
	s_or_b32 exec_lo, exec_lo, s11
	s_delay_alu instid0(VALU_DEP_1) | instskip(SKIP_1) | instid1(VALU_DEP_1)
	v_mul_f32_e32 v10, v48, v10
                                        ; implicit-def: $vgpr100
	s_mov_b32 s11, exec_lo
	v_and_b32_e32 v48, 0x7f800000, v10
	v_lshrrev_b32_e32 v11, 24, v10
	s_delay_alu instid0(VALU_DEP_2)
	v_cmpx_ne_u64_e32 0x7f800000, v[48:49]
	s_xor_b32 s12, exec_lo, s11
	s_cbranch_execz .LBB2_374
; %bb.361:                              ;   in Loop: Header=BB2_128 Depth=2
	v_and_b32_e32 v48, 0x7fffffff, v10
	v_and_b32_e32 v98, 0x80, v11
                                        ; implicit-def: $vgpr100
	s_mov_b32 s11, exec_lo
	s_delay_alu instid0(VALU_DEP_2)
	v_cmpx_gt_u64_e32 0x43e00001, v[48:49]
	s_xor_b32 s29, exec_lo, s11
	s_cbranch_execz .LBB2_371
; %bb.362:                              ;   in Loop: Header=BB2_128 Depth=2
	v_mov_b32_e32 v100, 0
	s_mov_b32 s40, exec_lo
	v_cmpx_ne_u32_e32 0, v10
	s_cbranch_execz .LBB2_370
; %bb.363:                              ;   in Loop: Header=BB2_128 Depth=2
	v_bfe_u32 v99, v10, 23, 8
	v_and_b32_e32 v14, 0x7fffff, v10
	s_delay_alu instid0(VALU_DEP_2) | instskip(SKIP_1) | instid1(VALU_DEP_3)
	v_sub_nc_u32_e32 v11, 0x79, v99
	v_cmp_gt_u32_e64 s10, 0x7a, v99
	v_or_b32_e32 v15, 0x800000, v14
	s_delay_alu instid0(VALU_DEP_2) | instskip(SKIP_1) | instid1(VALU_DEP_1)
	v_cndmask_b32_e64 v11, 0, v11, s10
	v_cmp_eq_u32_e64 s10, 0, v99
	v_cndmask_b32_e64 v100, v11, 0x78, s10
	s_delay_alu instid0(VALU_DEP_1) | instskip(SKIP_1) | instid1(VALU_DEP_2)
	v_dual_cndmask_b32 v48, v15, v14, s10 :: v_dual_add_nc_u32 v101, 19, v100
	v_add_nc_u32_e32 v10, 20, v100
	v_lshlrev_b64_e64 v[14:15], v101, 1
	s_delay_alu instid0(VALU_DEP_2) | instskip(NEXT) | instid1(VALU_DEP_1)
	v_lshlrev_b64_e64 v[10:11], v10, -1
	v_bfi_b32 v47, v11, 0, 0
	s_delay_alu instid0(VALU_DEP_2) | instskip(SKIP_1) | instid1(VALU_DEP_2)
	v_bfi_b32 v46, v10, 0, v48
	v_lshrrev_b64 v[10:11], v100, v[48:49]
	v_cmp_eq_u64_e64 s11, v[46:47], v[14:15]
	s_delay_alu instid0(VALU_DEP_2)
	v_mov_b64_e32 v[14:15], v[10:11]
	s_and_saveexec_b32 s41, s11
; %bb.364:                              ;   in Loop: Header=BB2_128 Depth=2
	v_bfe_u32 v48, v10, 20, 1
	s_delay_alu instid0(VALU_DEP_1) | instskip(NEXT) | instid1(VALU_DEP_1)
	v_add_nc_u64_e32 v[14:15], v[10:11], v[48:49]
	v_add_nc_u64_e32 v[14:15], -1, v[14:15]
; %bb.365:                              ;   in Loop: Header=BB2_128 Depth=2
	s_or_b32 exec_lo, exec_lo, s41
	v_add_nc_u32_e32 v11, 0xffffff81, v99
	v_lshrrev_b32_e32 v15, 23, v10
	s_mov_b32 s11, exec_lo
	s_delay_alu instid0(VALU_DEP_2) | instskip(NEXT) | instid1(VALU_DEP_1)
	v_cndmask_b32_e64 v11, v11, 0xffffff82, s10
	v_add3_u32 v15, v100, v11, v15
	v_and_b32_e32 v11, 0xfffff, v14
                                        ; implicit-def: $vgpr14
	s_delay_alu instid0(VALU_DEP_1) | instskip(NEXT) | instid1(VALU_DEP_1)
	v_dual_add_nc_u32 v99, 6, v15 :: v_dual_add_nc_u32 v48, v11, v10
                                        ; implicit-def: $vgpr10_vgpr11
	v_cmpx_ne_u32_e32 0, v99
	s_xor_b32 s11, exec_lo, s11
; %bb.366:                              ;   in Loop: Header=BB2_128 Depth=2
	s_delay_alu instid0(VALU_DEP_2) | instskip(SKIP_1) | instid1(VALU_DEP_1)
	v_cmp_lt_u64_e64 s10, 0xffffff, v[48:49]
	v_add_nc_u32_e32 v10, 7, v15
	v_cndmask_b32_e64 v14, v99, v10, s10
	v_cndmask_b32_e64 v10, 0, 1, s10
	s_delay_alu instid0(VALU_DEP_1)
	v_lshrrev_b64 v[10:11], v10, v[48:49]
; %bb.367:                              ;   in Loop: Header=BB2_128 Depth=2
	s_and_not1_saveexec_b32 s10, s11
; %bb.368:                              ;   in Loop: Header=BB2_128 Depth=2
	v_mov_b64_e32 v[10:11], v[48:49]
	v_bfe_u32 v14, v48, 23, 1
; %bb.369:                              ;   in Loop: Header=BB2_128 Depth=2
	s_or_b32 exec_lo, exec_lo, s10
	s_delay_alu instid0(VALU_DEP_2) | instskip(NEXT) | instid1(VALU_DEP_2)
	v_lshrrev_b64 v[10:11], 20, v[10:11]
	v_cmp_gt_i32_e64 s10, 16, v14
	v_min_i32_e32 v15, 15, v14
	v_cmp_eq_u32_e64 s11, 0, v14
	s_delay_alu instid0(VALU_DEP_3) | instskip(NEXT) | instid1(VALU_DEP_3)
	v_cndmask_b32_e64 v11, 0, v11, s10
	v_dual_lshlrev_b32 v15, 3, v15 :: v_dual_cndmask_b32 v10, 7, v10, s10
	s_delay_alu instid0(VALU_DEP_1) | instskip(NEXT) | instid1(VALU_DEP_2)
	v_and_b32_e32 v15, 0xf8, v15
	v_cmp_eq_u64_e64 s10, 0, v[10:11]
	s_delay_alu instid0(VALU_DEP_2)
	v_and_or_b32 v10, v10, 7, v15
	s_and_b32 s10, s11, s10
	s_delay_alu instid0(VALU_DEP_1) | instid1(SALU_CYCLE_1)
	v_cndmask_b32_e64 v10, v10, 0, s10
	s_delay_alu instid0(VALU_DEP_1)
	v_or_b32_e32 v100, v10, v98
.LBB2_370:                              ;   in Loop: Header=BB2_128 Depth=2
	s_or_b32 exec_lo, exec_lo, s40
                                        ; implicit-def: $vgpr98
.LBB2_371:                              ;   in Loop: Header=BB2_128 Depth=2
	s_and_not1_saveexec_b32 s10, s29
; %bb.372:                              ;   in Loop: Header=BB2_128 Depth=2
	v_or_b32_e32 v100, 0x7e, v98
; %bb.373:                              ;   in Loop: Header=BB2_128 Depth=2
	s_or_b32 exec_lo, exec_lo, s10
                                        ; implicit-def: $vgpr11
.LBB2_374:                              ;   in Loop: Header=BB2_128 Depth=2
	s_and_not1_saveexec_b32 s10, s12
; %bb.375:                              ;   in Loop: Header=BB2_128 Depth=2
	v_or_b32_e32 v100, 0x7f, v11
; %bb.376:                              ;   in Loop: Header=BB2_128 Depth=2
	s_or_b32 exec_lo, exec_lo, s10
	v_and_b32_e32 v11, 0xff, v16
	v_mov_b32_e32 v10, 0
	s_mov_b32 s11, exec_lo
	s_delay_alu instid0(VALU_DEP_2)
	v_cmpx_ne_u16_e32 0, v11
	s_cbranch_execz .LBB2_382
; %bb.377:                              ;   in Loop: Header=BB2_128 Depth=2
	v_bfrev_b32_e32 v10, 1
	s_mov_b32 s12, exec_lo
	v_cmpx_ne_u16_e32 0x80, v11
	s_cbranch_execz .LBB2_381
; %bb.378:                              ;   in Loop: Header=BB2_128 Depth=2
	v_and_b32_e32 v11, 0x7f, v16
	v_mov_b32_e32 v10, 0x7f800001
	s_mov_b32 s29, exec_lo
	s_delay_alu instid0(VALU_DEP_2)
	v_cmpx_ne_u32_e32 0x7f, v11
	s_cbranch_execz .LBB2_380
; %bb.379:                              ;   in Loop: Header=BB2_128 Depth=2
	v_dual_lshrrev_b32 v14, 3, v11 :: v_dual_bitop2_b32 v10, 7, v16 bitop3:0x40
	v_cmp_gt_u32_e64 s10, 8, v11
	s_delay_alu instid0(VALU_DEP_2) | instskip(NEXT) | instid1(VALU_DEP_1)
	v_clz_i32_u32_e32 v10, v10
	v_min_u32_e32 v10, 32, v10
	s_delay_alu instid0(VALU_DEP_1) | instskip(SKIP_1) | instid1(VALU_DEP_1)
	v_subrev_nc_u32_e32 v15, 28, v10
	v_sub_nc_u32_e32 v10, 29, v10
	v_dual_cndmask_b32 v14, v14, v10, s10 :: v_dual_cndmask_b32 v10, 0, v15, s10
	s_delay_alu instid0(VALU_DEP_1) | instskip(NEXT) | instid1(VALU_DEP_2)
	v_lshl_add_u32 v14, v14, 23, 0x3c000000
	v_lshlrev_b64_e32 v[10:11], v10, v[16:17]
	v_lshlrev_b32_e32 v11, 24, v16
	s_delay_alu instid0(VALU_DEP_1) | instskip(NEXT) | instid1(VALU_DEP_3)
	v_and_b32_e32 v11, 0x80000000, v11
	v_lshlrev_b32_e32 v10, 20, v10
	s_delay_alu instid0(VALU_DEP_1) | instskip(NEXT) | instid1(VALU_DEP_1)
	v_and_b32_e32 v10, 0x700000, v10
	v_or3_b32 v10, v10, v11, v14
.LBB2_380:                              ;   in Loop: Header=BB2_128 Depth=2
	s_or_b32 exec_lo, exec_lo, s29
.LBB2_381:                              ;   in Loop: Header=BB2_128 Depth=2
	s_delay_alu instid0(SALU_CYCLE_1)
	s_or_b32 exec_lo, exec_lo, s12
.LBB2_382:                              ;   in Loop: Header=BB2_128 Depth=2
	s_delay_alu instid0(SALU_CYCLE_1) | instskip(SKIP_3) | instid1(VALU_DEP_1)
	s_or_b32 exec_lo, exec_lo, s11
	v_and_b32_e32 v14, 0xff, v12
	s_mov_b32 s11, 0
	s_mov_b32 s12, exec_lo
	v_cmpx_lt_i16_e32 0x7f, v14
	s_xor_b32 s12, exec_lo, s12
	s_cbranch_execz .LBB2_417
; %bb.383:                              ;   in Loop: Header=BB2_128 Depth=2
	s_mov_b32 s11, -1
	s_mov_b32 s29, exec_lo
	v_cmpx_eq_u16_e32 0x80, v14
; %bb.384:                              ;   in Loop: Header=BB2_128 Depth=2
	s_xor_b32 s11, exec_lo, -1
; %bb.385:                              ;   in Loop: Header=BB2_128 Depth=2
	s_or_b32 exec_lo, exec_lo, s29
	s_delay_alu instid0(SALU_CYCLE_1)
	s_and_b32 s11, s11, exec_lo
                                        ; implicit-def: $vgpr14
	s_or_saveexec_b32 s12, s12
	v_bfrev_b32_e32 v11, 1
	s_xor_b32 exec_lo, exec_lo, s12
	s_cbranch_execnz .LBB2_418
.LBB2_386:                              ;   in Loop: Header=BB2_128 Depth=2
	s_or_b32 exec_lo, exec_lo, s12
	s_and_saveexec_b32 s12, s11
	s_cbranch_execz .LBB2_388
.LBB2_387:                              ;   in Loop: Header=BB2_128 Depth=2
	v_and_b32_e32 v48, 0x7f, v12
	v_bfe_u32 v14, v12, 3, 4
	s_delay_alu instid0(VALU_DEP_2) | instskip(SKIP_1) | instid1(VALU_DEP_1)
	v_cmp_gt_u32_e64 s10, 8, v48
	v_and_b32_e32 v11, 7, v12
	v_clz_i32_u32_e32 v11, v11
	s_delay_alu instid0(VALU_DEP_1) | instskip(NEXT) | instid1(VALU_DEP_1)
	v_min_u32_e32 v11, 32, v11
	v_subrev_nc_u32_e32 v15, 28, v11
	v_sub_nc_u32_e32 v11, 29, v11
	s_delay_alu instid0(VALU_DEP_1) | instskip(NEXT) | instid1(VALU_DEP_3)
	v_cndmask_b32_e64 v11, v14, v11, s10
	v_cndmask_b32_e64 v14, 0, v15, s10
	v_cmp_ne_u32_e64 s10, 0x7f, v48
	s_delay_alu instid0(VALU_DEP_2) | instskip(SKIP_1) | instid1(VALU_DEP_1)
	v_lshlrev_b64_e32 v[14:15], v14, v[12:13]
	v_lshlrev_b32_e32 v15, 24, v12
	v_and_b32_e32 v15, 0x80000000, v15
	s_delay_alu instid0(VALU_DEP_3) | instskip(SKIP_1) | instid1(VALU_DEP_2)
	v_lshlrev_b32_e32 v14, 20, v14
	v_lshl_add_u32 v11, v11, 23, 0x3c000000
	v_and_b32_e32 v14, 0x700000, v14
	s_delay_alu instid0(VALU_DEP_1) | instskip(NEXT) | instid1(VALU_DEP_1)
	v_or3_b32 v11, v14, v15, v11
	v_cndmask_b32_e64 v11, 0x7f800001, v11, s10
.LBB2_388:                              ;   in Loop: Header=BB2_128 Depth=2
	s_or_b32 exec_lo, exec_lo, s12
	s_delay_alu instid0(VALU_DEP_1) | instskip(SKIP_1) | instid1(VALU_DEP_1)
	v_mul_f32_e32 v10, v10, v11
                                        ; implicit-def: $vgpr101
	s_mov_b32 s11, exec_lo
	v_and_b32_e32 v48, 0x7f800000, v10
	v_lshrrev_b32_e32 v11, 24, v10
	s_delay_alu instid0(VALU_DEP_2)
	v_cmpx_ne_u64_e32 0x7f800000, v[48:49]
	s_xor_b32 s12, exec_lo, s11
	s_cbranch_execz .LBB2_402
; %bb.389:                              ;   in Loop: Header=BB2_128 Depth=2
	v_and_b32_e32 v48, 0x7fffffff, v10
	v_and_b32_e32 v98, 0x80, v11
                                        ; implicit-def: $vgpr101
	s_mov_b32 s11, exec_lo
	s_delay_alu instid0(VALU_DEP_2)
	v_cmpx_gt_u64_e32 0x43e00001, v[48:49]
	s_xor_b32 s29, exec_lo, s11
	s_cbranch_execz .LBB2_399
; %bb.390:                              ;   in Loop: Header=BB2_128 Depth=2
	v_mov_b32_e32 v101, 0
	s_mov_b32 s40, exec_lo
	v_cmpx_ne_u32_e32 0, v10
	s_cbranch_execz .LBB2_398
; %bb.391:                              ;   in Loop: Header=BB2_128 Depth=2
	v_bfe_u32 v99, v10, 23, 8
	v_and_b32_e32 v14, 0x7fffff, v10
	s_delay_alu instid0(VALU_DEP_2) | instskip(SKIP_1) | instid1(VALU_DEP_3)
	v_sub_nc_u32_e32 v11, 0x79, v99
	v_cmp_gt_u32_e64 s10, 0x7a, v99
	v_or_b32_e32 v15, 0x800000, v14
	s_delay_alu instid0(VALU_DEP_2) | instskip(SKIP_1) | instid1(VALU_DEP_1)
	v_cndmask_b32_e64 v11, 0, v11, s10
	v_cmp_eq_u32_e64 s10, 0, v99
	v_cndmask_b32_e64 v101, v11, 0x78, s10
	s_delay_alu instid0(VALU_DEP_1) | instskip(SKIP_1) | instid1(VALU_DEP_2)
	v_dual_cndmask_b32 v48, v15, v14, s10 :: v_dual_add_nc_u32 v45, 19, v101
	v_add_nc_u32_e32 v10, 20, v101
	v_lshlrev_b64_e64 v[14:15], v45, 1
	s_delay_alu instid0(VALU_DEP_2) | instskip(NEXT) | instid1(VALU_DEP_1)
	v_lshlrev_b64_e64 v[10:11], v10, -1
	v_bfi_b32 v47, v11, 0, 0
	s_delay_alu instid0(VALU_DEP_2) | instskip(SKIP_1) | instid1(VALU_DEP_2)
	v_bfi_b32 v46, v10, 0, v48
	v_lshrrev_b64 v[10:11], v101, v[48:49]
	v_cmp_eq_u64_e64 s11, v[46:47], v[14:15]
	s_delay_alu instid0(VALU_DEP_2)
	v_mov_b64_e32 v[14:15], v[10:11]
	s_and_saveexec_b32 s41, s11
; %bb.392:                              ;   in Loop: Header=BB2_128 Depth=2
	v_bfe_u32 v48, v10, 20, 1
	s_delay_alu instid0(VALU_DEP_1) | instskip(NEXT) | instid1(VALU_DEP_1)
	v_add_nc_u64_e32 v[14:15], v[10:11], v[48:49]
	v_add_nc_u64_e32 v[14:15], -1, v[14:15]
; %bb.393:                              ;   in Loop: Header=BB2_128 Depth=2
	s_or_b32 exec_lo, exec_lo, s41
	v_add_nc_u32_e32 v11, 0xffffff81, v99
	v_lshrrev_b32_e32 v15, 23, v10
	s_mov_b32 s11, exec_lo
	s_delay_alu instid0(VALU_DEP_2) | instskip(NEXT) | instid1(VALU_DEP_1)
	v_cndmask_b32_e64 v11, v11, 0xffffff82, s10
	v_add3_u32 v15, v101, v11, v15
	v_and_b32_e32 v11, 0xfffff, v14
                                        ; implicit-def: $vgpr14
	s_delay_alu instid0(VALU_DEP_1) | instskip(NEXT) | instid1(VALU_DEP_1)
	v_dual_add_nc_u32 v99, 6, v15 :: v_dual_add_nc_u32 v48, v11, v10
                                        ; implicit-def: $vgpr10_vgpr11
	v_cmpx_ne_u32_e32 0, v99
	s_xor_b32 s11, exec_lo, s11
; %bb.394:                              ;   in Loop: Header=BB2_128 Depth=2
	s_delay_alu instid0(VALU_DEP_2) | instskip(SKIP_1) | instid1(VALU_DEP_1)
	v_cmp_lt_u64_e64 s10, 0xffffff, v[48:49]
	v_add_nc_u32_e32 v10, 7, v15
	v_cndmask_b32_e64 v14, v99, v10, s10
	v_cndmask_b32_e64 v10, 0, 1, s10
	s_delay_alu instid0(VALU_DEP_1)
	v_lshrrev_b64 v[10:11], v10, v[48:49]
; %bb.395:                              ;   in Loop: Header=BB2_128 Depth=2
	s_and_not1_saveexec_b32 s10, s11
; %bb.396:                              ;   in Loop: Header=BB2_128 Depth=2
	v_mov_b64_e32 v[10:11], v[48:49]
	v_bfe_u32 v14, v48, 23, 1
; %bb.397:                              ;   in Loop: Header=BB2_128 Depth=2
	s_or_b32 exec_lo, exec_lo, s10
	s_delay_alu instid0(VALU_DEP_2) | instskip(NEXT) | instid1(VALU_DEP_2)
	v_lshrrev_b64 v[10:11], 20, v[10:11]
	v_cmp_gt_i32_e64 s10, 16, v14
	v_min_i32_e32 v15, 15, v14
	v_cmp_eq_u32_e64 s11, 0, v14
	s_delay_alu instid0(VALU_DEP_3) | instskip(NEXT) | instid1(VALU_DEP_3)
	v_cndmask_b32_e64 v11, 0, v11, s10
	v_dual_lshlrev_b32 v15, 3, v15 :: v_dual_cndmask_b32 v10, 7, v10, s10
	s_delay_alu instid0(VALU_DEP_1) | instskip(NEXT) | instid1(VALU_DEP_2)
	v_and_b32_e32 v15, 0xf8, v15
	v_cmp_eq_u64_e64 s10, 0, v[10:11]
	s_delay_alu instid0(VALU_DEP_2)
	v_and_or_b32 v10, v10, 7, v15
	s_and_b32 s10, s11, s10
	s_delay_alu instid0(VALU_DEP_1) | instid1(SALU_CYCLE_1)
	v_cndmask_b32_e64 v10, v10, 0, s10
	s_delay_alu instid0(VALU_DEP_1)
	v_or_b32_e32 v101, v10, v98
.LBB2_398:                              ;   in Loop: Header=BB2_128 Depth=2
	s_or_b32 exec_lo, exec_lo, s40
                                        ; implicit-def: $vgpr98
.LBB2_399:                              ;   in Loop: Header=BB2_128 Depth=2
	s_and_not1_saveexec_b32 s10, s29
; %bb.400:                              ;   in Loop: Header=BB2_128 Depth=2
	v_or_b32_e32 v101, 0x7e, v98
; %bb.401:                              ;   in Loop: Header=BB2_128 Depth=2
	s_or_b32 exec_lo, exec_lo, s10
                                        ; implicit-def: $vgpr11
.LBB2_402:                              ;   in Loop: Header=BB2_128 Depth=2
	s_and_not1_saveexec_b32 s10, s12
; %bb.403:                              ;   in Loop: Header=BB2_128 Depth=2
	v_or_b32_e32 v101, 0x7f, v11
; %bb.404:                              ;   in Loop: Header=BB2_128 Depth=2
	s_or_b32 exec_lo, exec_lo, s10
	v_lshrrev_b16 v10, 8, v16
	v_mov_b32_e32 v11, 0
	s_mov_b32 s11, exec_lo
	s_delay_alu instid0(VALU_DEP_2)
	v_cmpx_ne_u16_e32 0, v10
	s_cbranch_execz .LBB2_412
; %bb.405:                              ;   in Loop: Header=BB2_128 Depth=2
	v_bfrev_b32_e32 v11, 1
	s_mov_b32 s12, exec_lo
	v_cmpx_ne_u16_e32 0x80, v10
	s_cbranch_execz .LBB2_411
; %bb.406:                              ;   in Loop: Header=BB2_128 Depth=2
	v_and_b32_e32 v10, 0xffff, v10
	v_mov_b32_e32 v11, 0x7f800001
	s_mov_b32 s29, exec_lo
	s_delay_alu instid0(VALU_DEP_2) | instskip(NEXT) | instid1(VALU_DEP_1)
	v_and_b32_e32 v14, 0x7f, v10
	v_cmpx_ne_u32_e32 0x7f, v14
	s_cbranch_execz .LBB2_410
; %bb.407:                              ;   in Loop: Header=BB2_128 Depth=2
	v_and_b32_e32 v48, 7, v10
	v_lshrrev_b32_e32 v10, 3, v14
	s_mov_b32 s40, exec_lo
	v_cmpx_gt_u32_e32 8, v14
; %bb.408:                              ;   in Loop: Header=BB2_128 Depth=2
	s_delay_alu instid0(VALU_DEP_3) | instskip(NEXT) | instid1(VALU_DEP_1)
	v_clz_i32_u32_e32 v10, v48
	v_min_u32_e32 v10, 32, v10
	s_delay_alu instid0(VALU_DEP_1) | instskip(SKIP_1) | instid1(VALU_DEP_2)
	v_subrev_nc_u32_e32 v11, 28, v10
	v_sub_nc_u32_e32 v10, 29, v10
	v_lshlrev_b64_e32 v[14:15], v11, v[48:49]
	s_delay_alu instid0(VALU_DEP_1)
	v_and_b32_e32 v48, 7, v14
; %bb.409:                              ;   in Loop: Header=BB2_128 Depth=2
	s_or_b32 exec_lo, exec_lo, s40
	v_lshlrev_b32_e32 v11, 16, v16
	s_delay_alu instid0(VALU_DEP_2) | instskip(SKIP_1) | instid1(VALU_DEP_3)
	v_lshlrev_b32_e32 v14, 20, v48
	v_lshl_add_u32 v10, v10, 23, 0x3c000000
	v_and_b32_e32 v11, 0x80000000, v11
	s_delay_alu instid0(VALU_DEP_1)
	v_or3_b32 v11, v14, v11, v10
.LBB2_410:                              ;   in Loop: Header=BB2_128 Depth=2
	s_or_b32 exec_lo, exec_lo, s29
.LBB2_411:                              ;   in Loop: Header=BB2_128 Depth=2
	s_delay_alu instid0(SALU_CYCLE_1)
	s_or_b32 exec_lo, exec_lo, s12
.LBB2_412:                              ;   in Loop: Header=BB2_128 Depth=2
	s_delay_alu instid0(SALU_CYCLE_1) | instskip(SKIP_3) | instid1(VALU_DEP_1)
	s_or_b32 exec_lo, exec_lo, s11
	v_lshrrev_b16 v14, 8, v12
	s_mov_b32 s12, 0
	s_mov_b32 s11, exec_lo
	v_cmpx_lt_i16_e32 0x7f, v14
	s_xor_b32 s11, exec_lo, s11
	s_cbranch_execz .LBB2_419
; %bb.413:                              ;   in Loop: Header=BB2_128 Depth=2
	s_mov_b32 s12, -1
	s_mov_b32 s29, exec_lo
	v_cmpx_eq_u16_e32 0x80, v14
; %bb.414:                              ;   in Loop: Header=BB2_128 Depth=2
	s_xor_b32 s12, exec_lo, -1
; %bb.415:                              ;   in Loop: Header=BB2_128 Depth=2
	s_or_b32 exec_lo, exec_lo, s29
	s_delay_alu instid0(SALU_CYCLE_1)
	s_and_b32 s12, s12, exec_lo
	s_or_saveexec_b32 s11, s11
	v_bfrev_b32_e32 v15, 1
	s_xor_b32 exec_lo, exec_lo, s11
	s_cbranch_execnz .LBB2_420
.LBB2_416:                              ;   in Loop: Header=BB2_128 Depth=2
	s_or_b32 exec_lo, exec_lo, s11
	s_and_saveexec_b32 s11, s12
	s_cbranch_execnz .LBB2_421
	s_branch .LBB2_424
.LBB2_417:                              ;   in Loop: Header=BB2_128 Depth=2
	s_or_saveexec_b32 s12, s12
	v_bfrev_b32_e32 v11, 1
	s_xor_b32 exec_lo, exec_lo, s12
	s_cbranch_execz .LBB2_386
.LBB2_418:                              ;   in Loop: Header=BB2_128 Depth=2
	v_cmp_ne_u16_e64 s10, 0, v14
	v_mov_b32_e32 v11, 0
	s_and_not1_b32 s11, s11, exec_lo
	s_and_b32 s10, s10, exec_lo
	s_delay_alu instid0(SALU_CYCLE_1)
	s_or_b32 s11, s11, s10
	s_or_b32 exec_lo, exec_lo, s12
	s_and_saveexec_b32 s12, s11
	s_cbranch_execnz .LBB2_387
	s_branch .LBB2_388
.LBB2_419:                              ;   in Loop: Header=BB2_128 Depth=2
	s_or_saveexec_b32 s11, s11
	v_bfrev_b32_e32 v15, 1
	s_xor_b32 exec_lo, exec_lo, s11
	s_cbranch_execz .LBB2_416
.LBB2_420:                              ;   in Loop: Header=BB2_128 Depth=2
	v_cmp_ne_u16_e64 s10, 0, v14
	v_mov_b32_e32 v15, 0
	s_and_not1_b32 s12, s12, exec_lo
	s_and_b32 s10, s10, exec_lo
	s_delay_alu instid0(SALU_CYCLE_1)
	s_or_b32 s12, s12, s10
	s_or_b32 exec_lo, exec_lo, s11
	s_and_saveexec_b32 s11, s12
	s_cbranch_execz .LBB2_424
.LBB2_421:                              ;   in Loop: Header=BB2_128 Depth=2
	v_and_b32_e32 v10, 0xffff, v14
	v_mov_b32_e32 v15, 0x7f800001
	s_mov_b32 s12, exec_lo
	s_delay_alu instid0(VALU_DEP_2) | instskip(NEXT) | instid1(VALU_DEP_1)
	v_and_b32_e32 v48, 0x7f, v10
	v_cmpx_ne_u32_e32 0x7f, v48
	s_cbranch_execz .LBB2_423
; %bb.422:                              ;   in Loop: Header=BB2_128 Depth=2
	v_and_b32_e32 v15, 7, v10
	v_cmp_gt_u32_e64 s10, 8, v48
	s_delay_alu instid0(VALU_DEP_2) | instskip(NEXT) | instid1(VALU_DEP_1)
	v_clz_i32_u32_e32 v98, v15
	v_min_u32_e32 v45, 32, v98
	s_delay_alu instid0(VALU_DEP_1) | instskip(NEXT) | instid1(VALU_DEP_1)
	v_subrev_nc_u32_e32 v98, 28, v45
	v_lshlrev_b64_e32 v[98:99], v98, v[10:11]
	v_dual_lshrrev_b32 v10, 3, v48 :: v_dual_sub_nc_u32 v99, 29, v45
	s_delay_alu instid0(VALU_DEP_2) | instskip(NEXT) | instid1(VALU_DEP_2)
	v_and_b32_e32 v48, 7, v98
	v_dual_lshlrev_b32 v14, 24, v14 :: v_dual_cndmask_b32 v10, v10, v99, s10
	s_delay_alu instid0(VALU_DEP_2) | instskip(NEXT) | instid1(VALU_DEP_2)
	v_cndmask_b32_e64 v15, v15, v48, s10
	v_and_b32_e32 v14, 0x80000000, v14
	s_delay_alu instid0(VALU_DEP_3) | instskip(NEXT) | instid1(VALU_DEP_3)
	v_lshl_add_u32 v10, v10, 23, 0x3c000000
	v_lshlrev_b32_e32 v15, 20, v15
	s_delay_alu instid0(VALU_DEP_1)
	v_or3_b32 v15, v15, v14, v10
.LBB2_423:                              ;   in Loop: Header=BB2_128 Depth=2
	s_or_b32 exec_lo, exec_lo, s12
.LBB2_424:                              ;   in Loop: Header=BB2_128 Depth=2
	s_delay_alu instid0(SALU_CYCLE_1) | instskip(NEXT) | instid1(VALU_DEP_1)
	s_or_b32 exec_lo, exec_lo, s11
	v_mul_f32_e32 v10, v11, v15
                                        ; implicit-def: $vgpr45
	s_mov_b32 s11, exec_lo
	s_delay_alu instid0(VALU_DEP_1) | instskip(SKIP_1) | instid1(VALU_DEP_2)
	v_and_b32_e32 v48, 0x7f800000, v10
	v_lshrrev_b32_e32 v11, 24, v10
	v_cmpx_ne_u64_e32 0x7f800000, v[48:49]
	s_xor_b32 s12, exec_lo, s11
	s_cbranch_execz .LBB2_438
; %bb.425:                              ;   in Loop: Header=BB2_128 Depth=2
	v_and_b32_e32 v48, 0x7fffffff, v10
	v_and_b32_e32 v98, 0x80, v11
                                        ; implicit-def: $vgpr45
	s_mov_b32 s11, exec_lo
	s_delay_alu instid0(VALU_DEP_2)
	v_cmpx_gt_u64_e32 0x43e00001, v[48:49]
	s_xor_b32 s29, exec_lo, s11
	s_cbranch_execz .LBB2_435
; %bb.426:                              ;   in Loop: Header=BB2_128 Depth=2
	v_mov_b32_e32 v45, 0
	s_mov_b32 s40, exec_lo
	v_cmpx_ne_u32_e32 0, v10
	s_cbranch_execz .LBB2_434
; %bb.427:                              ;   in Loop: Header=BB2_128 Depth=2
	v_bfe_u32 v99, v10, 23, 8
	v_and_b32_e32 v14, 0x7fffff, v10
	s_delay_alu instid0(VALU_DEP_2) | instskip(SKIP_1) | instid1(VALU_DEP_3)
	v_sub_nc_u32_e32 v11, 0x79, v99
	v_cmp_gt_u32_e64 s10, 0x7a, v99
	v_or_b32_e32 v15, 0x800000, v14
	s_delay_alu instid0(VALU_DEP_2) | instskip(SKIP_1) | instid1(VALU_DEP_1)
	v_cndmask_b32_e64 v11, 0, v11, s10
	v_cmp_eq_u32_e64 s10, 0, v99
	v_cndmask_b32_e64 v45, v11, 0x78, s10
	s_delay_alu instid0(VALU_DEP_1) | instskip(SKIP_1) | instid1(VALU_DEP_2)
	v_dual_cndmask_b32 v48, v15, v14, s10 :: v_dual_add_nc_u32 v46, 19, v45
	v_add_nc_u32_e32 v10, 20, v45
	v_lshlrev_b64_e64 v[14:15], v46, 1
	s_delay_alu instid0(VALU_DEP_2) | instskip(NEXT) | instid1(VALU_DEP_1)
	v_lshlrev_b64_e64 v[10:11], v10, -1
	v_bfi_b32 v47, v11, 0, 0
	s_delay_alu instid0(VALU_DEP_2) | instskip(SKIP_1) | instid1(VALU_DEP_2)
	v_bfi_b32 v46, v10, 0, v48
	v_lshrrev_b64 v[10:11], v45, v[48:49]
	v_cmp_eq_u64_e64 s11, v[46:47], v[14:15]
	s_delay_alu instid0(VALU_DEP_2)
	v_mov_b64_e32 v[14:15], v[10:11]
	s_and_saveexec_b32 s41, s11
; %bb.428:                              ;   in Loop: Header=BB2_128 Depth=2
	v_bfe_u32 v48, v10, 20, 1
	s_delay_alu instid0(VALU_DEP_1) | instskip(NEXT) | instid1(VALU_DEP_1)
	v_add_nc_u64_e32 v[14:15], v[10:11], v[48:49]
	v_add_nc_u64_e32 v[14:15], -1, v[14:15]
; %bb.429:                              ;   in Loop: Header=BB2_128 Depth=2
	s_or_b32 exec_lo, exec_lo, s41
	v_add_nc_u32_e32 v11, 0xffffff81, v99
	v_lshrrev_b32_e32 v15, 23, v10
	s_mov_b32 s11, exec_lo
	s_delay_alu instid0(VALU_DEP_2) | instskip(NEXT) | instid1(VALU_DEP_1)
	v_cndmask_b32_e64 v11, v11, 0xffffff82, s10
	v_add3_u32 v15, v45, v11, v15
	v_and_b32_e32 v11, 0xfffff, v14
                                        ; implicit-def: $vgpr14
	s_delay_alu instid0(VALU_DEP_1) | instskip(NEXT) | instid1(VALU_DEP_1)
	v_dual_add_nc_u32 v99, 6, v15 :: v_dual_add_nc_u32 v48, v11, v10
                                        ; implicit-def: $vgpr10_vgpr11
	v_cmpx_ne_u32_e32 0, v99
	s_xor_b32 s11, exec_lo, s11
; %bb.430:                              ;   in Loop: Header=BB2_128 Depth=2
	s_delay_alu instid0(VALU_DEP_2) | instskip(SKIP_1) | instid1(VALU_DEP_1)
	v_cmp_lt_u64_e64 s10, 0xffffff, v[48:49]
	v_add_nc_u32_e32 v10, 7, v15
	v_cndmask_b32_e64 v14, v99, v10, s10
	v_cndmask_b32_e64 v10, 0, 1, s10
	s_delay_alu instid0(VALU_DEP_1)
	v_lshrrev_b64 v[10:11], v10, v[48:49]
; %bb.431:                              ;   in Loop: Header=BB2_128 Depth=2
	s_and_not1_saveexec_b32 s10, s11
; %bb.432:                              ;   in Loop: Header=BB2_128 Depth=2
	v_mov_b64_e32 v[10:11], v[48:49]
	v_bfe_u32 v14, v48, 23, 1
; %bb.433:                              ;   in Loop: Header=BB2_128 Depth=2
	s_or_b32 exec_lo, exec_lo, s10
	s_delay_alu instid0(VALU_DEP_2) | instskip(NEXT) | instid1(VALU_DEP_2)
	v_lshrrev_b64 v[10:11], 20, v[10:11]
	v_cmp_gt_i32_e64 s10, 16, v14
	v_min_i32_e32 v15, 15, v14
	v_cmp_eq_u32_e64 s11, 0, v14
	s_delay_alu instid0(VALU_DEP_3) | instskip(NEXT) | instid1(VALU_DEP_3)
	v_cndmask_b32_e64 v11, 0, v11, s10
	v_dual_lshlrev_b32 v15, 3, v15 :: v_dual_cndmask_b32 v10, 7, v10, s10
	s_delay_alu instid0(VALU_DEP_1) | instskip(NEXT) | instid1(VALU_DEP_2)
	v_and_b32_e32 v15, 0xf8, v15
	v_cmp_eq_u64_e64 s10, 0, v[10:11]
	s_delay_alu instid0(VALU_DEP_2)
	v_and_or_b32 v10, v10, 7, v15
	s_and_b32 s10, s11, s10
	s_delay_alu instid0(VALU_DEP_1) | instid1(SALU_CYCLE_1)
	v_cndmask_b32_e64 v10, v10, 0, s10
	s_delay_alu instid0(VALU_DEP_1)
	v_or_b32_e32 v45, v10, v98
.LBB2_434:                              ;   in Loop: Header=BB2_128 Depth=2
	s_or_b32 exec_lo, exec_lo, s40
                                        ; implicit-def: $vgpr98
.LBB2_435:                              ;   in Loop: Header=BB2_128 Depth=2
	s_and_not1_saveexec_b32 s10, s29
; %bb.436:                              ;   in Loop: Header=BB2_128 Depth=2
	v_or_b32_e32 v45, 0x7e, v98
; %bb.437:                              ;   in Loop: Header=BB2_128 Depth=2
	s_or_b32 exec_lo, exec_lo, s10
                                        ; implicit-def: $vgpr11
.LBB2_438:                              ;   in Loop: Header=BB2_128 Depth=2
	s_and_not1_saveexec_b32 s10, s12
; %bb.439:                              ;   in Loop: Header=BB2_128 Depth=2
	v_or_b32_e32 v45, 0x7f, v11
; %bb.440:                              ;   in Loop: Header=BB2_128 Depth=2
	s_or_b32 exec_lo, exec_lo, s10
	v_dual_mov_b32 v11, 0 :: v_dual_lshrrev_b32 v10, 16, v16
	s_mov_b32 s11, exec_lo
	s_delay_alu instid0(VALU_DEP_1) | instskip(NEXT) | instid1(VALU_DEP_1)
	v_and_b32_e32 v14, 0xff, v10
	v_cmpx_ne_u16_e32 0, v14
	s_cbranch_execz .LBB2_448
; %bb.441:                              ;   in Loop: Header=BB2_128 Depth=2
	v_bfrev_b32_e32 v11, 1
	s_mov_b32 s12, exec_lo
	v_cmpx_ne_u16_e32 0x80, v14
	s_cbranch_execz .LBB2_447
; %bb.442:                              ;   in Loop: Header=BB2_128 Depth=2
	v_bfe_u32 v14, v16, 16, 7
	v_mov_b32_e32 v11, 0x7f800001
	s_mov_b32 s29, exec_lo
	s_delay_alu instid0(VALU_DEP_2)
	v_cmpx_ne_u32_e32 0x7f, v14
	s_cbranch_execz .LBB2_446
; %bb.443:                              ;   in Loop: Header=BB2_128 Depth=2
	v_and_b32_e32 v48, 7, v10
	v_lshrrev_b32_e32 v11, 3, v14
	s_mov_b32 s40, exec_lo
	v_cmpx_gt_u32_e32 8, v14
; %bb.444:                              ;   in Loop: Header=BB2_128 Depth=2
	s_delay_alu instid0(VALU_DEP_3) | instskip(NEXT) | instid1(VALU_DEP_1)
	v_clz_i32_u32_e32 v11, v48
	v_min_u32_e32 v11, 32, v11
	s_delay_alu instid0(VALU_DEP_1) | instskip(NEXT) | instid1(VALU_DEP_1)
	v_subrev_nc_u32_e32 v14, 28, v11
	v_lshlrev_b64_e32 v[14:15], v14, v[48:49]
	s_delay_alu instid0(VALU_DEP_1)
	v_dual_sub_nc_u32 v11, 29, v11 :: v_dual_bitop2_b32 v48, 7, v14 bitop3:0x40
; %bb.445:                              ;   in Loop: Header=BB2_128 Depth=2
	s_or_b32 exec_lo, exec_lo, s40
	s_delay_alu instid0(VALU_DEP_1) | instskip(NEXT) | instid1(VALU_DEP_2)
	v_dual_lshlrev_b32 v10, 24, v10 :: v_dual_lshlrev_b32 v14, 20, v48
	v_lshl_add_u32 v11, v11, 23, 0x3c000000
	s_delay_alu instid0(VALU_DEP_2) | instskip(NEXT) | instid1(VALU_DEP_1)
	v_and_b32_e32 v10, 0x80000000, v10
	v_or3_b32 v11, v14, v10, v11
.LBB2_446:                              ;   in Loop: Header=BB2_128 Depth=2
	s_or_b32 exec_lo, exec_lo, s29
.LBB2_447:                              ;   in Loop: Header=BB2_128 Depth=2
	s_delay_alu instid0(SALU_CYCLE_1)
	s_or_b32 exec_lo, exec_lo, s12
.LBB2_448:                              ;   in Loop: Header=BB2_128 Depth=2
	s_delay_alu instid0(SALU_CYCLE_1) | instskip(SKIP_3) | instid1(VALU_DEP_1)
	s_or_b32 exec_lo, exec_lo, s11
	v_lshrrev_b32_e32 v10, 16, v12
	s_mov_b32 s12, 0
	s_mov_b32 s11, exec_lo
	v_and_b32_e32 v15, 0xff, v10
	s_delay_alu instid0(VALU_DEP_1)
	v_cmpx_lt_i16_e32 0x7f, v15
	s_xor_b32 s11, exec_lo, s11
	s_cbranch_execz .LBB2_453
; %bb.449:                              ;   in Loop: Header=BB2_128 Depth=2
	s_mov_b32 s12, -1
	s_mov_b32 s29, exec_lo
	v_cmpx_eq_u16_e32 0x80, v15
; %bb.450:                              ;   in Loop: Header=BB2_128 Depth=2
	s_xor_b32 s12, exec_lo, -1
; %bb.451:                              ;   in Loop: Header=BB2_128 Depth=2
	s_or_b32 exec_lo, exec_lo, s29
	s_delay_alu instid0(SALU_CYCLE_1)
	s_and_b32 s12, s12, exec_lo
                                        ; implicit-def: $vgpr15
	s_or_saveexec_b32 s11, s11
	v_bfrev_b32_e32 v14, 1
	s_xor_b32 exec_lo, exec_lo, s11
	s_cbranch_execnz .LBB2_454
.LBB2_452:                              ;   in Loop: Header=BB2_128 Depth=2
	s_or_b32 exec_lo, exec_lo, s11
	s_and_saveexec_b32 s11, s12
	s_cbranch_execnz .LBB2_455
	s_branch .LBB2_458
.LBB2_453:                              ;   in Loop: Header=BB2_128 Depth=2
	s_or_saveexec_b32 s11, s11
	v_bfrev_b32_e32 v14, 1
	s_xor_b32 exec_lo, exec_lo, s11
	s_cbranch_execz .LBB2_452
.LBB2_454:                              ;   in Loop: Header=BB2_128 Depth=2
	v_cmp_ne_u16_e64 s10, 0, v15
	v_mov_b32_e32 v14, 0
	s_and_not1_b32 s12, s12, exec_lo
	s_and_b32 s10, s10, exec_lo
	s_delay_alu instid0(SALU_CYCLE_1)
	s_or_b32 s12, s12, s10
	s_or_b32 exec_lo, exec_lo, s11
	s_and_saveexec_b32 s11, s12
	s_cbranch_execz .LBB2_458
.LBB2_455:                              ;   in Loop: Header=BB2_128 Depth=2
	v_and_b32_e32 v15, 0x7f, v10
	v_mov_b32_e32 v14, 0x7f800001
	s_mov_b32 s12, exec_lo
	s_delay_alu instid0(VALU_DEP_2)
	v_cmpx_ne_u32_e32 0x7f, v15
	s_cbranch_execz .LBB2_457
; %bb.456:                              ;   in Loop: Header=BB2_128 Depth=2
	v_and_b32_e32 v14, 7, v10
	v_cmp_gt_u32_e64 s10, 8, v15
	s_delay_alu instid0(VALU_DEP_2) | instskip(NEXT) | instid1(VALU_DEP_1)
	v_clz_i32_u32_e32 v48, v14
	v_min_u32_e32 v48, 32, v48
	s_delay_alu instid0(VALU_DEP_1) | instskip(NEXT) | instid1(VALU_DEP_1)
	v_subrev_nc_u32_e32 v98, 28, v48
	v_lshlrev_b64_e32 v[98:99], v98, v[10:11]
	v_dual_lshrrev_b32 v99, 3, v15 :: v_dual_sub_nc_u32 v48, 29, v48
	s_delay_alu instid0(VALU_DEP_2) | instskip(NEXT) | instid1(VALU_DEP_2)
	v_and_b32_e32 v15, 7, v98
	v_dual_lshlrev_b32 v10, 24, v10 :: v_dual_cndmask_b32 v48, v99, v48, s10
	s_delay_alu instid0(VALU_DEP_2) | instskip(NEXT) | instid1(VALU_DEP_2)
	v_cndmask_b32_e64 v14, v14, v15, s10
	v_and_b32_e32 v10, 0x80000000, v10
	s_delay_alu instid0(VALU_DEP_3) | instskip(NEXT) | instid1(VALU_DEP_3)
	v_lshl_add_u32 v15, v48, 23, 0x3c000000
	v_lshlrev_b32_e32 v14, 20, v14
	s_delay_alu instid0(VALU_DEP_1)
	v_or3_b32 v14, v14, v10, v15
.LBB2_457:                              ;   in Loop: Header=BB2_128 Depth=2
	s_or_b32 exec_lo, exec_lo, s12
.LBB2_458:                              ;   in Loop: Header=BB2_128 Depth=2
	s_delay_alu instid0(SALU_CYCLE_1) | instskip(NEXT) | instid1(VALU_DEP_1)
	s_or_b32 exec_lo, exec_lo, s11
	v_mul_f32_e32 v10, v11, v14
                                        ; implicit-def: $vgpr46
	s_mov_b32 s11, exec_lo
	s_delay_alu instid0(VALU_DEP_1) | instskip(SKIP_1) | instid1(VALU_DEP_2)
	v_and_b32_e32 v48, 0x7f800000, v10
	v_lshrrev_b32_e32 v11, 24, v10
	v_cmpx_ne_u64_e32 0x7f800000, v[48:49]
	s_xor_b32 s12, exec_lo, s11
	s_cbranch_execz .LBB2_472
; %bb.459:                              ;   in Loop: Header=BB2_128 Depth=2
	v_and_b32_e32 v48, 0x7fffffff, v10
	v_and_b32_e32 v98, 0x80, v11
                                        ; implicit-def: $vgpr46
	s_mov_b32 s11, exec_lo
	s_delay_alu instid0(VALU_DEP_2)
	v_cmpx_gt_u64_e32 0x43e00001, v[48:49]
	s_xor_b32 s29, exec_lo, s11
	s_cbranch_execz .LBB2_469
; %bb.460:                              ;   in Loop: Header=BB2_128 Depth=2
	v_mov_b32_e32 v46, 0
	s_mov_b32 s40, exec_lo
	v_cmpx_ne_u32_e32 0, v10
	s_cbranch_execz .LBB2_468
; %bb.461:                              ;   in Loop: Header=BB2_128 Depth=2
	v_bfe_u32 v99, v10, 23, 8
	v_and_b32_e32 v14, 0x7fffff, v10
	s_delay_alu instid0(VALU_DEP_2) | instskip(SKIP_1) | instid1(VALU_DEP_3)
	v_sub_nc_u32_e32 v11, 0x79, v99
	v_cmp_gt_u32_e64 s10, 0x7a, v99
	v_or_b32_e32 v15, 0x800000, v14
	s_delay_alu instid0(VALU_DEP_2) | instskip(SKIP_1) | instid1(VALU_DEP_1)
	v_cndmask_b32_e64 v11, 0, v11, s10
	v_cmp_eq_u32_e64 s10, 0, v99
	v_cndmask_b32_e64 v46, v11, 0x78, s10
	s_delay_alu instid0(VALU_DEP_4) | instskip(NEXT) | instid1(VALU_DEP_2)
	v_cndmask_b32_e64 v48, v15, v14, s10
	v_dual_add_nc_u32 v10, 20, v46 :: v_dual_add_nc_u32 v47, 19, v46
	s_delay_alu instid0(VALU_DEP_1) | instskip(NEXT) | instid1(VALU_DEP_2)
	v_lshlrev_b64_e64 v[10:11], v10, -1
	v_lshlrev_b64_e64 v[14:15], v47, 1
	s_delay_alu instid0(VALU_DEP_2) | instskip(NEXT) | instid1(VALU_DEP_3)
	v_bfi_b32 v57, v11, 0, 0
	v_bfi_b32 v56, v10, 0, v48
	v_lshrrev_b64 v[10:11], v46, v[48:49]
	s_delay_alu instid0(VALU_DEP_2) | instskip(NEXT) | instid1(VALU_DEP_2)
	v_cmp_eq_u64_e64 s11, v[56:57], v[14:15]
	v_mov_b64_e32 v[14:15], v[10:11]
	s_and_saveexec_b32 s41, s11
; %bb.462:                              ;   in Loop: Header=BB2_128 Depth=2
	v_bfe_u32 v48, v10, 20, 1
	s_delay_alu instid0(VALU_DEP_1) | instskip(NEXT) | instid1(VALU_DEP_1)
	v_add_nc_u64_e32 v[14:15], v[10:11], v[48:49]
	v_add_nc_u64_e32 v[14:15], -1, v[14:15]
; %bb.463:                              ;   in Loop: Header=BB2_128 Depth=2
	s_or_b32 exec_lo, exec_lo, s41
	v_add_nc_u32_e32 v11, 0xffffff81, v99
	v_lshrrev_b32_e32 v15, 23, v10
	s_mov_b32 s11, exec_lo
	s_delay_alu instid0(VALU_DEP_2) | instskip(NEXT) | instid1(VALU_DEP_1)
	v_cndmask_b32_e64 v11, v11, 0xffffff82, s10
	v_add3_u32 v15, v46, v11, v15
	v_and_b32_e32 v11, 0xfffff, v14
                                        ; implicit-def: $vgpr14
	s_delay_alu instid0(VALU_DEP_1) | instskip(NEXT) | instid1(VALU_DEP_1)
	v_dual_add_nc_u32 v99, 6, v15 :: v_dual_add_nc_u32 v48, v11, v10
                                        ; implicit-def: $vgpr10_vgpr11
	v_cmpx_ne_u32_e32 0, v99
	s_xor_b32 s11, exec_lo, s11
; %bb.464:                              ;   in Loop: Header=BB2_128 Depth=2
	s_delay_alu instid0(VALU_DEP_2) | instskip(SKIP_1) | instid1(VALU_DEP_1)
	v_cmp_lt_u64_e64 s10, 0xffffff, v[48:49]
	v_add_nc_u32_e32 v10, 7, v15
	v_cndmask_b32_e64 v14, v99, v10, s10
	v_cndmask_b32_e64 v10, 0, 1, s10
	s_delay_alu instid0(VALU_DEP_1)
	v_lshrrev_b64 v[10:11], v10, v[48:49]
; %bb.465:                              ;   in Loop: Header=BB2_128 Depth=2
	s_and_not1_saveexec_b32 s10, s11
; %bb.466:                              ;   in Loop: Header=BB2_128 Depth=2
	v_mov_b64_e32 v[10:11], v[48:49]
	v_bfe_u32 v14, v48, 23, 1
; %bb.467:                              ;   in Loop: Header=BB2_128 Depth=2
	s_or_b32 exec_lo, exec_lo, s10
	s_delay_alu instid0(VALU_DEP_2) | instskip(NEXT) | instid1(VALU_DEP_2)
	v_lshrrev_b64 v[10:11], 20, v[10:11]
	v_cmp_gt_i32_e64 s10, 16, v14
	v_min_i32_e32 v15, 15, v14
	v_cmp_eq_u32_e64 s11, 0, v14
	s_delay_alu instid0(VALU_DEP_3) | instskip(NEXT) | instid1(VALU_DEP_3)
	v_cndmask_b32_e64 v11, 0, v11, s10
	v_dual_lshlrev_b32 v15, 3, v15 :: v_dual_cndmask_b32 v10, 7, v10, s10
	s_delay_alu instid0(VALU_DEP_1) | instskip(NEXT) | instid1(VALU_DEP_2)
	v_and_b32_e32 v15, 0xf8, v15
	v_cmp_eq_u64_e64 s10, 0, v[10:11]
	s_delay_alu instid0(VALU_DEP_2)
	v_and_or_b32 v10, v10, 7, v15
	s_and_b32 s10, s11, s10
	s_delay_alu instid0(VALU_DEP_1) | instid1(SALU_CYCLE_1)
	v_cndmask_b32_e64 v10, v10, 0, s10
	s_delay_alu instid0(VALU_DEP_1)
	v_or_b32_e32 v46, v10, v98
.LBB2_468:                              ;   in Loop: Header=BB2_128 Depth=2
	s_or_b32 exec_lo, exec_lo, s40
                                        ; implicit-def: $vgpr98
.LBB2_469:                              ;   in Loop: Header=BB2_128 Depth=2
	s_and_not1_saveexec_b32 s10, s29
; %bb.470:                              ;   in Loop: Header=BB2_128 Depth=2
	v_or_b32_e32 v46, 0x7e, v98
; %bb.471:                              ;   in Loop: Header=BB2_128 Depth=2
	s_or_b32 exec_lo, exec_lo, s10
                                        ; implicit-def: $vgpr11
.LBB2_472:                              ;   in Loop: Header=BB2_128 Depth=2
	s_and_not1_saveexec_b32 s10, s12
; %bb.473:                              ;   in Loop: Header=BB2_128 Depth=2
	v_or_b32_e32 v46, 0x7f, v11
; %bb.474:                              ;   in Loop: Header=BB2_128 Depth=2
	s_or_b32 exec_lo, exec_lo, s10
	v_mov_b32_e32 v11, 0
	s_mov_b32 s11, exec_lo
	v_cmpx_lt_u32_e32 0xffffff, v16
	s_cbranch_execz .LBB2_482
; %bb.475:                              ;   in Loop: Header=BB2_128 Depth=2
	v_lshrrev_b32_e32 v10, 24, v16
	v_bfrev_b32_e32 v11, 1
	s_mov_b32 s12, exec_lo
	s_delay_alu instid0(VALU_DEP_2)
	v_cmpx_ne_u32_e32 0x80, v10
	s_cbranch_execz .LBB2_481
; %bb.476:                              ;   in Loop: Header=BB2_128 Depth=2
	v_bfe_u32 v14, v16, 24, 7
	v_mov_b32_e32 v11, 0x7f800001
	s_mov_b32 s29, exec_lo
	s_delay_alu instid0(VALU_DEP_2)
	v_cmpx_ne_u32_e32 0x7f, v14
	s_cbranch_execz .LBB2_480
; %bb.477:                              ;   in Loop: Header=BB2_128 Depth=2
	v_and_b32_e32 v48, 7, v10
	v_lshrrev_b32_e32 v11, 3, v14
	s_mov_b32 s40, exec_lo
	v_cmpx_gt_u32_e32 8, v14
; %bb.478:                              ;   in Loop: Header=BB2_128 Depth=2
	s_delay_alu instid0(VALU_DEP_3) | instskip(NEXT) | instid1(VALU_DEP_1)
	v_clz_i32_u32_e32 v11, v48
	v_min_u32_e32 v11, 32, v11
	s_delay_alu instid0(VALU_DEP_1) | instskip(NEXT) | instid1(VALU_DEP_1)
	v_subrev_nc_u32_e32 v14, 28, v11
	v_lshlrev_b64_e32 v[14:15], v14, v[48:49]
	s_delay_alu instid0(VALU_DEP_1)
	v_dual_sub_nc_u32 v11, 29, v11 :: v_dual_bitop2_b32 v48, 7, v14 bitop3:0x40
; %bb.479:                              ;   in Loop: Header=BB2_128 Depth=2
	s_or_b32 exec_lo, exec_lo, s40
	s_delay_alu instid0(VALU_DEP_1) | instskip(NEXT) | instid1(VALU_DEP_2)
	v_dual_lshlrev_b32 v10, 24, v10 :: v_dual_lshlrev_b32 v14, 20, v48
	v_lshl_add_u32 v11, v11, 23, 0x3c000000
	s_delay_alu instid0(VALU_DEP_2) | instskip(NEXT) | instid1(VALU_DEP_1)
	v_and_b32_e32 v10, 0x80000000, v10
	v_or3_b32 v11, v14, v10, v11
.LBB2_480:                              ;   in Loop: Header=BB2_128 Depth=2
	s_or_b32 exec_lo, exec_lo, s29
.LBB2_481:                              ;   in Loop: Header=BB2_128 Depth=2
	s_delay_alu instid0(SALU_CYCLE_1)
	s_or_b32 exec_lo, exec_lo, s12
.LBB2_482:                              ;   in Loop: Header=BB2_128 Depth=2
	s_delay_alu instid0(SALU_CYCLE_1) | instskip(SKIP_3) | instid1(VALU_DEP_3)
	s_or_b32 exec_lo, exec_lo, s11
	v_lshrrev_b32_e32 v10, 24, v12
	v_bfe_u32 v14, v12, 24, 7
	v_cmp_gt_u32_e64 s12, 0x1000000, v12
	v_cmp_eq_u32_e64 s10, 0x80, v10
	s_delay_alu instid0(VALU_DEP_3) | instskip(NEXT) | instid1(VALU_DEP_2)
	v_cmp_eq_u32_e64 s11, 0x7f, v14
	v_cndmask_b32_e64 v15, 0x7f800001, v118, s10
	s_or_b32 s10, s10, s11
	s_delay_alu instid0(SALU_CYCLE_1) | instskip(NEXT) | instid1(VALU_DEP_1)
	s_nor_b32 s10, s12, s10
	v_cndmask_b32_e64 v15, v15, 0, s12
	s_and_saveexec_b32 s11, s10
	s_cbranch_execz .LBB2_484
; %bb.483:                              ;   in Loop: Header=BB2_128 Depth=2
	v_and_b32_e32 v15, 7, v10
	v_cmp_gt_u32_e64 s10, 8, v14
	s_delay_alu instid0(VALU_DEP_2) | instskip(NEXT) | instid1(VALU_DEP_1)
	v_clz_i32_u32_e32 v48, v15
	v_min_u32_e32 v48, 32, v48
	s_delay_alu instid0(VALU_DEP_1) | instskip(SKIP_1) | instid1(VALU_DEP_2)
	v_subrev_nc_u32_e32 v98, 28, v48
	v_sub_nc_u32_e32 v48, 29, v48
	v_lshlrev_b64_e32 v[98:99], v98, v[10:11]
	v_lshrrev_b32_e32 v99, 3, v14
	v_lshlrev_b32_e32 v10, 24, v10
	s_delay_alu instid0(VALU_DEP_1) | instskip(NEXT) | instid1(VALU_DEP_4)
	v_and_b32_e32 v10, 0x80000000, v10
	v_and_b32_e32 v14, 7, v98
	s_delay_alu instid0(VALU_DEP_1) | instskip(NEXT) | instid1(VALU_DEP_1)
	v_cndmask_b32_e64 v14, v15, v14, s10
	v_dual_cndmask_b32 v48, v99, v48, s10 :: v_dual_lshlrev_b32 v14, 20, v14
	s_delay_alu instid0(VALU_DEP_1) | instskip(NEXT) | instid1(VALU_DEP_1)
	v_lshl_add_u32 v15, v48, 23, 0x3c000000
	v_or3_b32 v15, v14, v10, v15
.LBB2_484:                              ;   in Loop: Header=BB2_128 Depth=2
	s_or_b32 exec_lo, exec_lo, s11
	s_delay_alu instid0(VALU_DEP_1) | instskip(SKIP_1) | instid1(VALU_DEP_1)
	v_mul_f32_e32 v10, v11, v15
                                        ; implicit-def: $vgpr47
	s_mov_b32 s11, exec_lo
	v_and_b32_e32 v48, 0x7f800000, v10
	v_lshrrev_b32_e32 v11, 24, v10
	s_delay_alu instid0(VALU_DEP_2)
	v_cmpx_ne_u64_e32 0x7f800000, v[48:49]
	s_xor_b32 s12, exec_lo, s11
	s_cbranch_execz .LBB2_498
; %bb.485:                              ;   in Loop: Header=BB2_128 Depth=2
	v_and_b32_e32 v48, 0x7fffffff, v10
	v_and_b32_e32 v98, 0x80, v11
                                        ; implicit-def: $vgpr47
	s_mov_b32 s11, exec_lo
	s_delay_alu instid0(VALU_DEP_2)
	v_cmpx_gt_u64_e32 0x43e00001, v[48:49]
	s_xor_b32 s29, exec_lo, s11
	s_cbranch_execz .LBB2_495
; %bb.486:                              ;   in Loop: Header=BB2_128 Depth=2
	v_mov_b32_e32 v47, 0
	s_mov_b32 s40, exec_lo
	v_cmpx_ne_u32_e32 0, v10
	s_cbranch_execz .LBB2_494
; %bb.487:                              ;   in Loop: Header=BB2_128 Depth=2
	v_bfe_u32 v99, v10, 23, 8
	v_and_b32_e32 v14, 0x7fffff, v10
	s_delay_alu instid0(VALU_DEP_2) | instskip(SKIP_1) | instid1(VALU_DEP_3)
	v_sub_nc_u32_e32 v11, 0x79, v99
	v_cmp_gt_u32_e64 s10, 0x7a, v99
	v_or_b32_e32 v15, 0x800000, v14
	s_delay_alu instid0(VALU_DEP_2) | instskip(SKIP_1) | instid1(VALU_DEP_1)
	v_cndmask_b32_e64 v11, 0, v11, s10
	v_cmp_eq_u32_e64 s10, 0, v99
	v_cndmask_b32_e64 v48, v15, v14, s10
	s_delay_alu instid0(VALU_DEP_3) | instskip(NEXT) | instid1(VALU_DEP_1)
	v_cndmask_b32_e64 v47, v11, 0x78, s10
	v_dual_add_nc_u32 v10, 20, v47 :: v_dual_add_nc_u32 v56, 19, v47
	s_delay_alu instid0(VALU_DEP_1) | instskip(NEXT) | instid1(VALU_DEP_2)
	v_lshlrev_b64_e64 v[10:11], v10, -1
	v_lshlrev_b64_e64 v[14:15], v56, 1
	s_delay_alu instid0(VALU_DEP_2) | instskip(NEXT) | instid1(VALU_DEP_3)
	v_bfi_b32 v57, v11, 0, 0
	v_bfi_b32 v56, v10, 0, v48
	v_lshrrev_b64 v[10:11], v47, v[48:49]
	s_delay_alu instid0(VALU_DEP_2) | instskip(NEXT) | instid1(VALU_DEP_2)
	v_cmp_eq_u64_e64 s11, v[56:57], v[14:15]
	v_mov_b64_e32 v[14:15], v[10:11]
	s_and_saveexec_b32 s41, s11
; %bb.488:                              ;   in Loop: Header=BB2_128 Depth=2
	v_bfe_u32 v48, v10, 20, 1
	s_delay_alu instid0(VALU_DEP_1) | instskip(NEXT) | instid1(VALU_DEP_1)
	v_add_nc_u64_e32 v[14:15], v[10:11], v[48:49]
	v_add_nc_u64_e32 v[14:15], -1, v[14:15]
; %bb.489:                              ;   in Loop: Header=BB2_128 Depth=2
	s_or_b32 exec_lo, exec_lo, s41
	v_add_nc_u32_e32 v11, 0xffffff81, v99
	v_lshrrev_b32_e32 v15, 23, v10
	s_mov_b32 s11, exec_lo
	s_delay_alu instid0(VALU_DEP_2) | instskip(NEXT) | instid1(VALU_DEP_1)
	v_cndmask_b32_e64 v11, v11, 0xffffff82, s10
	v_add3_u32 v15, v47, v11, v15
	v_and_b32_e32 v11, 0xfffff, v14
                                        ; implicit-def: $vgpr14
	s_delay_alu instid0(VALU_DEP_1) | instskip(NEXT) | instid1(VALU_DEP_1)
	v_dual_add_nc_u32 v99, 6, v15 :: v_dual_add_nc_u32 v48, v11, v10
                                        ; implicit-def: $vgpr10_vgpr11
	v_cmpx_ne_u32_e32 0, v99
	s_xor_b32 s11, exec_lo, s11
; %bb.490:                              ;   in Loop: Header=BB2_128 Depth=2
	s_delay_alu instid0(VALU_DEP_2) | instskip(SKIP_1) | instid1(VALU_DEP_1)
	v_cmp_lt_u64_e64 s10, 0xffffff, v[48:49]
	v_add_nc_u32_e32 v10, 7, v15
	v_cndmask_b32_e64 v14, v99, v10, s10
	v_cndmask_b32_e64 v10, 0, 1, s10
	s_delay_alu instid0(VALU_DEP_1)
	v_lshrrev_b64 v[10:11], v10, v[48:49]
; %bb.491:                              ;   in Loop: Header=BB2_128 Depth=2
	s_and_not1_saveexec_b32 s10, s11
; %bb.492:                              ;   in Loop: Header=BB2_128 Depth=2
	v_mov_b64_e32 v[10:11], v[48:49]
	v_bfe_u32 v14, v48, 23, 1
; %bb.493:                              ;   in Loop: Header=BB2_128 Depth=2
	s_or_b32 exec_lo, exec_lo, s10
	s_delay_alu instid0(VALU_DEP_2) | instskip(NEXT) | instid1(VALU_DEP_2)
	v_lshrrev_b64 v[10:11], 20, v[10:11]
	v_cmp_gt_i32_e64 s10, 16, v14
	v_min_i32_e32 v15, 15, v14
	v_cmp_eq_u32_e64 s11, 0, v14
	s_delay_alu instid0(VALU_DEP_3) | instskip(NEXT) | instid1(VALU_DEP_3)
	v_cndmask_b32_e64 v11, 0, v11, s10
	v_dual_lshlrev_b32 v15, 3, v15 :: v_dual_cndmask_b32 v10, 7, v10, s10
	s_delay_alu instid0(VALU_DEP_1) | instskip(NEXT) | instid1(VALU_DEP_2)
	v_and_b32_e32 v15, 0xf8, v15
	v_cmp_eq_u64_e64 s10, 0, v[10:11]
	s_delay_alu instid0(VALU_DEP_2)
	v_and_or_b32 v10, v10, 7, v15
	s_and_b32 s10, s11, s10
	s_delay_alu instid0(VALU_DEP_1) | instid1(SALU_CYCLE_1)
	v_cndmask_b32_e64 v10, v10, 0, s10
	s_delay_alu instid0(VALU_DEP_1)
	v_or_b32_e32 v47, v10, v98
.LBB2_494:                              ;   in Loop: Header=BB2_128 Depth=2
	s_or_b32 exec_lo, exec_lo, s40
                                        ; implicit-def: $vgpr98
.LBB2_495:                              ;   in Loop: Header=BB2_128 Depth=2
	s_and_not1_saveexec_b32 s10, s29
; %bb.496:                              ;   in Loop: Header=BB2_128 Depth=2
	v_or_b32_e32 v47, 0x7e, v98
; %bb.497:                              ;   in Loop: Header=BB2_128 Depth=2
	s_or_b32 exec_lo, exec_lo, s10
                                        ; implicit-def: $vgpr11
.LBB2_498:                              ;   in Loop: Header=BB2_128 Depth=2
	s_and_not1_saveexec_b32 s10, s12
; %bb.499:                              ;   in Loop: Header=BB2_128 Depth=2
	v_or_b32_e32 v47, 0x7f, v11
; %bb.500:                              ;   in Loop: Header=BB2_128 Depth=2
	s_or_b32 exec_lo, exec_lo, s10
	v_and_b32_e32 v10, 0xff, v17
	v_dual_mov_b32 v48, v17 :: v_dual_mov_b32 v14, 0
	s_mov_b32 s11, exec_lo
	s_delay_alu instid0(VALU_DEP_2)
	v_cmpx_ne_u16_e32 0, v10
	s_cbranch_execz .LBB2_506
; %bb.501:                              ;   in Loop: Header=BB2_128 Depth=2
	v_bfrev_b32_e32 v14, 1
	s_mov_b32 s12, exec_lo
	v_cmpx_ne_u16_e32 0x80, v10
	s_cbranch_execz .LBB2_505
; %bb.502:                              ;   in Loop: Header=BB2_128 Depth=2
	v_and_b32_e32 v10, 0x7f, v17
	v_mov_b32_e32 v14, 0x7f800001
	s_mov_b32 s29, exec_lo
	s_delay_alu instid0(VALU_DEP_2)
	v_cmpx_ne_u32_e32 0x7f, v10
	s_cbranch_execz .LBB2_504
; %bb.503:                              ;   in Loop: Header=BB2_128 Depth=2
	v_dual_lshrrev_b32 v14, 3, v10 :: v_dual_bitop2_b32 v11, 7, v17 bitop3:0x40
	v_cmp_gt_u32_e64 s10, 8, v10
	s_delay_alu instid0(VALU_DEP_2) | instskip(NEXT) | instid1(VALU_DEP_1)
	v_clz_i32_u32_e32 v11, v11
	v_min_u32_e32 v11, 32, v11
	s_delay_alu instid0(VALU_DEP_1) | instskip(SKIP_1) | instid1(VALU_DEP_2)
	v_subrev_nc_u32_e32 v15, 28, v11
	v_sub_nc_u32_e32 v11, 29, v11
	v_cndmask_b32_e64 v10, 0, v15, s10
	s_delay_alu instid0(VALU_DEP_2) | instskip(NEXT) | instid1(VALU_DEP_2)
	v_cndmask_b32_e64 v14, v14, v11, s10
	v_lshlrev_b64_e32 v[10:11], v10, v[48:49]
	v_lshlrev_b32_e32 v11, 24, v48
	s_delay_alu instid0(VALU_DEP_3) | instskip(NEXT) | instid1(VALU_DEP_2)
	v_lshl_add_u32 v14, v14, 23, 0x3c000000
	v_and_b32_e32 v11, 0x80000000, v11
	s_delay_alu instid0(VALU_DEP_4) | instskip(NEXT) | instid1(VALU_DEP_1)
	v_lshlrev_b32_e32 v10, 20, v10
	v_and_b32_e32 v10, 0x700000, v10
	s_delay_alu instid0(VALU_DEP_1)
	v_or3_b32 v14, v10, v11, v14
.LBB2_504:                              ;   in Loop: Header=BB2_128 Depth=2
	s_or_b32 exec_lo, exec_lo, s29
.LBB2_505:                              ;   in Loop: Header=BB2_128 Depth=2
	s_delay_alu instid0(SALU_CYCLE_1)
	s_or_b32 exec_lo, exec_lo, s12
.LBB2_506:                              ;   in Loop: Header=BB2_128 Depth=2
	s_delay_alu instid0(SALU_CYCLE_1) | instskip(SKIP_4) | instid1(VALU_DEP_2)
	s_or_b32 exec_lo, exec_lo, s11
	v_and_b32_e32 v11, 0xff, v13
	v_mov_b32_e32 v10, v13
	s_mov_b32 s11, 0
	s_mov_b32 s12, exec_lo
	v_cmpx_lt_i16_e32 0x7f, v11
	s_xor_b32 s12, exec_lo, s12
	s_cbranch_execz .LBB2_541
; %bb.507:                              ;   in Loop: Header=BB2_128 Depth=2
	s_mov_b32 s11, -1
	s_mov_b32 s29, exec_lo
	v_cmpx_eq_u16_e32 0x80, v11
; %bb.508:                              ;   in Loop: Header=BB2_128 Depth=2
	s_xor_b32 s11, exec_lo, -1
; %bb.509:                              ;   in Loop: Header=BB2_128 Depth=2
	s_or_b32 exec_lo, exec_lo, s29
	s_delay_alu instid0(SALU_CYCLE_1)
	s_and_b32 s11, s11, exec_lo
                                        ; implicit-def: $vgpr11
	s_or_saveexec_b32 s12, s12
	v_bfrev_b32_e32 v15, 1
	s_xor_b32 exec_lo, exec_lo, s12
	s_cbranch_execnz .LBB2_542
.LBB2_510:                              ;   in Loop: Header=BB2_128 Depth=2
	s_or_b32 exec_lo, exec_lo, s12
	v_mov_b32_e32 v11, v49
	s_and_saveexec_b32 s12, s11
	s_cbranch_execz .LBB2_512
.LBB2_511:                              ;   in Loop: Header=BB2_128 Depth=2
	v_and_b32_e32 v56, 0x7f, v13
	v_bfe_u32 v98, v13, 3, 4
	s_delay_alu instid0(VALU_DEP_2) | instskip(SKIP_1) | instid1(VALU_DEP_1)
	v_cmp_gt_u32_e64 s10, 8, v56
	v_and_b32_e32 v15, 7, v13
	v_clz_i32_u32_e32 v15, v15
	s_delay_alu instid0(VALU_DEP_1) | instskip(NEXT) | instid1(VALU_DEP_1)
	v_min_u32_e32 v15, 32, v15
	v_subrev_nc_u32_e32 v99, 28, v15
	v_sub_nc_u32_e32 v15, 29, v15
	s_delay_alu instid0(VALU_DEP_1) | instskip(NEXT) | instid1(VALU_DEP_3)
	v_cndmask_b32_e64 v15, v98, v15, s10
	v_cndmask_b32_e64 v98, 0, v99, s10
	v_cmp_ne_u32_e64 s10, 0x7f, v56
	s_delay_alu instid0(VALU_DEP_2) | instskip(SKIP_1) | instid1(VALU_DEP_1)
	v_lshlrev_b64_e32 v[98:99], v98, v[10:11]
	v_lshlrev_b32_e32 v11, 24, v10
	v_and_b32_e32 v11, 0x80000000, v11
	s_delay_alu instid0(VALU_DEP_3) | instskip(SKIP_1) | instid1(VALU_DEP_2)
	v_lshlrev_b32_e32 v98, 20, v98
	v_lshl_add_u32 v15, v15, 23, 0x3c000000
	v_and_b32_e32 v98, 0x700000, v98
	s_delay_alu instid0(VALU_DEP_1) | instskip(NEXT) | instid1(VALU_DEP_1)
	v_or3_b32 v11, v98, v11, v15
	v_cndmask_b32_e64 v15, 0x7f800001, v11, s10
.LBB2_512:                              ;   in Loop: Header=BB2_128 Depth=2
	s_or_b32 exec_lo, exec_lo, s12
	s_delay_alu instid0(VALU_DEP_1) | instskip(NEXT) | instid1(VALU_DEP_1)
	v_dual_mul_f32 v14, v14, v15 :: v_dual_mov_b32 v99, v49
	v_and_b32_e32 v98, 0x7f800000, v14
	v_lshrrev_b32_e32 v11, 24, v14
	s_delay_alu instid0(VALU_DEP_2) | instskip(SKIP_1) | instid1(SALU_CYCLE_1)
	v_cmp_ne_u64_e64 s10, 0x7f800000, v[98:99]
                                        ; implicit-def: $vgpr98
	s_and_saveexec_b32 s11, s10
	s_xor_b32 s12, exec_lo, s11
	s_cbranch_execz .LBB2_526
; %bb.513:                              ;   in Loop: Header=BB2_128 Depth=2
	v_and_b32_e32 v98, 0x7fffffff, v14
	v_mov_b32_e32 v99, v49
	v_and_b32_e32 v11, 0x80, v11
	s_delay_alu instid0(VALU_DEP_2) | instskip(SKIP_1) | instid1(SALU_CYCLE_1)
	v_cmp_gt_u64_e64 s10, 0x43e00001, v[98:99]
                                        ; implicit-def: $vgpr98
	s_and_saveexec_b32 s11, s10
	s_xor_b32 s29, exec_lo, s11
	s_cbranch_execz .LBB2_523
; %bb.514:                              ;   in Loop: Header=BB2_128 Depth=2
	v_mov_b32_e32 v98, 0
	s_mov_b32 s40, exec_lo
	v_cmpx_ne_u32_e32 0, v14
	s_cbranch_execz .LBB2_522
; %bb.515:                              ;   in Loop: Header=BB2_128 Depth=2
	v_bfe_u32 v56, v14, 23, 8
	v_and_b32_e32 v98, 0x7fffff, v14
	s_mov_b32 s41, exec_lo
	s_delay_alu instid0(VALU_DEP_2) | instskip(SKIP_1) | instid1(VALU_DEP_3)
	v_sub_nc_u32_e32 v15, 0x79, v56
	v_cmp_gt_u32_e64 s10, 0x7a, v56
	v_or_b32_e32 v99, 0x800000, v98
	s_delay_alu instid0(VALU_DEP_2) | instskip(SKIP_1) | instid1(VALU_DEP_1)
	v_cndmask_b32_e64 v15, 0, v15, s10
	v_cmp_eq_u32_e64 s10, 0, v56
	v_cndmask_b32_e64 v57, v15, 0x78, s10
	s_delay_alu instid0(VALU_DEP_4) | instskip(NEXT) | instid1(VALU_DEP_2)
	v_dual_cndmask_b32 v98, v99, v98, s10 :: v_dual_mov_b32 v99, v49
	v_dual_add_nc_u32 v14, 20, v57 :: v_dual_add_nc_u32 v58, 19, v57
	s_delay_alu instid0(VALU_DEP_1) | instskip(NEXT) | instid1(VALU_DEP_2)
	v_lshlrev_b64_e64 v[14:15], v14, -1
	v_lshlrev_b64_e64 v[58:59], v58, 1
	s_delay_alu instid0(VALU_DEP_2) | instskip(NEXT) | instid1(VALU_DEP_3)
	v_bfi_b32 v61, v15, 0, 0
	v_bfi_b32 v60, v14, 0, v98
	v_lshrrev_b64 v[14:15], v57, v[98:99]
	s_delay_alu instid0(VALU_DEP_1) | instskip(NEXT) | instid1(VALU_DEP_3)
	v_mov_b64_e32 v[98:99], v[14:15]
	v_cmpx_eq_u64_e64 v[60:61], v[58:59]
; %bb.516:                              ;   in Loop: Header=BB2_128 Depth=2
	v_bfe_u32 v98, v14, 20, 1
	v_mov_b32_e32 v99, v49
	s_delay_alu instid0(VALU_DEP_1) | instskip(NEXT) | instid1(VALU_DEP_1)
	v_add_nc_u64_e32 v[98:99], v[14:15], v[98:99]
	v_add_nc_u64_e32 v[98:99], -1, v[98:99]
; %bb.517:                              ;   in Loop: Header=BB2_128 Depth=2
	s_or_b32 exec_lo, exec_lo, s41
	v_add_nc_u32_e32 v15, 0xffffff81, v56
	v_lshrrev_b32_e32 v99, 23, v14
	s_mov_b32 s11, exec_lo
	s_delay_alu instid0(VALU_DEP_2) | instskip(NEXT) | instid1(VALU_DEP_1)
	v_cndmask_b32_e64 v15, v15, 0xffffff82, s10
	v_add3_u32 v99, v57, v15, v99
	v_and_b32_e32 v15, 0xfffff, v98
                                        ; implicit-def: $vgpr98
	s_delay_alu instid0(VALU_DEP_1) | instskip(SKIP_1) | instid1(VALU_DEP_2)
	v_dual_add_nc_u32 v56, 6, v99 :: v_dual_add_nc_u32 v14, v15, v14
	v_mov_b32_e32 v15, v49
	v_cmpx_ne_u32_e32 0, v56
	s_xor_b32 s11, exec_lo, s11
; %bb.518:                              ;   in Loop: Header=BB2_128 Depth=2
	s_delay_alu instid0(VALU_DEP_2) | instskip(SKIP_1) | instid1(VALU_DEP_2)
	v_cmp_lt_u64_e64 s10, 0xffffff, v[14:15]
	v_add_nc_u32_e32 v98, 7, v99
	v_cndmask_b32_e64 v99, 0, 1, s10
	s_delay_alu instid0(VALU_DEP_2) | instskip(NEXT) | instid1(VALU_DEP_2)
	v_cndmask_b32_e64 v98, v56, v98, s10
	v_lshrrev_b64 v[14:15], v99, v[14:15]
; %bb.519:                              ;   in Loop: Header=BB2_128 Depth=2
	s_and_not1_saveexec_b32 s10, s11
; %bb.520:                              ;   in Loop: Header=BB2_128 Depth=2
	s_delay_alu instid0(VALU_DEP_1)
	v_bfe_u32 v98, v14, 23, 1
; %bb.521:                              ;   in Loop: Header=BB2_128 Depth=2
	s_or_b32 exec_lo, exec_lo, s10
	s_delay_alu instid0(VALU_DEP_2) | instskip(NEXT) | instid1(VALU_DEP_2)
	v_lshrrev_b64 v[14:15], 20, v[14:15]
	v_cmp_gt_i32_e64 s10, 16, v98
	v_min_i32_e32 v99, 15, v98
	v_cmp_eq_u32_e64 s11, 0, v98
	s_delay_alu instid0(VALU_DEP_3) | instskip(NEXT) | instid1(VALU_DEP_3)
	v_cndmask_b32_e64 v15, 0, v15, s10
	v_dual_lshlrev_b32 v99, 3, v99 :: v_dual_cndmask_b32 v14, 7, v14, s10
	s_delay_alu instid0(VALU_DEP_1) | instskip(NEXT) | instid1(VALU_DEP_2)
	v_and_b32_e32 v99, 0xf8, v99
	v_cmp_eq_u64_e64 s10, 0, v[14:15]
	s_delay_alu instid0(VALU_DEP_2)
	v_and_or_b32 v14, v14, 7, v99
	s_and_b32 s10, s11, s10
	s_delay_alu instid0(VALU_DEP_1) | instid1(SALU_CYCLE_1)
	v_cndmask_b32_e64 v14, v14, 0, s10
	s_delay_alu instid0(VALU_DEP_1)
	v_or_b32_e32 v98, v14, v11
.LBB2_522:                              ;   in Loop: Header=BB2_128 Depth=2
	s_or_b32 exec_lo, exec_lo, s40
                                        ; implicit-def: $vgpr11
.LBB2_523:                              ;   in Loop: Header=BB2_128 Depth=2
	s_and_not1_saveexec_b32 s10, s29
; %bb.524:                              ;   in Loop: Header=BB2_128 Depth=2
	v_or_b32_e32 v98, 0x7e, v11
; %bb.525:                              ;   in Loop: Header=BB2_128 Depth=2
	s_or_b32 exec_lo, exec_lo, s10
                                        ; implicit-def: $vgpr11
.LBB2_526:                              ;   in Loop: Header=BB2_128 Depth=2
	s_and_not1_saveexec_b32 s10, s12
; %bb.527:                              ;   in Loop: Header=BB2_128 Depth=2
	v_or_b32_e32 v98, 0x7f, v11
; %bb.528:                              ;   in Loop: Header=BB2_128 Depth=2
	s_or_b32 exec_lo, exec_lo, s10
	v_lshrrev_b16 v14, 8, v48
	v_mov_b32_e32 v11, 0
	s_mov_b32 s11, exec_lo
	s_delay_alu instid0(VALU_DEP_2)
	v_cmpx_ne_u16_e32 0, v14
	s_cbranch_execz .LBB2_536
; %bb.529:                              ;   in Loop: Header=BB2_128 Depth=2
	v_bfrev_b32_e32 v11, 1
	s_mov_b32 s12, exec_lo
	v_cmpx_ne_u16_e32 0x80, v14
	s_cbranch_execz .LBB2_535
; %bb.530:                              ;   in Loop: Header=BB2_128 Depth=2
	v_and_b32_e32 v14, 0xffff, v14
	v_mov_b32_e32 v11, 0x7f800001
	s_mov_b32 s29, exec_lo
	s_delay_alu instid0(VALU_DEP_2) | instskip(NEXT) | instid1(VALU_DEP_1)
	v_and_b32_e32 v99, 0x7f, v14
	v_cmpx_ne_u32_e32 0x7f, v99
	s_cbranch_execz .LBB2_534
; %bb.531:                              ;   in Loop: Header=BB2_128 Depth=2
	v_dual_mov_b32 v15, v49 :: v_dual_bitop2_b32 v14, 7, v14 bitop3:0x40
	v_lshrrev_b32_e32 v11, 3, v99
	s_mov_b32 s40, exec_lo
	v_cmpx_gt_u32_e32 8, v99
; %bb.532:                              ;   in Loop: Header=BB2_128 Depth=2
	s_delay_alu instid0(VALU_DEP_3) | instskip(NEXT) | instid1(VALU_DEP_1)
	v_clz_i32_u32_e32 v11, v14
	v_min_u32_e32 v11, 32, v11
	s_delay_alu instid0(VALU_DEP_1) | instskip(NEXT) | instid1(VALU_DEP_1)
	v_subrev_nc_u32_e32 v99, 28, v11
	v_lshlrev_b64_e32 v[14:15], v99, v[14:15]
	s_delay_alu instid0(VALU_DEP_1)
	v_dual_sub_nc_u32 v11, 29, v11 :: v_dual_bitop2_b32 v14, 7, v14 bitop3:0x40
; %bb.533:                              ;   in Loop: Header=BB2_128 Depth=2
	s_or_b32 exec_lo, exec_lo, s40
	s_delay_alu instid0(VALU_DEP_1) | instskip(NEXT) | instid1(VALU_DEP_2)
	v_dual_lshlrev_b32 v15, 16, v48 :: v_dual_lshlrev_b32 v14, 20, v14
	v_lshl_add_u32 v11, v11, 23, 0x3c000000
	s_delay_alu instid0(VALU_DEP_2) | instskip(NEXT) | instid1(VALU_DEP_1)
	v_and_b32_e32 v15, 0x80000000, v15
	v_or3_b32 v11, v14, v15, v11
.LBB2_534:                              ;   in Loop: Header=BB2_128 Depth=2
	s_or_b32 exec_lo, exec_lo, s29
.LBB2_535:                              ;   in Loop: Header=BB2_128 Depth=2
	s_delay_alu instid0(SALU_CYCLE_1)
	s_or_b32 exec_lo, exec_lo, s12
.LBB2_536:                              ;   in Loop: Header=BB2_128 Depth=2
	s_delay_alu instid0(SALU_CYCLE_1) | instskip(SKIP_3) | instid1(VALU_DEP_1)
	s_or_b32 exec_lo, exec_lo, s11
	v_lshrrev_b16 v14, 8, v10
	s_mov_b32 s12, 0
	s_mov_b32 s11, exec_lo
	v_cmpx_lt_i16_e32 0x7f, v14
	s_xor_b32 s11, exec_lo, s11
	s_cbranch_execz .LBB2_543
; %bb.537:                              ;   in Loop: Header=BB2_128 Depth=2
	s_mov_b32 s12, -1
	s_mov_b32 s29, exec_lo
	v_cmpx_eq_u16_e32 0x80, v14
; %bb.538:                              ;   in Loop: Header=BB2_128 Depth=2
	s_xor_b32 s12, exec_lo, -1
; %bb.539:                              ;   in Loop: Header=BB2_128 Depth=2
	s_or_b32 exec_lo, exec_lo, s29
	s_delay_alu instid0(SALU_CYCLE_1)
	s_and_b32 s12, s12, exec_lo
	s_or_saveexec_b32 s11, s11
	v_bfrev_b32_e32 v15, 1
	s_xor_b32 exec_lo, exec_lo, s11
	s_cbranch_execnz .LBB2_544
.LBB2_540:                              ;   in Loop: Header=BB2_128 Depth=2
	s_or_b32 exec_lo, exec_lo, s11
	s_and_saveexec_b32 s11, s12
	s_cbranch_execnz .LBB2_545
	s_branch .LBB2_548
.LBB2_541:                              ;   in Loop: Header=BB2_128 Depth=2
	s_or_saveexec_b32 s12, s12
	v_bfrev_b32_e32 v15, 1
	s_xor_b32 exec_lo, exec_lo, s12
	s_cbranch_execz .LBB2_510
.LBB2_542:                              ;   in Loop: Header=BB2_128 Depth=2
	v_cmp_ne_u16_e64 s10, 0, v11
	v_mov_b32_e32 v15, 0
	s_and_not1_b32 s11, s11, exec_lo
	s_and_b32 s10, s10, exec_lo
	s_delay_alu instid0(SALU_CYCLE_1)
	s_or_b32 s11, s11, s10
	s_or_b32 exec_lo, exec_lo, s12
	v_mov_b32_e32 v11, v49
	s_and_saveexec_b32 s12, s11
	s_cbranch_execnz .LBB2_511
	s_branch .LBB2_512
.LBB2_543:                              ;   in Loop: Header=BB2_128 Depth=2
	s_or_saveexec_b32 s11, s11
	v_bfrev_b32_e32 v15, 1
	s_xor_b32 exec_lo, exec_lo, s11
	s_cbranch_execz .LBB2_540
.LBB2_544:                              ;   in Loop: Header=BB2_128 Depth=2
	v_cmp_ne_u16_e64 s10, 0, v14
	v_mov_b32_e32 v15, 0
	s_and_not1_b32 s12, s12, exec_lo
	s_and_b32 s10, s10, exec_lo
	s_delay_alu instid0(SALU_CYCLE_1)
	s_or_b32 s12, s12, s10
	s_or_b32 exec_lo, exec_lo, s11
	s_and_saveexec_b32 s11, s12
	s_cbranch_execz .LBB2_548
.LBB2_545:                              ;   in Loop: Header=BB2_128 Depth=2
	v_and_b32_e32 v10, 0xffff, v14
	v_mov_b32_e32 v15, 0x7f800001
	s_mov_b32 s12, exec_lo
	s_delay_alu instid0(VALU_DEP_2) | instskip(NEXT) | instid1(VALU_DEP_1)
	v_and_b32_e32 v48, 0x7f, v10
	v_cmpx_ne_u32_e32 0x7f, v48
	s_cbranch_execz .LBB2_547
; %bb.546:                              ;   in Loop: Header=BB2_128 Depth=2
	v_and_b32_e32 v15, 7, v10
	v_cmp_gt_u32_e64 s10, 8, v48
	s_delay_alu instid0(VALU_DEP_2) | instskip(NEXT) | instid1(VALU_DEP_1)
	v_clz_i32_u32_e32 v99, v15
	v_min_u32_e32 v99, 32, v99
	s_delay_alu instid0(VALU_DEP_1) | instskip(NEXT) | instid1(VALU_DEP_1)
	v_subrev_nc_u32_e32 v56, 28, v99
	v_lshlrev_b64_e32 v[56:57], v56, v[10:11]
	v_dual_lshrrev_b32 v10, 3, v48 :: v_dual_sub_nc_u32 v99, 29, v99
	s_delay_alu instid0(VALU_DEP_2) | instskip(NEXT) | instid1(VALU_DEP_1)
	v_dual_lshlrev_b32 v14, 24, v14 :: v_dual_bitop2_b32 v48, 7, v56 bitop3:0x40
	v_dual_cndmask_b32 v10, v10, v99, s10 :: v_dual_cndmask_b32 v15, v15, v48, s10
	s_delay_alu instid0(VALU_DEP_2) | instskip(NEXT) | instid1(VALU_DEP_2)
	v_and_b32_e32 v14, 0x80000000, v14
	v_lshl_add_u32 v10, v10, 23, 0x3c000000
	s_delay_alu instid0(VALU_DEP_3) | instskip(NEXT) | instid1(VALU_DEP_1)
	v_lshlrev_b32_e32 v15, 20, v15
	v_or3_b32 v15, v15, v14, v10
.LBB2_547:                              ;   in Loop: Header=BB2_128 Depth=2
	s_or_b32 exec_lo, exec_lo, s12
.LBB2_548:                              ;   in Loop: Header=BB2_128 Depth=2
	s_delay_alu instid0(SALU_CYCLE_1) | instskip(NEXT) | instid1(VALU_DEP_1)
	s_or_b32 exec_lo, exec_lo, s11
	v_mul_f32_e32 v10, v11, v15
                                        ; implicit-def: $vgpr99
	s_mov_b32 s11, exec_lo
	s_delay_alu instid0(VALU_DEP_1) | instskip(SKIP_1) | instid1(VALU_DEP_2)
	v_and_b32_e32 v48, 0x7f800000, v10
	v_lshrrev_b32_e32 v11, 24, v10
	v_cmpx_ne_u64_e32 0x7f800000, v[48:49]
	s_xor_b32 s12, exec_lo, s11
	s_cbranch_execz .LBB2_562
; %bb.549:                              ;   in Loop: Header=BB2_128 Depth=2
	v_and_b32_e32 v48, 0x7fffffff, v10
	v_and_b32_e32 v56, 0x80, v11
                                        ; implicit-def: $vgpr99
	s_mov_b32 s11, exec_lo
	s_delay_alu instid0(VALU_DEP_2)
	v_cmpx_gt_u64_e32 0x43e00001, v[48:49]
	s_xor_b32 s29, exec_lo, s11
	s_cbranch_execz .LBB2_559
; %bb.550:                              ;   in Loop: Header=BB2_128 Depth=2
	v_mov_b32_e32 v99, 0
	s_mov_b32 s40, exec_lo
	v_cmpx_ne_u32_e32 0, v10
	s_cbranch_execz .LBB2_558
; %bb.551:                              ;   in Loop: Header=BB2_128 Depth=2
	v_bfe_u32 v99, v10, 23, 8
	v_and_b32_e32 v14, 0x7fffff, v10
	s_delay_alu instid0(VALU_DEP_2) | instskip(SKIP_1) | instid1(VALU_DEP_3)
	v_sub_nc_u32_e32 v11, 0x79, v99
	v_cmp_gt_u32_e64 s10, 0x7a, v99
	v_or_b32_e32 v15, 0x800000, v14
	s_delay_alu instid0(VALU_DEP_2) | instskip(SKIP_1) | instid1(VALU_DEP_1)
	v_cndmask_b32_e64 v11, 0, v11, s10
	v_cmp_eq_u32_e64 s10, 0, v99
	v_cndmask_b32_e64 v57, v11, 0x78, s10
	s_delay_alu instid0(VALU_DEP_1) | instskip(SKIP_1) | instid1(VALU_DEP_2)
	v_dual_cndmask_b32 v48, v15, v14, s10 :: v_dual_add_nc_u32 v58, 19, v57
	v_add_nc_u32_e32 v10, 20, v57
	v_lshlrev_b64_e64 v[14:15], v58, 1
	s_delay_alu instid0(VALU_DEP_2) | instskip(NEXT) | instid1(VALU_DEP_1)
	v_lshlrev_b64_e64 v[10:11], v10, -1
	v_bfi_b32 v59, v11, 0, 0
	s_delay_alu instid0(VALU_DEP_2) | instskip(SKIP_1) | instid1(VALU_DEP_2)
	v_bfi_b32 v58, v10, 0, v48
	v_lshrrev_b64 v[10:11], v57, v[48:49]
	v_cmp_eq_u64_e64 s11, v[58:59], v[14:15]
	s_delay_alu instid0(VALU_DEP_2)
	v_mov_b64_e32 v[14:15], v[10:11]
	s_and_saveexec_b32 s41, s11
; %bb.552:                              ;   in Loop: Header=BB2_128 Depth=2
	v_bfe_u32 v48, v10, 20, 1
	s_delay_alu instid0(VALU_DEP_1) | instskip(NEXT) | instid1(VALU_DEP_1)
	v_add_nc_u64_e32 v[14:15], v[10:11], v[48:49]
	v_add_nc_u64_e32 v[14:15], -1, v[14:15]
; %bb.553:                              ;   in Loop: Header=BB2_128 Depth=2
	s_or_b32 exec_lo, exec_lo, s41
	v_add_nc_u32_e32 v11, 0xffffff81, v99
	v_lshrrev_b32_e32 v15, 23, v10
	s_mov_b32 s11, exec_lo
	s_delay_alu instid0(VALU_DEP_2) | instskip(NEXT) | instid1(VALU_DEP_1)
	v_cndmask_b32_e64 v11, v11, 0xffffff82, s10
	v_add3_u32 v15, v57, v11, v15
	v_and_b32_e32 v11, 0xfffff, v14
                                        ; implicit-def: $vgpr14
	s_delay_alu instid0(VALU_DEP_1) | instskip(NEXT) | instid1(VALU_DEP_1)
	v_dual_add_nc_u32 v99, 6, v15 :: v_dual_add_nc_u32 v48, v11, v10
                                        ; implicit-def: $vgpr10_vgpr11
	v_cmpx_ne_u32_e32 0, v99
	s_xor_b32 s11, exec_lo, s11
; %bb.554:                              ;   in Loop: Header=BB2_128 Depth=2
	s_delay_alu instid0(VALU_DEP_2) | instskip(SKIP_1) | instid1(VALU_DEP_1)
	v_cmp_lt_u64_e64 s10, 0xffffff, v[48:49]
	v_add_nc_u32_e32 v10, 7, v15
	v_cndmask_b32_e64 v14, v99, v10, s10
	v_cndmask_b32_e64 v10, 0, 1, s10
	s_delay_alu instid0(VALU_DEP_1)
	v_lshrrev_b64 v[10:11], v10, v[48:49]
; %bb.555:                              ;   in Loop: Header=BB2_128 Depth=2
	s_and_not1_saveexec_b32 s10, s11
; %bb.556:                              ;   in Loop: Header=BB2_128 Depth=2
	v_mov_b64_e32 v[10:11], v[48:49]
	v_bfe_u32 v14, v48, 23, 1
; %bb.557:                              ;   in Loop: Header=BB2_128 Depth=2
	s_or_b32 exec_lo, exec_lo, s10
	s_delay_alu instid0(VALU_DEP_2) | instskip(NEXT) | instid1(VALU_DEP_2)
	v_lshrrev_b64 v[10:11], 20, v[10:11]
	v_cmp_gt_i32_e64 s10, 16, v14
	v_min_i32_e32 v15, 15, v14
	v_cmp_eq_u32_e64 s11, 0, v14
	s_delay_alu instid0(VALU_DEP_3) | instskip(NEXT) | instid1(VALU_DEP_3)
	v_cndmask_b32_e64 v11, 0, v11, s10
	v_dual_lshlrev_b32 v15, 3, v15 :: v_dual_cndmask_b32 v10, 7, v10, s10
	s_delay_alu instid0(VALU_DEP_1) | instskip(NEXT) | instid1(VALU_DEP_2)
	v_and_b32_e32 v15, 0xf8, v15
	v_cmp_eq_u64_e64 s10, 0, v[10:11]
	s_delay_alu instid0(VALU_DEP_2)
	v_and_or_b32 v10, v10, 7, v15
	s_and_b32 s10, s11, s10
	s_delay_alu instid0(VALU_DEP_1) | instid1(SALU_CYCLE_1)
	v_cndmask_b32_e64 v10, v10, 0, s10
	s_delay_alu instid0(VALU_DEP_1)
	v_or_b32_e32 v99, v10, v56
.LBB2_558:                              ;   in Loop: Header=BB2_128 Depth=2
	s_or_b32 exec_lo, exec_lo, s40
                                        ; implicit-def: $vgpr56
.LBB2_559:                              ;   in Loop: Header=BB2_128 Depth=2
	s_and_not1_saveexec_b32 s10, s29
; %bb.560:                              ;   in Loop: Header=BB2_128 Depth=2
	v_or_b32_e32 v99, 0x7e, v56
; %bb.561:                              ;   in Loop: Header=BB2_128 Depth=2
	s_or_b32 exec_lo, exec_lo, s10
                                        ; implicit-def: $vgpr11
.LBB2_562:                              ;   in Loop: Header=BB2_128 Depth=2
	s_and_not1_saveexec_b32 s10, s12
; %bb.563:                              ;   in Loop: Header=BB2_128 Depth=2
	v_or_b32_e32 v99, 0x7f, v11
; %bb.564:                              ;   in Loop: Header=BB2_128 Depth=2
	s_or_b32 exec_lo, exec_lo, s10
	v_dual_mov_b32 v11, 0 :: v_dual_lshrrev_b32 v10, 16, v17
	s_mov_b32 s11, exec_lo
	s_delay_alu instid0(VALU_DEP_1) | instskip(NEXT) | instid1(VALU_DEP_1)
	v_and_b32_e32 v14, 0xff, v10
	v_cmpx_ne_u16_e32 0, v14
	s_cbranch_execz .LBB2_572
; %bb.565:                              ;   in Loop: Header=BB2_128 Depth=2
	v_bfrev_b32_e32 v11, 1
	s_mov_b32 s12, exec_lo
	v_cmpx_ne_u16_e32 0x80, v14
	s_cbranch_execz .LBB2_571
; %bb.566:                              ;   in Loop: Header=BB2_128 Depth=2
	v_bfe_u32 v14, v17, 16, 7
	v_mov_b32_e32 v11, 0x7f800001
	s_mov_b32 s29, exec_lo
	s_delay_alu instid0(VALU_DEP_2)
	v_cmpx_ne_u32_e32 0x7f, v14
	s_cbranch_execz .LBB2_570
; %bb.567:                              ;   in Loop: Header=BB2_128 Depth=2
	v_and_b32_e32 v48, 7, v10
	v_lshrrev_b32_e32 v11, 3, v14
	s_mov_b32 s40, exec_lo
	v_cmpx_gt_u32_e32 8, v14
; %bb.568:                              ;   in Loop: Header=BB2_128 Depth=2
	s_delay_alu instid0(VALU_DEP_3) | instskip(NEXT) | instid1(VALU_DEP_1)
	v_clz_i32_u32_e32 v11, v48
	v_min_u32_e32 v11, 32, v11
	s_delay_alu instid0(VALU_DEP_1) | instskip(NEXT) | instid1(VALU_DEP_1)
	v_subrev_nc_u32_e32 v14, 28, v11
	v_lshlrev_b64_e32 v[14:15], v14, v[48:49]
	s_delay_alu instid0(VALU_DEP_1)
	v_dual_sub_nc_u32 v11, 29, v11 :: v_dual_bitop2_b32 v48, 7, v14 bitop3:0x40
; %bb.569:                              ;   in Loop: Header=BB2_128 Depth=2
	s_or_b32 exec_lo, exec_lo, s40
	s_delay_alu instid0(VALU_DEP_1) | instskip(NEXT) | instid1(VALU_DEP_2)
	v_dual_lshlrev_b32 v10, 24, v10 :: v_dual_lshlrev_b32 v14, 20, v48
	v_lshl_add_u32 v11, v11, 23, 0x3c000000
	s_delay_alu instid0(VALU_DEP_2) | instskip(NEXT) | instid1(VALU_DEP_1)
	v_and_b32_e32 v10, 0x80000000, v10
	v_or3_b32 v11, v14, v10, v11
.LBB2_570:                              ;   in Loop: Header=BB2_128 Depth=2
	s_or_b32 exec_lo, exec_lo, s29
.LBB2_571:                              ;   in Loop: Header=BB2_128 Depth=2
	s_delay_alu instid0(SALU_CYCLE_1)
	s_or_b32 exec_lo, exec_lo, s12
.LBB2_572:                              ;   in Loop: Header=BB2_128 Depth=2
	s_delay_alu instid0(SALU_CYCLE_1) | instskip(SKIP_3) | instid1(VALU_DEP_1)
	s_or_b32 exec_lo, exec_lo, s11
	v_lshrrev_b32_e32 v10, 16, v13
	s_mov_b32 s12, 0
	s_mov_b32 s11, exec_lo
	v_and_b32_e32 v15, 0xff, v10
	s_delay_alu instid0(VALU_DEP_1)
	v_cmpx_lt_i16_e32 0x7f, v15
	s_xor_b32 s11, exec_lo, s11
	s_cbranch_execz .LBB2_577
; %bb.573:                              ;   in Loop: Header=BB2_128 Depth=2
	s_mov_b32 s12, -1
	s_mov_b32 s29, exec_lo
	v_cmpx_eq_u16_e32 0x80, v15
; %bb.574:                              ;   in Loop: Header=BB2_128 Depth=2
	s_xor_b32 s12, exec_lo, -1
; %bb.575:                              ;   in Loop: Header=BB2_128 Depth=2
	s_or_b32 exec_lo, exec_lo, s29
	s_delay_alu instid0(SALU_CYCLE_1)
	s_and_b32 s12, s12, exec_lo
                                        ; implicit-def: $vgpr15
	s_or_saveexec_b32 s11, s11
	v_bfrev_b32_e32 v14, 1
	s_xor_b32 exec_lo, exec_lo, s11
	s_cbranch_execnz .LBB2_578
.LBB2_576:                              ;   in Loop: Header=BB2_128 Depth=2
	s_or_b32 exec_lo, exec_lo, s11
	s_and_saveexec_b32 s11, s12
	s_cbranch_execnz .LBB2_579
	s_branch .LBB2_582
.LBB2_577:                              ;   in Loop: Header=BB2_128 Depth=2
	s_or_saveexec_b32 s11, s11
	v_bfrev_b32_e32 v14, 1
	s_xor_b32 exec_lo, exec_lo, s11
	s_cbranch_execz .LBB2_576
.LBB2_578:                              ;   in Loop: Header=BB2_128 Depth=2
	v_cmp_ne_u16_e64 s10, 0, v15
	v_mov_b32_e32 v14, 0
	s_and_not1_b32 s12, s12, exec_lo
	s_and_b32 s10, s10, exec_lo
	s_delay_alu instid0(SALU_CYCLE_1)
	s_or_b32 s12, s12, s10
	s_or_b32 exec_lo, exec_lo, s11
	s_and_saveexec_b32 s11, s12
	s_cbranch_execz .LBB2_582
.LBB2_579:                              ;   in Loop: Header=BB2_128 Depth=2
	v_and_b32_e32 v15, 0x7f, v10
	v_mov_b32_e32 v14, 0x7f800001
	s_mov_b32 s12, exec_lo
	s_delay_alu instid0(VALU_DEP_2)
	v_cmpx_ne_u32_e32 0x7f, v15
	s_cbranch_execz .LBB2_581
; %bb.580:                              ;   in Loop: Header=BB2_128 Depth=2
	v_and_b32_e32 v14, 7, v10
	v_cmp_gt_u32_e64 s10, 8, v15
	s_delay_alu instid0(VALU_DEP_2) | instskip(NEXT) | instid1(VALU_DEP_1)
	v_clz_i32_u32_e32 v48, v14
	v_min_u32_e32 v48, 32, v48
	s_delay_alu instid0(VALU_DEP_1) | instskip(SKIP_1) | instid1(VALU_DEP_2)
	v_subrev_nc_u32_e32 v56, 28, v48
	v_sub_nc_u32_e32 v48, 29, v48
	v_lshlrev_b64_e32 v[56:57], v56, v[10:11]
	v_dual_lshrrev_b32 v57, 3, v15 :: v_dual_lshlrev_b32 v10, 24, v10
	s_delay_alu instid0(VALU_DEP_1) | instskip(NEXT) | instid1(VALU_DEP_3)
	v_and_b32_e32 v10, 0x80000000, v10
	v_and_b32_e32 v15, 7, v56
	s_delay_alu instid0(VALU_DEP_1) | instskip(NEXT) | instid1(VALU_DEP_1)
	v_dual_cndmask_b32 v48, v57, v48, s10 :: v_dual_cndmask_b32 v14, v14, v15, s10
	v_lshl_add_u32 v15, v48, 23, 0x3c000000
	s_delay_alu instid0(VALU_DEP_2) | instskip(NEXT) | instid1(VALU_DEP_1)
	v_lshlrev_b32_e32 v14, 20, v14
	v_or3_b32 v14, v14, v10, v15
.LBB2_581:                              ;   in Loop: Header=BB2_128 Depth=2
	s_or_b32 exec_lo, exec_lo, s12
.LBB2_582:                              ;   in Loop: Header=BB2_128 Depth=2
	s_delay_alu instid0(SALU_CYCLE_1) | instskip(NEXT) | instid1(VALU_DEP_1)
	s_or_b32 exec_lo, exec_lo, s11
	v_mul_f32_e32 v10, v11, v14
                                        ; implicit-def: $vgpr14
	s_mov_b32 s11, exec_lo
	s_delay_alu instid0(VALU_DEP_1) | instskip(SKIP_1) | instid1(VALU_DEP_2)
	v_and_b32_e32 v48, 0x7f800000, v10
	v_lshrrev_b32_e32 v11, 24, v10
	v_cmpx_ne_u64_e32 0x7f800000, v[48:49]
	s_xor_b32 s12, exec_lo, s11
	s_cbranch_execz .LBB2_596
; %bb.583:                              ;   in Loop: Header=BB2_128 Depth=2
	v_and_b32_e32 v48, 0x7fffffff, v10
	v_and_b32_e32 v56, 0x80, v11
                                        ; implicit-def: $vgpr14
	s_mov_b32 s11, exec_lo
	s_delay_alu instid0(VALU_DEP_2)
	v_cmpx_gt_u64_e32 0x43e00001, v[48:49]
	s_xor_b32 s29, exec_lo, s11
	s_cbranch_execz .LBB2_593
; %bb.584:                              ;   in Loop: Header=BB2_128 Depth=2
	v_mov_b32_e32 v14, 0
	s_mov_b32 s40, exec_lo
	v_cmpx_ne_u32_e32 0, v10
	s_cbranch_execz .LBB2_592
; %bb.585:                              ;   in Loop: Header=BB2_128 Depth=2
	v_bfe_u32 v57, v10, 23, 8
	v_and_b32_e32 v14, 0x7fffff, v10
	s_delay_alu instid0(VALU_DEP_2) | instskip(SKIP_1) | instid1(VALU_DEP_3)
	v_sub_nc_u32_e32 v11, 0x79, v57
	v_cmp_gt_u32_e64 s10, 0x7a, v57
	v_or_b32_e32 v15, 0x800000, v14
	s_delay_alu instid0(VALU_DEP_2) | instskip(SKIP_1) | instid1(VALU_DEP_1)
	v_cndmask_b32_e64 v11, 0, v11, s10
	v_cmp_eq_u32_e64 s10, 0, v57
	v_cndmask_b32_e64 v58, v11, 0x78, s10
	s_delay_alu instid0(VALU_DEP_4) | instskip(NEXT) | instid1(VALU_DEP_2)
	v_cndmask_b32_e64 v48, v15, v14, s10
	v_dual_add_nc_u32 v10, 20, v58 :: v_dual_add_nc_u32 v59, 19, v58
	s_delay_alu instid0(VALU_DEP_1) | instskip(NEXT) | instid1(VALU_DEP_2)
	v_lshlrev_b64_e64 v[10:11], v10, -1
	v_lshlrev_b64_e64 v[14:15], v59, 1
	s_delay_alu instid0(VALU_DEP_2) | instskip(NEXT) | instid1(VALU_DEP_3)
	v_bfi_b32 v61, v11, 0, 0
	v_bfi_b32 v60, v10, 0, v48
	v_lshrrev_b64 v[10:11], v58, v[48:49]
	s_delay_alu instid0(VALU_DEP_2) | instskip(NEXT) | instid1(VALU_DEP_2)
	v_cmp_eq_u64_e64 s11, v[60:61], v[14:15]
	v_mov_b64_e32 v[14:15], v[10:11]
	s_and_saveexec_b32 s41, s11
; %bb.586:                              ;   in Loop: Header=BB2_128 Depth=2
	v_bfe_u32 v48, v10, 20, 1
	s_delay_alu instid0(VALU_DEP_1) | instskip(NEXT) | instid1(VALU_DEP_1)
	v_add_nc_u64_e32 v[14:15], v[10:11], v[48:49]
	v_add_nc_u64_e32 v[14:15], -1, v[14:15]
; %bb.587:                              ;   in Loop: Header=BB2_128 Depth=2
	s_or_b32 exec_lo, exec_lo, s41
	v_add_nc_u32_e32 v11, 0xffffff81, v57
	v_lshrrev_b32_e32 v15, 23, v10
	s_mov_b32 s11, exec_lo
	s_delay_alu instid0(VALU_DEP_2) | instskip(NEXT) | instid1(VALU_DEP_1)
	v_cndmask_b32_e64 v11, v11, 0xffffff82, s10
	v_add3_u32 v15, v58, v11, v15
	v_and_b32_e32 v11, 0xfffff, v14
                                        ; implicit-def: $vgpr14
	s_delay_alu instid0(VALU_DEP_1) | instskip(NEXT) | instid1(VALU_DEP_1)
	v_dual_add_nc_u32 v57, 6, v15 :: v_dual_add_nc_u32 v48, v11, v10
                                        ; implicit-def: $vgpr10_vgpr11
	v_cmpx_ne_u32_e32 0, v57
	s_xor_b32 s11, exec_lo, s11
; %bb.588:                              ;   in Loop: Header=BB2_128 Depth=2
	s_delay_alu instid0(VALU_DEP_2) | instskip(SKIP_1) | instid1(VALU_DEP_1)
	v_cmp_lt_u64_e64 s10, 0xffffff, v[48:49]
	v_add_nc_u32_e32 v10, 7, v15
	v_cndmask_b32_e64 v14, v57, v10, s10
	v_cndmask_b32_e64 v10, 0, 1, s10
	s_delay_alu instid0(VALU_DEP_1)
	v_lshrrev_b64 v[10:11], v10, v[48:49]
; %bb.589:                              ;   in Loop: Header=BB2_128 Depth=2
	s_and_not1_saveexec_b32 s10, s11
; %bb.590:                              ;   in Loop: Header=BB2_128 Depth=2
	v_mov_b64_e32 v[10:11], v[48:49]
	v_bfe_u32 v14, v48, 23, 1
; %bb.591:                              ;   in Loop: Header=BB2_128 Depth=2
	s_or_b32 exec_lo, exec_lo, s10
	s_delay_alu instid0(VALU_DEP_2) | instskip(NEXT) | instid1(VALU_DEP_2)
	v_lshrrev_b64 v[10:11], 20, v[10:11]
	v_cmp_gt_i32_e64 s10, 16, v14
	v_min_i32_e32 v15, 15, v14
	v_cmp_eq_u32_e64 s11, 0, v14
	s_delay_alu instid0(VALU_DEP_3) | instskip(NEXT) | instid1(VALU_DEP_3)
	v_cndmask_b32_e64 v11, 0, v11, s10
	v_dual_lshlrev_b32 v15, 3, v15 :: v_dual_cndmask_b32 v10, 7, v10, s10
	s_delay_alu instid0(VALU_DEP_1) | instskip(NEXT) | instid1(VALU_DEP_2)
	v_and_b32_e32 v15, 0xf8, v15
	v_cmp_eq_u64_e64 s10, 0, v[10:11]
	s_delay_alu instid0(VALU_DEP_2)
	v_and_or_b32 v10, v10, 7, v15
	s_and_b32 s10, s11, s10
	s_delay_alu instid0(VALU_DEP_1) | instid1(SALU_CYCLE_1)
	v_cndmask_b32_e64 v10, v10, 0, s10
	s_delay_alu instid0(VALU_DEP_1)
	v_or_b32_e32 v14, v10, v56
.LBB2_592:                              ;   in Loop: Header=BB2_128 Depth=2
	s_or_b32 exec_lo, exec_lo, s40
                                        ; implicit-def: $vgpr56
.LBB2_593:                              ;   in Loop: Header=BB2_128 Depth=2
	s_and_not1_saveexec_b32 s10, s29
; %bb.594:                              ;   in Loop: Header=BB2_128 Depth=2
	v_or_b32_e32 v14, 0x7e, v56
; %bb.595:                              ;   in Loop: Header=BB2_128 Depth=2
	s_or_b32 exec_lo, exec_lo, s10
                                        ; implicit-def: $vgpr11
.LBB2_596:                              ;   in Loop: Header=BB2_128 Depth=2
	s_and_not1_saveexec_b32 s10, s12
; %bb.597:                              ;   in Loop: Header=BB2_128 Depth=2
	v_or_b32_e32 v14, 0x7f, v11
; %bb.598:                              ;   in Loop: Header=BB2_128 Depth=2
	s_or_b32 exec_lo, exec_lo, s10
	v_mov_b32_e32 v11, 0
	s_mov_b32 s11, exec_lo
	v_cmpx_lt_u64_e64 s[14:15], v[16:17]
	s_cbranch_execz .LBB2_606
; %bb.599:                              ;   in Loop: Header=BB2_128 Depth=2
	v_lshrrev_b32_e32 v10, 24, v17
	v_bfrev_b32_e32 v11, 1
	s_mov_b32 s12, exec_lo
	s_delay_alu instid0(VALU_DEP_2)
	v_cmpx_ne_u32_e32 0x80, v10
	s_cbranch_execz .LBB2_605
; %bb.600:                              ;   in Loop: Header=BB2_128 Depth=2
	v_bfe_u32 v15, v17, 24, 7
	v_mov_b32_e32 v11, 0x7f800001
	s_mov_b32 s29, exec_lo
	s_delay_alu instid0(VALU_DEP_2)
	v_cmpx_ne_u32_e32 0x7f, v15
	s_cbranch_execz .LBB2_604
; %bb.601:                              ;   in Loop: Header=BB2_128 Depth=2
	v_dual_lshrrev_b32 v11, 3, v15 :: v_dual_bitop2_b32 v48, 7, v10 bitop3:0x40
	s_mov_b32 s40, exec_lo
	v_cmpx_gt_u32_e32 8, v15
; %bb.602:                              ;   in Loop: Header=BB2_128 Depth=2
	s_delay_alu instid0(VALU_DEP_2) | instskip(NEXT) | instid1(VALU_DEP_1)
	v_clz_i32_u32_e32 v11, v48
	v_min_u32_e32 v11, 32, v11
	s_delay_alu instid0(VALU_DEP_1) | instskip(NEXT) | instid1(VALU_DEP_1)
	v_subrev_nc_u32_e32 v15, 28, v11
	v_lshlrev_b64_e32 v[16:17], v15, v[48:49]
	s_delay_alu instid0(VALU_DEP_1)
	v_dual_sub_nc_u32 v11, 29, v11 :: v_dual_bitop2_b32 v48, 7, v16 bitop3:0x40
; %bb.603:                              ;   in Loop: Header=BB2_128 Depth=2
	s_or_b32 exec_lo, exec_lo, s40
	s_delay_alu instid0(VALU_DEP_1) | instskip(NEXT) | instid1(VALU_DEP_2)
	v_dual_lshlrev_b32 v10, 24, v10 :: v_dual_lshlrev_b32 v15, 20, v48
	v_lshl_add_u32 v11, v11, 23, 0x3c000000
	s_delay_alu instid0(VALU_DEP_2) | instskip(NEXT) | instid1(VALU_DEP_1)
	v_and_b32_e32 v10, 0x80000000, v10
	v_or3_b32 v11, v15, v10, v11
.LBB2_604:                              ;   in Loop: Header=BB2_128 Depth=2
	s_or_b32 exec_lo, exec_lo, s29
.LBB2_605:                              ;   in Loop: Header=BB2_128 Depth=2
	s_delay_alu instid0(SALU_CYCLE_1)
	s_or_b32 exec_lo, exec_lo, s12
.LBB2_606:                              ;   in Loop: Header=BB2_128 Depth=2
	s_delay_alu instid0(SALU_CYCLE_1) | instskip(SKIP_3) | instid1(VALU_DEP_3)
	s_or_b32 exec_lo, exec_lo, s11
	v_lshrrev_b32_e32 v10, 24, v13
	v_bfe_u32 v15, v13, 24, 7
	v_cmp_gt_u64_e64 s12, s[16:17], v[12:13]
	v_cmp_eq_u32_e64 s11, 0x80, v10
	s_delay_alu instid0(VALU_DEP_3) | instskip(NEXT) | instid1(VALU_DEP_2)
	v_cmp_eq_u32_e64 s10, 0x7f, v15
	v_cndmask_b32_e64 v16, 0x7f800001, v118, s11
	s_or_b32 s10, s11, s10
	s_delay_alu instid0(SALU_CYCLE_1) | instskip(NEXT) | instid1(VALU_DEP_1)
	s_nor_b32 s10, s12, s10
	v_cndmask_b32_e64 v12, v16, 0, s12
	s_and_saveexec_b32 s11, s10
	s_cbranch_execz .LBB2_608
; %bb.607:                              ;   in Loop: Header=BB2_128 Depth=2
	v_and_b32_e32 v16, 7, v10
	v_cmp_gt_u32_e64 s10, 8, v15
	s_delay_alu instid0(VALU_DEP_2) | instskip(NEXT) | instid1(VALU_DEP_1)
	v_clz_i32_u32_e32 v12, v16
	v_min_u32_e32 v17, 32, v12
	s_delay_alu instid0(VALU_DEP_1) | instskip(NEXT) | instid1(VALU_DEP_1)
	v_subrev_nc_u32_e32 v12, 28, v17
	v_lshlrev_b64_e32 v[12:13], v12, v[10:11]
	v_dual_lshrrev_b32 v13, 3, v15 :: v_dual_sub_nc_u32 v17, 29, v17
	s_delay_alu instid0(VALU_DEP_2) | instskip(NEXT) | instid1(VALU_DEP_1)
	v_dual_lshlrev_b32 v10, 24, v10 :: v_dual_bitop2_b32 v12, 7, v12 bitop3:0x40
	v_dual_cndmask_b32 v13, v13, v17, s10 :: v_dual_cndmask_b32 v12, v16, v12, s10
	s_delay_alu instid0(VALU_DEP_2) | instskip(NEXT) | instid1(VALU_DEP_2)
	v_and_b32_e32 v10, 0x80000000, v10
	v_lshl_add_u32 v13, v13, 23, 0x3c000000
	s_delay_alu instid0(VALU_DEP_3) | instskip(NEXT) | instid1(VALU_DEP_1)
	v_lshlrev_b32_e32 v12, 20, v12
	v_or3_b32 v12, v12, v10, v13
.LBB2_608:                              ;   in Loop: Header=BB2_128 Depth=2
	s_or_b32 exec_lo, exec_lo, s11
	s_delay_alu instid0(VALU_DEP_1) | instskip(SKIP_1) | instid1(VALU_DEP_1)
	v_mul_f32_e32 v11, v11, v12
                                        ; implicit-def: $vgpr10
	s_mov_b32 s11, exec_lo
	v_and_b32_e32 v48, 0x7f800000, v11
	v_lshrrev_b32_e32 v12, 24, v11
	s_delay_alu instid0(VALU_DEP_2)
	v_cmpx_ne_u64_e32 0x7f800000, v[48:49]
	s_xor_b32 s12, exec_lo, s11
	s_cbranch_execz .LBB2_622
; %bb.609:                              ;   in Loop: Header=BB2_128 Depth=2
	v_and_b32_e32 v48, 0x7fffffff, v11
	v_and_b32_e32 v15, 0x80, v12
                                        ; implicit-def: $vgpr10
	s_mov_b32 s11, exec_lo
	s_delay_alu instid0(VALU_DEP_2)
	v_cmpx_gt_u64_e32 0x43e00001, v[48:49]
	s_xor_b32 s29, exec_lo, s11
	s_cbranch_execz .LBB2_619
; %bb.610:                              ;   in Loop: Header=BB2_128 Depth=2
	v_mov_b32_e32 v10, 0
	s_mov_b32 s40, exec_lo
	v_cmpx_ne_u32_e32 0, v11
	s_cbranch_execz .LBB2_618
; %bb.611:                              ;   in Loop: Header=BB2_128 Depth=2
	v_bfe_u32 v16, v11, 23, 8
	v_and_b32_e32 v12, 0x7fffff, v11
	s_delay_alu instid0(VALU_DEP_2) | instskip(SKIP_1) | instid1(VALU_DEP_3)
	v_sub_nc_u32_e32 v10, 0x79, v16
	v_cmp_gt_u32_e64 s10, 0x7a, v16
	v_or_b32_e32 v13, 0x800000, v12
	s_delay_alu instid0(VALU_DEP_2) | instskip(SKIP_1) | instid1(VALU_DEP_1)
	v_cndmask_b32_e64 v10, 0, v10, s10
	v_cmp_eq_u32_e64 s10, 0, v16
	v_cndmask_b32_e64 v17, v10, 0x78, s10
	s_delay_alu instid0(VALU_DEP_1) | instskip(SKIP_1) | instid1(VALU_DEP_2)
	v_dual_cndmask_b32 v48, v13, v12, s10 :: v_dual_add_nc_u32 v10, 20, v17
	v_add_nc_u32_e32 v56, 19, v17
	v_lshlrev_b64_e64 v[10:11], v10, -1
	s_delay_alu instid0(VALU_DEP_2) | instskip(NEXT) | instid1(VALU_DEP_2)
	v_lshlrev_b64_e64 v[12:13], v56, 1
	v_bfi_b32 v57, v11, 0, 0
	s_delay_alu instid0(VALU_DEP_3) | instskip(SKIP_1) | instid1(VALU_DEP_2)
	v_bfi_b32 v56, v10, 0, v48
	v_lshrrev_b64 v[10:11], v17, v[48:49]
	v_cmp_eq_u64_e64 s11, v[56:57], v[12:13]
	s_delay_alu instid0(VALU_DEP_2)
	v_mov_b64_e32 v[12:13], v[10:11]
	s_and_saveexec_b32 s41, s11
; %bb.612:                              ;   in Loop: Header=BB2_128 Depth=2
	v_bfe_u32 v48, v10, 20, 1
	s_delay_alu instid0(VALU_DEP_1) | instskip(NEXT) | instid1(VALU_DEP_1)
	v_add_nc_u64_e32 v[12:13], v[10:11], v[48:49]
	v_add_nc_u64_e32 v[12:13], -1, v[12:13]
; %bb.613:                              ;   in Loop: Header=BB2_128 Depth=2
	s_or_b32 exec_lo, exec_lo, s41
	v_add_nc_u32_e32 v11, 0xffffff81, v16
	v_lshrrev_b32_e32 v13, 23, v10
	s_mov_b32 s11, exec_lo
	s_delay_alu instid0(VALU_DEP_2) | instskip(NEXT) | instid1(VALU_DEP_1)
	v_cndmask_b32_e64 v11, v11, 0xffffff82, s10
	v_add3_u32 v13, v17, v11, v13
	v_and_b32_e32 v11, 0xfffff, v12
                                        ; implicit-def: $vgpr12
	s_delay_alu instid0(VALU_DEP_1) | instskip(NEXT) | instid1(VALU_DEP_1)
	v_dual_add_nc_u32 v16, 6, v13 :: v_dual_add_nc_u32 v48, v11, v10
                                        ; implicit-def: $vgpr10_vgpr11
	v_cmpx_ne_u32_e32 0, v16
	s_xor_b32 s11, exec_lo, s11
; %bb.614:                              ;   in Loop: Header=BB2_128 Depth=2
	s_delay_alu instid0(VALU_DEP_2) | instskip(SKIP_1) | instid1(VALU_DEP_1)
	v_cmp_lt_u64_e64 s10, 0xffffff, v[48:49]
	v_add_nc_u32_e32 v10, 7, v13
	v_cndmask_b32_e64 v12, v16, v10, s10
	v_cndmask_b32_e64 v10, 0, 1, s10
	s_delay_alu instid0(VALU_DEP_1)
	v_lshrrev_b64 v[10:11], v10, v[48:49]
; %bb.615:                              ;   in Loop: Header=BB2_128 Depth=2
	s_and_not1_saveexec_b32 s10, s11
; %bb.616:                              ;   in Loop: Header=BB2_128 Depth=2
	v_mov_b64_e32 v[10:11], v[48:49]
	v_bfe_u32 v12, v48, 23, 1
; %bb.617:                              ;   in Loop: Header=BB2_128 Depth=2
	s_or_b32 exec_lo, exec_lo, s10
	s_delay_alu instid0(VALU_DEP_2) | instskip(NEXT) | instid1(VALU_DEP_2)
	v_lshrrev_b64 v[10:11], 20, v[10:11]
	v_cmp_gt_i32_e64 s10, 16, v12
	v_min_i32_e32 v13, 15, v12
	v_cmp_eq_u32_e64 s11, 0, v12
	s_delay_alu instid0(VALU_DEP_2) | instskip(SKIP_1) | instid1(VALU_DEP_2)
	v_dual_cndmask_b32 v11, 0, v11, s10 :: v_dual_lshlrev_b32 v13, 3, v13
	v_cndmask_b32_e64 v10, 7, v10, s10
	v_and_b32_e32 v13, 0xf8, v13
	s_delay_alu instid0(VALU_DEP_2) | instskip(NEXT) | instid1(VALU_DEP_2)
	v_cmp_eq_u64_e64 s10, 0, v[10:11]
	v_and_or_b32 v10, v10, 7, v13
	s_and_b32 s10, s11, s10
	s_delay_alu instid0(VALU_DEP_1) | instid1(SALU_CYCLE_1)
	v_cndmask_b32_e64 v10, v10, 0, s10
	s_delay_alu instid0(VALU_DEP_1)
	v_or_b32_e32 v10, v10, v15
.LBB2_618:                              ;   in Loop: Header=BB2_128 Depth=2
	s_or_b32 exec_lo, exec_lo, s40
                                        ; implicit-def: $vgpr15
.LBB2_619:                              ;   in Loop: Header=BB2_128 Depth=2
	s_and_not1_saveexec_b32 s10, s29
; %bb.620:                              ;   in Loop: Header=BB2_128 Depth=2
	v_or_b32_e32 v10, 0x7e, v15
; %bb.621:                              ;   in Loop: Header=BB2_128 Depth=2
	s_or_b32 exec_lo, exec_lo, s10
                                        ; implicit-def: $vgpr12
.LBB2_622:                              ;   in Loop: Header=BB2_128 Depth=2
	s_and_not1_saveexec_b32 s10, s12
	s_cbranch_execz .LBB2_127
; %bb.623:                              ;   in Loop: Header=BB2_128 Depth=2
	v_or_b32_e32 v10, 0x7f, v12
	s_branch .LBB2_127
.LBB2_624:                              ;   in Loop: Header=BB2_49 Depth=1
	s_or_b32 exec_lo, exec_lo, s28
.LBB2_625:                              ;   in Loop: Header=BB2_49 Depth=1
	s_delay_alu instid0(SALU_CYCLE_1) | instskip(SKIP_3) | instid1(VALU_DEP_1)
	s_or_b32 exec_lo, exec_lo, s27
	v_and_b32_e32 v10, 15, v69
	s_mov_b32 s27, 0
	s_mov_b32 s12, exec_lo
                                        ; implicit-def: $vgpr30
	v_dual_cndmask_b32 v119, v71, v10, vcc_lo :: v_dual_mov_b32 v71, 0
	s_delay_alu instid0(VALU_DEP_1)
	v_cmpx_ne_u32_e32 0, v119
	s_cbranch_execz .LBB2_1127
; %bb.626:                              ;   in Loop: Header=BB2_49 Depth=1
	v_cmp_lt_i32_e64 s10, 0, v40
	s_mov_b32 s27, exec_lo
	v_cndmask_b32_e64 v10, 0, v38, s10
	s_delay_alu instid0(VALU_DEP_1) | instskip(NEXT) | instid1(VALU_DEP_1)
	v_sub_nc_u32_e32 v10, v10, v40
	v_lshl_add_u32 v10, v10, 5, v114
	s_delay_alu instid0(VALU_DEP_1) | instskip(NEXT) | instid1(VALU_DEP_1)
	v_ashrrev_i32_e32 v11, 31, v10
	v_lshrrev_b32_e32 v11, 27, v11
	s_delay_alu instid0(VALU_DEP_1) | instskip(NEXT) | instid1(VALU_DEP_1)
	v_add_nc_u32_e32 v11, v10, v11
	v_and_b32_e32 v12, 0xffffffe0, v11
	s_delay_alu instid0(VALU_DEP_1) | instskip(SKIP_1) | instid1(VALU_DEP_2)
	v_sub_nc_u32_e32 v40, v10, v12
	v_and_b32_e32 v12, 0x1f0, v69
	v_dual_lshlrev_b32 v10, 4, v40 :: v_dual_ashrrev_i32 v11, 5, v11
	s_delay_alu instid0(VALU_DEP_1) | instskip(NEXT) | instid1(VALU_DEP_3)
	v_lshl_add_u32 v10, v11, 9, v10
	v_dual_cndmask_b32 v12, 0, v12 :: v_dual_sub_nc_u32 v41, 0, v11
	s_delay_alu instid0(VALU_DEP_2) | instskip(NEXT) | instid1(VALU_DEP_2)
	v_sub_nc_u32_e32 v42, v119, v10
	v_and_or_b32 v71, 0x3ffffe00, v69, v12
	s_delay_alu instid0(VALU_DEP_2)
	v_cmpx_lt_i32_e32 15, v42
	s_cbranch_execz .LBB2_1126
; %bb.627:                              ;   in Loop: Header=BB2_49 Depth=1
	s_trap 2
	ds_load_b64 v[12:13], v0
	v_add_nc_u32_e32 v10, v10, v71
	s_mov_b32 s28, 0
	s_delay_alu instid0(VALU_DEP_1) | instskip(NEXT) | instid1(VALU_DEP_1)
	v_ashrrev_i32_e32 v11, 31, v10
	v_add_nc_u64_e32 v[84:85], v[10:11], v[80:81]
	v_add_nc_u64_e32 v[96:97], v[10:11], v[82:83]
	s_wait_dscnt 0x0
	v_add_nc_u64_e32 v[86:87], v[12:13], v[10:11]
	s_branch .LBB2_629
.LBB2_628:                              ;   in Loop: Header=BB2_629 Depth=2
	s_or_b32 exec_lo, exec_lo, s10
	v_lshl_or_b32 v11, v103, 8, v102
	v_dual_lshlrev_b32 v12, 16, v30 :: v_dual_lshlrev_b32 v13, 24, v100
	v_lshl_or_b32 v15, v44, 8, v43
	v_dual_lshlrev_b32 v16, 16, v45 :: v_dual_lshlrev_b32 v17, 24, v46
	;; [unrolled: 2-line block ×3, first 2 shown]
	v_dual_lshlrev_b32 v101, 24, v10 :: v_dual_sub_nc_u32 v42, v42, v52
	v_lshlrev_b32_e32 v14, 16, v14
	v_lshl_or_b32 v98, v99, 8, v98
	v_or3_b32 v11, v11, v12, v13
	v_or3_b32 v10, v15, v16, v17
	;; [unrolled: 1-line block ×3, first 2 shown]
	v_add_nc_u64_e32 v[84:85], v[84:85], v[52:53]
	v_or3_b32 v13, v98, v14, v101
	v_add_nc_u64_e32 v[86:87], v[86:87], v[52:53]
	v_cmp_gt_i32_e32 vcc_lo, 16, v42
	v_sub_nc_u32_e32 v41, v41, v38
	global_store_b128 v[96:97], v[10:13], off th:TH_STORE_NT
	s_wait_xcnt 0x0
	v_add_nc_u64_e32 v[96:97], v[96:97], v[52:53]
	s_or_b32 s28, vcc_lo, s28
	s_delay_alu instid0(SALU_CYCLE_1)
	s_and_not1_b32 exec_lo, exec_lo, s28
	s_cbranch_execz .LBB2_1125
.LBB2_629:                              ;   Parent Loop BB2_49 Depth=1
                                        ; =>  This Inner Loop Header: Depth=2
	global_load_b128 v[14:17], v[84:85], off th:TH_LOAD_NT
	global_load_b128 v[10:13], v[86:87], off th:TH_LOAD_NT
	v_mov_b32_e32 v30, 0
	s_mov_b32 s10, exec_lo
	s_wait_loadcnt 0x1
	v_and_b32_e32 v48, 0xff, v14
	s_wait_xcnt 0x0
	s_delay_alu instid0(VALU_DEP_1)
	v_cmpx_ne_u16_e32 0, v48
	s_cbranch_execz .LBB2_635
; %bb.630:                              ;   in Loop: Header=BB2_629 Depth=2
	v_bfrev_b32_e32 v30, 1
	s_mov_b32 s11, exec_lo
	v_cmpx_ne_u16_e32 0x80, v48
	s_cbranch_execz .LBB2_634
; %bb.631:                              ;   in Loop: Header=BB2_629 Depth=2
	v_and_b32_e32 v48, 0x7f, v14
	v_mov_b32_e32 v30, 0x7f800001
	s_mov_b32 s29, exec_lo
	s_delay_alu instid0(VALU_DEP_2)
	v_cmpx_ne_u32_e32 0x7f, v48
	s_cbranch_execz .LBB2_633
; %bb.632:                              ;   in Loop: Header=BB2_629 Depth=2
	v_dual_lshrrev_b32 v98, 3, v48 :: v_dual_bitop2_b32 v30, 7, v14 bitop3:0x40
	v_cmp_gt_u32_e32 vcc_lo, 8, v48
	s_delay_alu instid0(VALU_DEP_2) | instskip(NEXT) | instid1(VALU_DEP_1)
	v_clz_i32_u32_e32 v30, v30
	v_min_u32_e32 v30, 32, v30
	s_delay_alu instid0(VALU_DEP_1) | instskip(NEXT) | instid1(VALU_DEP_1)
	v_subrev_nc_u32_e32 v99, 28, v30
	v_dual_sub_nc_u32 v30, 29, v30 :: v_dual_cndmask_b32 v48, 0, v99, vcc_lo
	s_delay_alu instid0(VALU_DEP_1) | instskip(NEXT) | instid1(VALU_DEP_2)
	v_cndmask_b32_e32 v30, v98, v30, vcc_lo
	v_lshlrev_b64_e32 v[98:99], v48, v[14:15]
	v_lshlrev_b32_e32 v48, 24, v14
	s_delay_alu instid0(VALU_DEP_3) | instskip(NEXT) | instid1(VALU_DEP_2)
	v_lshl_add_u32 v30, v30, 23, 0x3c000000
	v_and_b32_e32 v48, 0x80000000, v48
	s_delay_alu instid0(VALU_DEP_4) | instskip(NEXT) | instid1(VALU_DEP_1)
	v_lshlrev_b32_e32 v98, 20, v98
	v_and_b32_e32 v98, 0x700000, v98
	s_delay_alu instid0(VALU_DEP_1)
	v_or3_b32 v30, v98, v48, v30
.LBB2_633:                              ;   in Loop: Header=BB2_629 Depth=2
	s_or_b32 exec_lo, exec_lo, s29
.LBB2_634:                              ;   in Loop: Header=BB2_629 Depth=2
	s_delay_alu instid0(SALU_CYCLE_1)
	s_or_b32 exec_lo, exec_lo, s11
.LBB2_635:                              ;   in Loop: Header=BB2_629 Depth=2
	s_delay_alu instid0(SALU_CYCLE_1) | instskip(SKIP_4) | instid1(VALU_DEP_1)
	s_or_b32 exec_lo, exec_lo, s10
	s_wait_loadcnt 0x0
	v_and_b32_e32 v98, 0xff, v10
	s_mov_b32 s10, 0
	s_mov_b32 s11, exec_lo
	v_cmpx_lt_i16_e32 0x7f, v98
	s_xor_b32 s11, exec_lo, s11
	s_cbranch_execz .LBB2_670
; %bb.636:                              ;   in Loop: Header=BB2_629 Depth=2
	s_mov_b32 s10, -1
	s_mov_b32 s29, exec_lo
	v_cmpx_eq_u16_e32 0x80, v98
; %bb.637:                              ;   in Loop: Header=BB2_629 Depth=2
	s_xor_b32 s10, exec_lo, -1
; %bb.638:                              ;   in Loop: Header=BB2_629 Depth=2
	s_or_b32 exec_lo, exec_lo, s29
	s_delay_alu instid0(SALU_CYCLE_1)
	s_and_b32 s10, s10, exec_lo
                                        ; implicit-def: $vgpr98
	s_or_saveexec_b32 s11, s11
	v_bfrev_b32_e32 v48, 1
	s_xor_b32 exec_lo, exec_lo, s11
	s_cbranch_execnz .LBB2_671
.LBB2_639:                              ;   in Loop: Header=BB2_629 Depth=2
	s_or_b32 exec_lo, exec_lo, s11
	s_and_saveexec_b32 s11, s10
	s_cbranch_execz .LBB2_641
.LBB2_640:                              ;   in Loop: Header=BB2_629 Depth=2
	v_and_b32_e32 v100, 0x7f, v10
	v_bfe_u32 v98, v10, 3, 4
	s_delay_alu instid0(VALU_DEP_2) | instskip(SKIP_1) | instid1(VALU_DEP_1)
	v_cmp_gt_u32_e32 vcc_lo, 8, v100
	v_and_b32_e32 v48, 7, v10
	v_clz_i32_u32_e32 v48, v48
	s_delay_alu instid0(VALU_DEP_1) | instskip(NEXT) | instid1(VALU_DEP_1)
	v_min_u32_e32 v48, 32, v48
	v_subrev_nc_u32_e32 v99, 28, v48
	v_sub_nc_u32_e32 v48, 29, v48
	s_delay_alu instid0(VALU_DEP_1) | instskip(SKIP_1) | instid1(VALU_DEP_2)
	v_dual_cndmask_b32 v48, v98, v48, vcc_lo :: v_dual_cndmask_b32 v98, 0, v99, vcc_lo
	v_cmp_ne_u32_e32 vcc_lo, 0x7f, v100
	v_lshlrev_b64_e32 v[98:99], v98, v[10:11]
	v_lshlrev_b32_e32 v99, 24, v10
	s_delay_alu instid0(VALU_DEP_1) | instskip(NEXT) | instid1(VALU_DEP_3)
	v_and_b32_e32 v99, 0x80000000, v99
	v_lshlrev_b32_e32 v98, 20, v98
	v_lshl_add_u32 v48, v48, 23, 0x3c000000
	s_delay_alu instid0(VALU_DEP_2) | instskip(NEXT) | instid1(VALU_DEP_1)
	v_and_b32_e32 v98, 0x700000, v98
	v_or3_b32 v48, v98, v99, v48
	s_delay_alu instid0(VALU_DEP_1)
	v_cndmask_b32_e32 v48, 0x7f800001, v48, vcc_lo
.LBB2_641:                              ;   in Loop: Header=BB2_629 Depth=2
	s_or_b32 exec_lo, exec_lo, s11
	s_delay_alu instid0(VALU_DEP_1) | instskip(SKIP_1) | instid1(VALU_DEP_1)
	v_mul_f32_e32 v98, v30, v48
                                        ; implicit-def: $vgpr43
	s_mov_b32 s10, exec_lo
	v_and_b32_e32 v48, 0x7f800000, v98
	v_lshrrev_b32_e32 v30, 24, v98
	s_delay_alu instid0(VALU_DEP_2)
	v_cmpx_ne_u64_e32 0x7f800000, v[48:49]
	s_xor_b32 s11, exec_lo, s10
	s_cbranch_execz .LBB2_655
; %bb.642:                              ;   in Loop: Header=BB2_629 Depth=2
	v_and_b32_e32 v48, 0x7fffffff, v98
	v_and_b32_e32 v30, 0x80, v30
                                        ; implicit-def: $vgpr43
	s_mov_b32 s10, exec_lo
	s_delay_alu instid0(VALU_DEP_2)
	v_cmpx_gt_u64_e32 0x43e00001, v[48:49]
	s_xor_b32 s29, exec_lo, s10
	s_cbranch_execz .LBB2_652
; %bb.643:                              ;   in Loop: Header=BB2_629 Depth=2
	v_mov_b32_e32 v43, 0
	s_mov_b32 s40, exec_lo
	v_cmpx_ne_u32_e32 0, v98
	s_cbranch_execz .LBB2_651
; %bb.644:                              ;   in Loop: Header=BB2_629 Depth=2
	v_bfe_u32 v102, v98, 23, 8
	s_delay_alu instid0(VALU_DEP_1) | instskip(SKIP_1) | instid1(VALU_DEP_2)
	v_sub_nc_u32_e32 v48, 0x79, v102
	v_cmp_gt_u32_e32 vcc_lo, 0x7a, v102
	v_cndmask_b32_e32 v48, 0, v48, vcc_lo
	v_cmp_eq_u32_e32 vcc_lo, 0, v102
	s_delay_alu instid0(VALU_DEP_2) | instskip(SKIP_1) | instid1(VALU_DEP_2)
	v_cndmask_b32_e64 v103, v48, 0x78, vcc_lo
	v_and_b32_e32 v48, 0x7fffff, v98
	v_add_nc_u32_e32 v98, 20, v103
	s_delay_alu instid0(VALU_DEP_2) | instskip(SKIP_1) | instid1(VALU_DEP_3)
	v_or_b32_e32 v100, 0x800000, v48
	v_add_nc_u32_e32 v101, 19, v103
	v_lshlrev_b64_e64 v[98:99], v98, -1
	s_delay_alu instid0(VALU_DEP_3) | instskip(NEXT) | instid1(VALU_DEP_3)
	v_cndmask_b32_e32 v48, v100, v48, vcc_lo
	v_lshlrev_b64_e64 v[100:101], v101, 1
	s_delay_alu instid0(VALU_DEP_3) | instskip(NEXT) | instid1(VALU_DEP_3)
	v_bfi_b32 v45, v99, 0, 0
	v_bfi_b32 v44, v98, 0, v48
	v_lshrrev_b64 v[98:99], v103, v[48:49]
	s_delay_alu instid0(VALU_DEP_2) | instskip(NEXT) | instid1(VALU_DEP_2)
	v_cmp_eq_u64_e64 s10, v[44:45], v[100:101]
	v_mov_b64_e32 v[100:101], v[98:99]
	s_and_saveexec_b32 s41, s10
; %bb.645:                              ;   in Loop: Header=BB2_629 Depth=2
	v_bfe_u32 v48, v98, 20, 1
	s_delay_alu instid0(VALU_DEP_1) | instskip(NEXT) | instid1(VALU_DEP_1)
	v_add_nc_u64_e32 v[100:101], v[98:99], v[48:49]
	v_add_nc_u64_e32 v[100:101], -1, v[100:101]
; %bb.646:                              ;   in Loop: Header=BB2_629 Depth=2
	s_or_b32 exec_lo, exec_lo, s41
	v_add_nc_u32_e32 v48, 0xffffff81, v102
	v_lshrrev_b32_e32 v99, 23, v98
	s_mov_b32 s10, exec_lo
	s_delay_alu instid0(VALU_DEP_2) | instskip(NEXT) | instid1(VALU_DEP_1)
	v_cndmask_b32_e64 v48, v48, 0xffffff82, vcc_lo
	v_add3_u32 v101, v103, v48, v99
	v_and_b32_e32 v48, 0xfffff, v100
                                        ; implicit-def: $vgpr100
	s_delay_alu instid0(VALU_DEP_1) | instskip(NEXT) | instid1(VALU_DEP_1)
	v_dual_add_nc_u32 v102, 6, v101 :: v_dual_add_nc_u32 v48, v48, v98
                                        ; implicit-def: $vgpr98_vgpr99
	v_cmpx_ne_u32_e32 0, v102
	s_xor_b32 s10, exec_lo, s10
; %bb.647:                              ;   in Loop: Header=BB2_629 Depth=2
	s_delay_alu instid0(VALU_DEP_2) | instskip(SKIP_1) | instid1(VALU_DEP_1)
	v_cmp_lt_u64_e32 vcc_lo, 0xffffff, v[48:49]
	v_add_nc_u32_e32 v98, 7, v101
	v_cndmask_b32_e32 v100, v102, v98, vcc_lo
	v_cndmask_b32_e64 v98, 0, 1, vcc_lo
	s_delay_alu instid0(VALU_DEP_1)
	v_lshrrev_b64 v[98:99], v98, v[48:49]
; %bb.648:                              ;   in Loop: Header=BB2_629 Depth=2
	s_and_not1_saveexec_b32 s10, s10
; %bb.649:                              ;   in Loop: Header=BB2_629 Depth=2
	v_mov_b64_e32 v[98:99], v[48:49]
	v_bfe_u32 v100, v48, 23, 1
; %bb.650:                              ;   in Loop: Header=BB2_629 Depth=2
	s_or_b32 exec_lo, exec_lo, s10
	s_delay_alu instid0(VALU_DEP_2) | instskip(NEXT) | instid1(VALU_DEP_2)
	v_lshrrev_b64 v[98:99], 20, v[98:99]
	v_cmp_gt_i32_e32 vcc_lo, 16, v100
	v_min_i32_e32 v48, 15, v100
	v_cmp_eq_u32_e64 s10, 0, v100
	s_delay_alu instid0(VALU_DEP_2) | instskip(SKIP_1) | instid1(VALU_DEP_2)
	v_dual_cndmask_b32 v99, 0, v99 :: v_dual_lshlrev_b32 v48, 3, v48
	v_cndmask_b32_e32 v98, 7, v98, vcc_lo
	v_and_b32_e32 v48, 0xf8, v48
	s_delay_alu instid0(VALU_DEP_2) | instskip(NEXT) | instid1(VALU_DEP_2)
	v_cmp_eq_u64_e32 vcc_lo, 0, v[98:99]
	v_and_or_b32 v48, v98, 7, v48
	s_and_b32 s10, s10, vcc_lo
	s_delay_alu instid0(VALU_DEP_1) | instid1(SALU_CYCLE_1)
	v_cndmask_b32_e64 v48, v48, 0, s10
	s_delay_alu instid0(VALU_DEP_1)
	v_or_b32_e32 v43, v48, v30
.LBB2_651:                              ;   in Loop: Header=BB2_629 Depth=2
	s_or_b32 exec_lo, exec_lo, s40
                                        ; implicit-def: $vgpr30
.LBB2_652:                              ;   in Loop: Header=BB2_629 Depth=2
	s_and_not1_saveexec_b32 s10, s29
; %bb.653:                              ;   in Loop: Header=BB2_629 Depth=2
	v_or_b32_e32 v43, 0x7e, v30
; %bb.654:                              ;   in Loop: Header=BB2_629 Depth=2
	s_or_b32 exec_lo, exec_lo, s10
                                        ; implicit-def: $vgpr30
.LBB2_655:                              ;   in Loop: Header=BB2_629 Depth=2
	s_and_not1_saveexec_b32 s10, s11
; %bb.656:                              ;   in Loop: Header=BB2_629 Depth=2
	v_or_b32_e32 v43, 0x7f, v30
; %bb.657:                              ;   in Loop: Header=BB2_629 Depth=2
	s_or_b32 exec_lo, exec_lo, s10
	v_lshrrev_b16 v30, 8, v14
	v_mov_b32_e32 v48, 0
	s_mov_b32 s10, exec_lo
	s_delay_alu instid0(VALU_DEP_2)
	v_cmpx_ne_u16_e32 0, v30
	s_cbranch_execz .LBB2_665
; %bb.658:                              ;   in Loop: Header=BB2_629 Depth=2
	v_bfrev_b32_e32 v48, 1
	s_mov_b32 s11, exec_lo
	v_cmpx_ne_u16_e32 0x80, v30
	s_cbranch_execz .LBB2_664
; %bb.659:                              ;   in Loop: Header=BB2_629 Depth=2
	v_and_b32_e32 v30, 0xffff, v30
	v_mov_b32_e32 v48, 0x7f800001
	s_mov_b32 s29, exec_lo
	s_delay_alu instid0(VALU_DEP_2) | instskip(NEXT) | instid1(VALU_DEP_1)
	v_and_b32_e32 v98, 0x7f, v30
	v_cmpx_ne_u32_e32 0x7f, v98
	s_cbranch_execz .LBB2_663
; %bb.660:                              ;   in Loop: Header=BB2_629 Depth=2
	v_and_b32_e32 v48, 7, v30
	v_lshrrev_b32_e32 v30, 3, v98
	s_mov_b32 s40, exec_lo
	v_cmpx_gt_u32_e32 8, v98
; %bb.661:                              ;   in Loop: Header=BB2_629 Depth=2
	s_delay_alu instid0(VALU_DEP_3) | instskip(NEXT) | instid1(VALU_DEP_1)
	v_clz_i32_u32_e32 v30, v48
	v_min_u32_e32 v30, 32, v30
	s_delay_alu instid0(VALU_DEP_1) | instskip(SKIP_1) | instid1(VALU_DEP_2)
	v_subrev_nc_u32_e32 v98, 28, v30
	v_sub_nc_u32_e32 v30, 29, v30
	v_lshlrev_b64_e32 v[98:99], v98, v[48:49]
	s_delay_alu instid0(VALU_DEP_1)
	v_and_b32_e32 v48, 7, v98
; %bb.662:                              ;   in Loop: Header=BB2_629 Depth=2
	s_or_b32 exec_lo, exec_lo, s40
	s_delay_alu instid0(VALU_DEP_1) | instskip(SKIP_1) | instid1(VALU_DEP_2)
	v_dual_lshlrev_b32 v98, 16, v14 :: v_dual_lshlrev_b32 v48, 20, v48
	v_lshl_add_u32 v30, v30, 23, 0x3c000000
	v_and_b32_e32 v98, 0x80000000, v98
	s_delay_alu instid0(VALU_DEP_1)
	v_or3_b32 v48, v48, v98, v30
.LBB2_663:                              ;   in Loop: Header=BB2_629 Depth=2
	s_or_b32 exec_lo, exec_lo, s29
.LBB2_664:                              ;   in Loop: Header=BB2_629 Depth=2
	s_delay_alu instid0(SALU_CYCLE_1)
	s_or_b32 exec_lo, exec_lo, s11
.LBB2_665:                              ;   in Loop: Header=BB2_629 Depth=2
	s_delay_alu instid0(SALU_CYCLE_1) | instskip(SKIP_3) | instid1(VALU_DEP_1)
	s_or_b32 exec_lo, exec_lo, s10
	v_lshrrev_b16 v98, 8, v10
	s_mov_b32 s11, 0
	s_mov_b32 s10, exec_lo
	v_cmpx_lt_i16_e32 0x7f, v98
	s_xor_b32 s10, exec_lo, s10
	s_cbranch_execz .LBB2_672
; %bb.666:                              ;   in Loop: Header=BB2_629 Depth=2
	s_mov_b32 s11, -1
	s_mov_b32 s29, exec_lo
	v_cmpx_eq_u16_e32 0x80, v98
; %bb.667:                              ;   in Loop: Header=BB2_629 Depth=2
	s_xor_b32 s11, exec_lo, -1
; %bb.668:                              ;   in Loop: Header=BB2_629 Depth=2
	s_or_b32 exec_lo, exec_lo, s29
	s_delay_alu instid0(SALU_CYCLE_1)
	s_and_b32 s11, s11, exec_lo
	s_or_saveexec_b32 s10, s10
	v_bfrev_b32_e32 v99, 1
	s_xor_b32 exec_lo, exec_lo, s10
	s_cbranch_execnz .LBB2_673
.LBB2_669:                              ;   in Loop: Header=BB2_629 Depth=2
	s_or_b32 exec_lo, exec_lo, s10
	s_and_saveexec_b32 s10, s11
	s_cbranch_execnz .LBB2_674
	s_branch .LBB2_677
.LBB2_670:                              ;   in Loop: Header=BB2_629 Depth=2
	s_or_saveexec_b32 s11, s11
	v_bfrev_b32_e32 v48, 1
	s_xor_b32 exec_lo, exec_lo, s11
	s_cbranch_execz .LBB2_639
.LBB2_671:                              ;   in Loop: Header=BB2_629 Depth=2
	v_cmp_ne_u16_e32 vcc_lo, 0, v98
	v_mov_b32_e32 v48, 0
	s_and_not1_b32 s10, s10, exec_lo
	s_and_b32 s29, vcc_lo, exec_lo
	s_delay_alu instid0(SALU_CYCLE_1)
	s_or_b32 s10, s10, s29
	s_or_b32 exec_lo, exec_lo, s11
	s_and_saveexec_b32 s11, s10
	s_cbranch_execnz .LBB2_640
	s_branch .LBB2_641
.LBB2_672:                              ;   in Loop: Header=BB2_629 Depth=2
	s_or_saveexec_b32 s10, s10
	v_bfrev_b32_e32 v99, 1
	s_xor_b32 exec_lo, exec_lo, s10
	s_cbranch_execz .LBB2_669
.LBB2_673:                              ;   in Loop: Header=BB2_629 Depth=2
	v_cmp_ne_u16_e32 vcc_lo, 0, v98
	v_mov_b32_e32 v99, 0
	s_and_not1_b32 s11, s11, exec_lo
	s_and_b32 s29, vcc_lo, exec_lo
	s_delay_alu instid0(SALU_CYCLE_1)
	s_or_b32 s11, s11, s29
	s_or_b32 exec_lo, exec_lo, s10
	s_and_saveexec_b32 s10, s11
	s_cbranch_execz .LBB2_677
.LBB2_674:                              ;   in Loop: Header=BB2_629 Depth=2
	v_and_b32_e32 v30, 0xffff, v98
	v_mov_b32_e32 v99, 0x7f800001
	s_mov_b32 s11, exec_lo
	s_delay_alu instid0(VALU_DEP_2) | instskip(NEXT) | instid1(VALU_DEP_1)
	v_and_b32_e32 v100, 0x7f, v30
	v_cmpx_ne_u32_e32 0x7f, v100
	s_cbranch_execz .LBB2_676
; %bb.675:                              ;   in Loop: Header=BB2_629 Depth=2
	v_and_b32_e32 v99, 7, v30
	v_cmp_gt_u32_e32 vcc_lo, 8, v100
	s_delay_alu instid0(VALU_DEP_2) | instskip(NEXT) | instid1(VALU_DEP_1)
	v_clz_i32_u32_e32 v101, v99
	v_min_u32_e32 v101, 32, v101
	s_delay_alu instid0(VALU_DEP_1) | instskip(NEXT) | instid1(VALU_DEP_1)
	v_subrev_nc_u32_e32 v102, 28, v101
	v_lshlrev_b64_e32 v[102:103], v102, v[30:31]
	v_dual_lshrrev_b32 v30, 3, v100 :: v_dual_sub_nc_u32 v101, 29, v101
	s_delay_alu instid0(VALU_DEP_2) | instskip(NEXT) | instid1(VALU_DEP_2)
	v_and_b32_e32 v100, 7, v102
	v_dual_lshlrev_b32 v98, 24, v98 :: v_dual_cndmask_b32 v30, v30, v101, vcc_lo
	s_delay_alu instid0(VALU_DEP_2) | instskip(NEXT) | instid1(VALU_DEP_2)
	v_cndmask_b32_e32 v99, v99, v100, vcc_lo
	v_and_b32_e32 v98, 0x80000000, v98
	s_delay_alu instid0(VALU_DEP_3) | instskip(NEXT) | instid1(VALU_DEP_3)
	v_lshl_add_u32 v30, v30, 23, 0x3c000000
	v_lshlrev_b32_e32 v99, 20, v99
	s_delay_alu instid0(VALU_DEP_1)
	v_or3_b32 v99, v99, v98, v30
.LBB2_676:                              ;   in Loop: Header=BB2_629 Depth=2
	s_or_b32 exec_lo, exec_lo, s11
.LBB2_677:                              ;   in Loop: Header=BB2_629 Depth=2
	s_delay_alu instid0(SALU_CYCLE_1) | instskip(NEXT) | instid1(VALU_DEP_1)
	s_or_b32 exec_lo, exec_lo, s10
	v_mul_f32_e32 v98, v48, v99
                                        ; implicit-def: $vgpr44
	s_mov_b32 s10, exec_lo
	s_delay_alu instid0(VALU_DEP_1) | instskip(SKIP_1) | instid1(VALU_DEP_2)
	v_and_b32_e32 v48, 0x7f800000, v98
	v_lshrrev_b32_e32 v30, 24, v98
	v_cmpx_ne_u64_e32 0x7f800000, v[48:49]
	s_xor_b32 s11, exec_lo, s10
	s_cbranch_execz .LBB2_691
; %bb.678:                              ;   in Loop: Header=BB2_629 Depth=2
	v_and_b32_e32 v48, 0x7fffffff, v98
	v_and_b32_e32 v30, 0x80, v30
                                        ; implicit-def: $vgpr44
	s_mov_b32 s10, exec_lo
	s_delay_alu instid0(VALU_DEP_2)
	v_cmpx_gt_u64_e32 0x43e00001, v[48:49]
	s_xor_b32 s29, exec_lo, s10
	s_cbranch_execz .LBB2_688
; %bb.679:                              ;   in Loop: Header=BB2_629 Depth=2
	v_mov_b32_e32 v44, 0
	s_mov_b32 s40, exec_lo
	v_cmpx_ne_u32_e32 0, v98
	s_cbranch_execz .LBB2_687
; %bb.680:                              ;   in Loop: Header=BB2_629 Depth=2
	v_bfe_u32 v102, v98, 23, 8
	s_delay_alu instid0(VALU_DEP_1) | instskip(SKIP_1) | instid1(VALU_DEP_2)
	v_sub_nc_u32_e32 v48, 0x79, v102
	v_cmp_gt_u32_e32 vcc_lo, 0x7a, v102
	v_cndmask_b32_e32 v48, 0, v48, vcc_lo
	v_cmp_eq_u32_e32 vcc_lo, 0, v102
	s_delay_alu instid0(VALU_DEP_2) | instskip(SKIP_1) | instid1(VALU_DEP_2)
	v_cndmask_b32_e64 v103, v48, 0x78, vcc_lo
	v_and_b32_e32 v48, 0x7fffff, v98
	v_add_nc_u32_e32 v98, 20, v103
	s_delay_alu instid0(VALU_DEP_2) | instskip(SKIP_1) | instid1(VALU_DEP_3)
	v_or_b32_e32 v100, 0x800000, v48
	v_add_nc_u32_e32 v101, 19, v103
	v_lshlrev_b64_e64 v[98:99], v98, -1
	s_delay_alu instid0(VALU_DEP_3) | instskip(NEXT) | instid1(VALU_DEP_3)
	v_cndmask_b32_e32 v48, v100, v48, vcc_lo
	v_lshlrev_b64_e64 v[100:101], v101, 1
	s_delay_alu instid0(VALU_DEP_3) | instskip(NEXT) | instid1(VALU_DEP_3)
	v_bfi_b32 v45, v99, 0, 0
	v_bfi_b32 v44, v98, 0, v48
	v_lshrrev_b64 v[98:99], v103, v[48:49]
	s_delay_alu instid0(VALU_DEP_2) | instskip(NEXT) | instid1(VALU_DEP_2)
	v_cmp_eq_u64_e64 s10, v[44:45], v[100:101]
	v_mov_b64_e32 v[100:101], v[98:99]
	s_and_saveexec_b32 s41, s10
; %bb.681:                              ;   in Loop: Header=BB2_629 Depth=2
	v_bfe_u32 v48, v98, 20, 1
	s_delay_alu instid0(VALU_DEP_1) | instskip(NEXT) | instid1(VALU_DEP_1)
	v_add_nc_u64_e32 v[100:101], v[98:99], v[48:49]
	v_add_nc_u64_e32 v[100:101], -1, v[100:101]
; %bb.682:                              ;   in Loop: Header=BB2_629 Depth=2
	s_or_b32 exec_lo, exec_lo, s41
	v_add_nc_u32_e32 v48, 0xffffff81, v102
	v_lshrrev_b32_e32 v99, 23, v98
	s_mov_b32 s10, exec_lo
	s_delay_alu instid0(VALU_DEP_2) | instskip(NEXT) | instid1(VALU_DEP_1)
	v_cndmask_b32_e64 v48, v48, 0xffffff82, vcc_lo
	v_add3_u32 v101, v103, v48, v99
	v_and_b32_e32 v48, 0xfffff, v100
                                        ; implicit-def: $vgpr100
	s_delay_alu instid0(VALU_DEP_1) | instskip(NEXT) | instid1(VALU_DEP_1)
	v_dual_add_nc_u32 v102, 6, v101 :: v_dual_add_nc_u32 v48, v48, v98
                                        ; implicit-def: $vgpr98_vgpr99
	v_cmpx_ne_u32_e32 0, v102
	s_xor_b32 s10, exec_lo, s10
; %bb.683:                              ;   in Loop: Header=BB2_629 Depth=2
	s_delay_alu instid0(VALU_DEP_2) | instskip(SKIP_1) | instid1(VALU_DEP_1)
	v_cmp_lt_u64_e32 vcc_lo, 0xffffff, v[48:49]
	v_add_nc_u32_e32 v98, 7, v101
	v_cndmask_b32_e32 v100, v102, v98, vcc_lo
	v_cndmask_b32_e64 v98, 0, 1, vcc_lo
	s_delay_alu instid0(VALU_DEP_1)
	v_lshrrev_b64 v[98:99], v98, v[48:49]
; %bb.684:                              ;   in Loop: Header=BB2_629 Depth=2
	s_and_not1_saveexec_b32 s10, s10
; %bb.685:                              ;   in Loop: Header=BB2_629 Depth=2
	v_mov_b64_e32 v[98:99], v[48:49]
	v_bfe_u32 v100, v48, 23, 1
; %bb.686:                              ;   in Loop: Header=BB2_629 Depth=2
	s_or_b32 exec_lo, exec_lo, s10
	s_delay_alu instid0(VALU_DEP_2) | instskip(NEXT) | instid1(VALU_DEP_2)
	v_lshrrev_b64 v[98:99], 20, v[98:99]
	v_cmp_gt_i32_e32 vcc_lo, 16, v100
	v_min_i32_e32 v48, 15, v100
	v_cmp_eq_u32_e64 s10, 0, v100
	s_delay_alu instid0(VALU_DEP_2) | instskip(SKIP_1) | instid1(VALU_DEP_2)
	v_dual_cndmask_b32 v99, 0, v99 :: v_dual_lshlrev_b32 v48, 3, v48
	v_cndmask_b32_e32 v98, 7, v98, vcc_lo
	v_and_b32_e32 v48, 0xf8, v48
	s_delay_alu instid0(VALU_DEP_2) | instskip(NEXT) | instid1(VALU_DEP_2)
	v_cmp_eq_u64_e32 vcc_lo, 0, v[98:99]
	v_and_or_b32 v48, v98, 7, v48
	s_and_b32 s10, s10, vcc_lo
	s_delay_alu instid0(VALU_DEP_1) | instid1(SALU_CYCLE_1)
	v_cndmask_b32_e64 v48, v48, 0, s10
	s_delay_alu instid0(VALU_DEP_1)
	v_or_b32_e32 v44, v48, v30
.LBB2_687:                              ;   in Loop: Header=BB2_629 Depth=2
	s_or_b32 exec_lo, exec_lo, s40
                                        ; implicit-def: $vgpr30
.LBB2_688:                              ;   in Loop: Header=BB2_629 Depth=2
	s_and_not1_saveexec_b32 s10, s29
; %bb.689:                              ;   in Loop: Header=BB2_629 Depth=2
	v_or_b32_e32 v44, 0x7e, v30
; %bb.690:                              ;   in Loop: Header=BB2_629 Depth=2
	s_or_b32 exec_lo, exec_lo, s10
                                        ; implicit-def: $vgpr30
.LBB2_691:                              ;   in Loop: Header=BB2_629 Depth=2
	s_and_not1_saveexec_b32 s10, s11
; %bb.692:                              ;   in Loop: Header=BB2_629 Depth=2
	v_or_b32_e32 v44, 0x7f, v30
; %bb.693:                              ;   in Loop: Header=BB2_629 Depth=2
	s_or_b32 exec_lo, exec_lo, s10
	v_dual_lshrrev_b32 v30, 16, v14 :: v_dual_mov_b32 v48, 0
	s_mov_b32 s10, exec_lo
	s_delay_alu instid0(VALU_DEP_1) | instskip(NEXT) | instid1(VALU_DEP_1)
	v_and_b32_e32 v98, 0xff, v30
	v_cmpx_ne_u16_e32 0, v98
	s_cbranch_execz .LBB2_701
; %bb.694:                              ;   in Loop: Header=BB2_629 Depth=2
	v_bfrev_b32_e32 v48, 1
	s_mov_b32 s11, exec_lo
	v_cmpx_ne_u16_e32 0x80, v98
	s_cbranch_execz .LBB2_700
; %bb.695:                              ;   in Loop: Header=BB2_629 Depth=2
	v_bfe_u32 v99, v14, 16, 7
	v_mov_b32_e32 v48, 0x7f800001
	s_mov_b32 s29, exec_lo
	s_delay_alu instid0(VALU_DEP_2)
	v_cmpx_ne_u32_e32 0x7f, v99
	s_cbranch_execz .LBB2_699
; %bb.696:                              ;   in Loop: Header=BB2_629 Depth=2
	v_dual_lshrrev_b32 v98, 3, v99 :: v_dual_bitop2_b32 v48, 7, v30 bitop3:0x40
	s_mov_b32 s40, exec_lo
	v_cmpx_gt_u32_e32 8, v99
; %bb.697:                              ;   in Loop: Header=BB2_629 Depth=2
	s_delay_alu instid0(VALU_DEP_2) | instskip(NEXT) | instid1(VALU_DEP_1)
	v_clz_i32_u32_e32 v98, v48
	v_min_u32_e32 v98, 32, v98
	s_delay_alu instid0(VALU_DEP_1) | instskip(NEXT) | instid1(VALU_DEP_1)
	v_subrev_nc_u32_e32 v99, 28, v98
	v_lshlrev_b64_e32 v[100:101], v99, v[48:49]
	s_delay_alu instid0(VALU_DEP_1)
	v_dual_sub_nc_u32 v98, 29, v98 :: v_dual_bitop2_b32 v48, 7, v100 bitop3:0x40
; %bb.698:                              ;   in Loop: Header=BB2_629 Depth=2
	s_or_b32 exec_lo, exec_lo, s40
	s_delay_alu instid0(VALU_DEP_1) | instskip(NEXT) | instid1(VALU_DEP_2)
	v_dual_lshlrev_b32 v30, 24, v30 :: v_dual_lshlrev_b32 v48, 20, v48
	v_lshl_add_u32 v98, v98, 23, 0x3c000000
	s_delay_alu instid0(VALU_DEP_2) | instskip(NEXT) | instid1(VALU_DEP_1)
	v_and_b32_e32 v30, 0x80000000, v30
	v_or3_b32 v48, v48, v30, v98
.LBB2_699:                              ;   in Loop: Header=BB2_629 Depth=2
	s_or_b32 exec_lo, exec_lo, s29
.LBB2_700:                              ;   in Loop: Header=BB2_629 Depth=2
	s_delay_alu instid0(SALU_CYCLE_1)
	s_or_b32 exec_lo, exec_lo, s11
.LBB2_701:                              ;   in Loop: Header=BB2_629 Depth=2
	s_delay_alu instid0(SALU_CYCLE_1) | instskip(SKIP_3) | instid1(VALU_DEP_1)
	s_or_b32 exec_lo, exec_lo, s10
	v_lshrrev_b32_e32 v30, 16, v10
	s_mov_b32 s11, 0
	s_mov_b32 s10, exec_lo
	v_and_b32_e32 v99, 0xff, v30
	s_delay_alu instid0(VALU_DEP_1)
	v_cmpx_lt_i16_e32 0x7f, v99
	s_xor_b32 s10, exec_lo, s10
	s_cbranch_execz .LBB2_706
; %bb.702:                              ;   in Loop: Header=BB2_629 Depth=2
	s_mov_b32 s11, -1
	s_mov_b32 s29, exec_lo
	v_cmpx_eq_u16_e32 0x80, v99
; %bb.703:                              ;   in Loop: Header=BB2_629 Depth=2
	s_xor_b32 s11, exec_lo, -1
; %bb.704:                              ;   in Loop: Header=BB2_629 Depth=2
	s_or_b32 exec_lo, exec_lo, s29
	s_delay_alu instid0(SALU_CYCLE_1)
	s_and_b32 s11, s11, exec_lo
                                        ; implicit-def: $vgpr99
	s_or_saveexec_b32 s10, s10
	v_bfrev_b32_e32 v98, 1
	s_xor_b32 exec_lo, exec_lo, s10
	s_cbranch_execnz .LBB2_707
.LBB2_705:                              ;   in Loop: Header=BB2_629 Depth=2
	s_or_b32 exec_lo, exec_lo, s10
	s_and_saveexec_b32 s10, s11
	s_cbranch_execnz .LBB2_708
	s_branch .LBB2_711
.LBB2_706:                              ;   in Loop: Header=BB2_629 Depth=2
	s_or_saveexec_b32 s10, s10
	v_bfrev_b32_e32 v98, 1
	s_xor_b32 exec_lo, exec_lo, s10
	s_cbranch_execz .LBB2_705
.LBB2_707:                              ;   in Loop: Header=BB2_629 Depth=2
	v_cmp_ne_u16_e32 vcc_lo, 0, v99
	v_mov_b32_e32 v98, 0
	s_and_not1_b32 s11, s11, exec_lo
	s_and_b32 s29, vcc_lo, exec_lo
	s_delay_alu instid0(SALU_CYCLE_1)
	s_or_b32 s11, s11, s29
	s_or_b32 exec_lo, exec_lo, s10
	s_and_saveexec_b32 s10, s11
	s_cbranch_execz .LBB2_711
.LBB2_708:                              ;   in Loop: Header=BB2_629 Depth=2
	v_and_b32_e32 v99, 0x7f, v30
	v_mov_b32_e32 v98, 0x7f800001
	s_mov_b32 s11, exec_lo
	s_delay_alu instid0(VALU_DEP_2)
	v_cmpx_ne_u32_e32 0x7f, v99
	s_cbranch_execz .LBB2_710
; %bb.709:                              ;   in Loop: Header=BB2_629 Depth=2
	v_and_b32_e32 v98, 7, v30
	v_cmp_gt_u32_e32 vcc_lo, 8, v99
	s_delay_alu instid0(VALU_DEP_2) | instskip(NEXT) | instid1(VALU_DEP_1)
	v_clz_i32_u32_e32 v100, v98
	v_min_u32_e32 v102, 32, v100
	s_delay_alu instid0(VALU_DEP_1) | instskip(NEXT) | instid1(VALU_DEP_1)
	v_subrev_nc_u32_e32 v100, 28, v102
	v_lshlrev_b64_e32 v[100:101], v100, v[30:31]
	v_dual_lshrrev_b32 v101, 3, v99 :: v_dual_sub_nc_u32 v102, 29, v102
	s_delay_alu instid0(VALU_DEP_2) | instskip(NEXT) | instid1(VALU_DEP_1)
	v_dual_lshlrev_b32 v30, 24, v30 :: v_dual_bitop2_b32 v99, 7, v100 bitop3:0x40
	v_dual_cndmask_b32 v100, v101, v102, vcc_lo :: v_dual_cndmask_b32 v98, v98, v99, vcc_lo
	s_delay_alu instid0(VALU_DEP_2) | instskip(NEXT) | instid1(VALU_DEP_2)
	v_and_b32_e32 v30, 0x80000000, v30
	v_lshl_add_u32 v99, v100, 23, 0x3c000000
	s_delay_alu instid0(VALU_DEP_3) | instskip(NEXT) | instid1(VALU_DEP_1)
	v_lshlrev_b32_e32 v98, 20, v98
	v_or3_b32 v98, v98, v30, v99
.LBB2_710:                              ;   in Loop: Header=BB2_629 Depth=2
	s_or_b32 exec_lo, exec_lo, s11
.LBB2_711:                              ;   in Loop: Header=BB2_629 Depth=2
	s_delay_alu instid0(SALU_CYCLE_1) | instskip(NEXT) | instid1(VALU_DEP_1)
	s_or_b32 exec_lo, exec_lo, s10
	v_mul_f32_e32 v98, v48, v98
                                        ; implicit-def: $vgpr45
	s_mov_b32 s10, exec_lo
	s_delay_alu instid0(VALU_DEP_1) | instskip(SKIP_1) | instid1(VALU_DEP_2)
	v_and_b32_e32 v48, 0x7f800000, v98
	v_lshrrev_b32_e32 v30, 24, v98
	v_cmpx_ne_u64_e32 0x7f800000, v[48:49]
	s_xor_b32 s11, exec_lo, s10
	s_cbranch_execz .LBB2_725
; %bb.712:                              ;   in Loop: Header=BB2_629 Depth=2
	v_and_b32_e32 v48, 0x7fffffff, v98
	v_and_b32_e32 v30, 0x80, v30
                                        ; implicit-def: $vgpr45
	s_mov_b32 s10, exec_lo
	s_delay_alu instid0(VALU_DEP_2)
	v_cmpx_gt_u64_e32 0x43e00001, v[48:49]
	s_xor_b32 s29, exec_lo, s10
	s_cbranch_execz .LBB2_722
; %bb.713:                              ;   in Loop: Header=BB2_629 Depth=2
	v_mov_b32_e32 v45, 0
	s_mov_b32 s40, exec_lo
	v_cmpx_ne_u32_e32 0, v98
	s_cbranch_execz .LBB2_721
; %bb.714:                              ;   in Loop: Header=BB2_629 Depth=2
	v_bfe_u32 v102, v98, 23, 8
	s_delay_alu instid0(VALU_DEP_1) | instskip(SKIP_1) | instid1(VALU_DEP_2)
	v_sub_nc_u32_e32 v48, 0x79, v102
	v_cmp_gt_u32_e32 vcc_lo, 0x7a, v102
	v_cndmask_b32_e32 v48, 0, v48, vcc_lo
	v_cmp_eq_u32_e32 vcc_lo, 0, v102
	s_delay_alu instid0(VALU_DEP_2) | instskip(SKIP_1) | instid1(VALU_DEP_2)
	v_cndmask_b32_e64 v103, v48, 0x78, vcc_lo
	v_and_b32_e32 v48, 0x7fffff, v98
	v_add_nc_u32_e32 v98, 20, v103
	s_delay_alu instid0(VALU_DEP_2) | instskip(SKIP_1) | instid1(VALU_DEP_3)
	v_or_b32_e32 v100, 0x800000, v48
	v_add_nc_u32_e32 v101, 19, v103
	v_lshlrev_b64_e64 v[98:99], v98, -1
	s_delay_alu instid0(VALU_DEP_3) | instskip(NEXT) | instid1(VALU_DEP_3)
	v_cndmask_b32_e32 v48, v100, v48, vcc_lo
	v_lshlrev_b64_e64 v[100:101], v101, 1
	s_delay_alu instid0(VALU_DEP_3) | instskip(NEXT) | instid1(VALU_DEP_3)
	v_bfi_b32 v47, v99, 0, 0
	v_bfi_b32 v46, v98, 0, v48
	v_lshrrev_b64 v[98:99], v103, v[48:49]
	s_delay_alu instid0(VALU_DEP_2) | instskip(NEXT) | instid1(VALU_DEP_2)
	v_cmp_eq_u64_e64 s10, v[46:47], v[100:101]
	v_mov_b64_e32 v[100:101], v[98:99]
	s_and_saveexec_b32 s41, s10
; %bb.715:                              ;   in Loop: Header=BB2_629 Depth=2
	v_bfe_u32 v48, v98, 20, 1
	s_delay_alu instid0(VALU_DEP_1) | instskip(NEXT) | instid1(VALU_DEP_1)
	v_add_nc_u64_e32 v[100:101], v[98:99], v[48:49]
	v_add_nc_u64_e32 v[100:101], -1, v[100:101]
; %bb.716:                              ;   in Loop: Header=BB2_629 Depth=2
	s_or_b32 exec_lo, exec_lo, s41
	v_add_nc_u32_e32 v48, 0xffffff81, v102
	v_lshrrev_b32_e32 v99, 23, v98
	s_mov_b32 s10, exec_lo
	s_delay_alu instid0(VALU_DEP_2) | instskip(NEXT) | instid1(VALU_DEP_1)
	v_cndmask_b32_e64 v48, v48, 0xffffff82, vcc_lo
	v_add3_u32 v101, v103, v48, v99
	v_and_b32_e32 v48, 0xfffff, v100
                                        ; implicit-def: $vgpr100
	s_delay_alu instid0(VALU_DEP_1) | instskip(NEXT) | instid1(VALU_DEP_1)
	v_dual_add_nc_u32 v102, 6, v101 :: v_dual_add_nc_u32 v48, v48, v98
                                        ; implicit-def: $vgpr98_vgpr99
	v_cmpx_ne_u32_e32 0, v102
	s_xor_b32 s10, exec_lo, s10
; %bb.717:                              ;   in Loop: Header=BB2_629 Depth=2
	s_delay_alu instid0(VALU_DEP_2) | instskip(SKIP_1) | instid1(VALU_DEP_1)
	v_cmp_lt_u64_e32 vcc_lo, 0xffffff, v[48:49]
	v_add_nc_u32_e32 v98, 7, v101
	v_cndmask_b32_e32 v100, v102, v98, vcc_lo
	v_cndmask_b32_e64 v98, 0, 1, vcc_lo
	s_delay_alu instid0(VALU_DEP_1)
	v_lshrrev_b64 v[98:99], v98, v[48:49]
; %bb.718:                              ;   in Loop: Header=BB2_629 Depth=2
	s_and_not1_saveexec_b32 s10, s10
; %bb.719:                              ;   in Loop: Header=BB2_629 Depth=2
	v_mov_b64_e32 v[98:99], v[48:49]
	v_bfe_u32 v100, v48, 23, 1
; %bb.720:                              ;   in Loop: Header=BB2_629 Depth=2
	s_or_b32 exec_lo, exec_lo, s10
	s_delay_alu instid0(VALU_DEP_2) | instskip(NEXT) | instid1(VALU_DEP_2)
	v_lshrrev_b64 v[98:99], 20, v[98:99]
	v_cmp_gt_i32_e32 vcc_lo, 16, v100
	v_min_i32_e32 v48, 15, v100
	v_cmp_eq_u32_e64 s10, 0, v100
	s_delay_alu instid0(VALU_DEP_2) | instskip(SKIP_1) | instid1(VALU_DEP_2)
	v_dual_cndmask_b32 v99, 0, v99 :: v_dual_lshlrev_b32 v48, 3, v48
	v_cndmask_b32_e32 v98, 7, v98, vcc_lo
	v_and_b32_e32 v48, 0xf8, v48
	s_delay_alu instid0(VALU_DEP_2) | instskip(NEXT) | instid1(VALU_DEP_2)
	v_cmp_eq_u64_e32 vcc_lo, 0, v[98:99]
	v_and_or_b32 v48, v98, 7, v48
	s_and_b32 s10, s10, vcc_lo
	s_delay_alu instid0(VALU_DEP_1) | instid1(SALU_CYCLE_1)
	v_cndmask_b32_e64 v48, v48, 0, s10
	s_delay_alu instid0(VALU_DEP_1)
	v_or_b32_e32 v45, v48, v30
.LBB2_721:                              ;   in Loop: Header=BB2_629 Depth=2
	s_or_b32 exec_lo, exec_lo, s40
                                        ; implicit-def: $vgpr30
.LBB2_722:                              ;   in Loop: Header=BB2_629 Depth=2
	s_and_not1_saveexec_b32 s10, s29
; %bb.723:                              ;   in Loop: Header=BB2_629 Depth=2
	v_or_b32_e32 v45, 0x7e, v30
; %bb.724:                              ;   in Loop: Header=BB2_629 Depth=2
	s_or_b32 exec_lo, exec_lo, s10
                                        ; implicit-def: $vgpr30
.LBB2_725:                              ;   in Loop: Header=BB2_629 Depth=2
	s_and_not1_saveexec_b32 s10, s11
; %bb.726:                              ;   in Loop: Header=BB2_629 Depth=2
	v_or_b32_e32 v45, 0x7f, v30
; %bb.727:                              ;   in Loop: Header=BB2_629 Depth=2
	s_or_b32 exec_lo, exec_lo, s10
	v_mov_b32_e32 v48, 0
	s_mov_b32 s10, exec_lo
	v_cmpx_lt_u32_e32 0xffffff, v14
	s_cbranch_execz .LBB2_735
; %bb.728:                              ;   in Loop: Header=BB2_629 Depth=2
	v_lshrrev_b32_e32 v30, 24, v14
	v_bfrev_b32_e32 v48, 1
	s_mov_b32 s11, exec_lo
	s_delay_alu instid0(VALU_DEP_2)
	v_cmpx_ne_u32_e32 0x80, v30
	s_cbranch_execz .LBB2_734
; %bb.729:                              ;   in Loop: Header=BB2_629 Depth=2
	v_bfe_u32 v99, v14, 24, 7
	v_mov_b32_e32 v48, 0x7f800001
	s_mov_b32 s29, exec_lo
	s_delay_alu instid0(VALU_DEP_2)
	v_cmpx_ne_u32_e32 0x7f, v99
	s_cbranch_execz .LBB2_733
; %bb.730:                              ;   in Loop: Header=BB2_629 Depth=2
	v_dual_lshrrev_b32 v98, 3, v99 :: v_dual_bitop2_b32 v48, 7, v30 bitop3:0x40
	s_mov_b32 s40, exec_lo
	v_cmpx_gt_u32_e32 8, v99
; %bb.731:                              ;   in Loop: Header=BB2_629 Depth=2
	s_delay_alu instid0(VALU_DEP_2) | instskip(NEXT) | instid1(VALU_DEP_1)
	v_clz_i32_u32_e32 v98, v48
	v_min_u32_e32 v98, 32, v98
	s_delay_alu instid0(VALU_DEP_1) | instskip(NEXT) | instid1(VALU_DEP_1)
	v_subrev_nc_u32_e32 v99, 28, v98
	v_lshlrev_b64_e32 v[100:101], v99, v[48:49]
	s_delay_alu instid0(VALU_DEP_1)
	v_dual_sub_nc_u32 v98, 29, v98 :: v_dual_bitop2_b32 v48, 7, v100 bitop3:0x40
; %bb.732:                              ;   in Loop: Header=BB2_629 Depth=2
	s_or_b32 exec_lo, exec_lo, s40
	s_delay_alu instid0(VALU_DEP_1) | instskip(NEXT) | instid1(VALU_DEP_2)
	v_dual_lshlrev_b32 v30, 24, v30 :: v_dual_lshlrev_b32 v48, 20, v48
	v_lshl_add_u32 v98, v98, 23, 0x3c000000
	s_delay_alu instid0(VALU_DEP_2) | instskip(NEXT) | instid1(VALU_DEP_1)
	v_and_b32_e32 v30, 0x80000000, v30
	v_or3_b32 v48, v48, v30, v98
.LBB2_733:                              ;   in Loop: Header=BB2_629 Depth=2
	s_or_b32 exec_lo, exec_lo, s29
.LBB2_734:                              ;   in Loop: Header=BB2_629 Depth=2
	s_delay_alu instid0(SALU_CYCLE_1)
	s_or_b32 exec_lo, exec_lo, s11
.LBB2_735:                              ;   in Loop: Header=BB2_629 Depth=2
	s_delay_alu instid0(SALU_CYCLE_1) | instskip(SKIP_3) | instid1(VALU_DEP_3)
	s_or_b32 exec_lo, exec_lo, s10
	v_lshrrev_b32_e32 v30, 24, v10
	v_bfe_u32 v98, v10, 24, 7
	v_cmp_gt_u32_e64 s11, 0x1000000, v10
	v_cmp_eq_u32_e32 vcc_lo, 0x80, v30
	s_delay_alu instid0(VALU_DEP_3) | instskip(SKIP_2) | instid1(VALU_DEP_1)
	v_cmp_eq_u32_e64 s10, 0x7f, v98
	v_cndmask_b32_e32 v99, 0x7f800001, v118, vcc_lo
	s_or_b32 s10, vcc_lo, s10
	v_cndmask_b32_e64 v99, v99, 0, s11
	s_nor_b32 s11, s11, s10
	s_delay_alu instid0(SALU_CYCLE_1)
	s_and_saveexec_b32 s10, s11
	s_cbranch_execz .LBB2_737
; %bb.736:                              ;   in Loop: Header=BB2_629 Depth=2
	v_and_b32_e32 v99, 7, v30
	v_cmp_gt_u32_e32 vcc_lo, 8, v98
	s_delay_alu instid0(VALU_DEP_2) | instskip(NEXT) | instid1(VALU_DEP_1)
	v_clz_i32_u32_e32 v100, v99
	v_min_u32_e32 v102, 32, v100
	s_delay_alu instid0(VALU_DEP_1) | instskip(SKIP_1) | instid1(VALU_DEP_2)
	v_subrev_nc_u32_e32 v100, 28, v102
	v_sub_nc_u32_e32 v102, 29, v102
	v_lshlrev_b64_e32 v[100:101], v100, v[30:31]
	v_lshrrev_b32_e32 v101, 3, v98
	v_lshlrev_b32_e32 v30, 24, v30
	s_delay_alu instid0(VALU_DEP_1) | instskip(NEXT) | instid1(VALU_DEP_3)
	v_and_b32_e32 v30, 0x80000000, v30
	v_dual_cndmask_b32 v100, v101, v102, vcc_lo :: v_dual_bitop2_b32 v98, 7, v100 bitop3:0x40
	s_delay_alu instid0(VALU_DEP_1) | instskip(NEXT) | instid1(VALU_DEP_2)
	v_cndmask_b32_e32 v98, v99, v98, vcc_lo
	v_lshl_add_u32 v99, v100, 23, 0x3c000000
	s_delay_alu instid0(VALU_DEP_2) | instskip(NEXT) | instid1(VALU_DEP_1)
	v_lshlrev_b32_e32 v98, 20, v98
	v_or3_b32 v99, v98, v30, v99
.LBB2_737:                              ;   in Loop: Header=BB2_629 Depth=2
	s_or_b32 exec_lo, exec_lo, s10
	s_delay_alu instid0(VALU_DEP_1) | instskip(SKIP_1) | instid1(VALU_DEP_1)
	v_mul_f32_e32 v98, v48, v99
                                        ; implicit-def: $vgpr46
	s_mov_b32 s10, exec_lo
	v_and_b32_e32 v48, 0x7f800000, v98
	v_lshrrev_b32_e32 v30, 24, v98
	s_delay_alu instid0(VALU_DEP_2)
	v_cmpx_ne_u64_e32 0x7f800000, v[48:49]
	s_xor_b32 s11, exec_lo, s10
	s_cbranch_execz .LBB2_751
; %bb.738:                              ;   in Loop: Header=BB2_629 Depth=2
	v_and_b32_e32 v48, 0x7fffffff, v98
	v_and_b32_e32 v30, 0x80, v30
                                        ; implicit-def: $vgpr46
	s_mov_b32 s10, exec_lo
	s_delay_alu instid0(VALU_DEP_2)
	v_cmpx_gt_u64_e32 0x43e00001, v[48:49]
	s_xor_b32 s29, exec_lo, s10
	s_cbranch_execz .LBB2_748
; %bb.739:                              ;   in Loop: Header=BB2_629 Depth=2
	v_mov_b32_e32 v46, 0
	s_mov_b32 s40, exec_lo
	v_cmpx_ne_u32_e32 0, v98
	s_cbranch_execz .LBB2_747
; %bb.740:                              ;   in Loop: Header=BB2_629 Depth=2
	v_bfe_u32 v102, v98, 23, 8
	s_delay_alu instid0(VALU_DEP_1) | instskip(SKIP_1) | instid1(VALU_DEP_2)
	v_sub_nc_u32_e32 v48, 0x79, v102
	v_cmp_gt_u32_e32 vcc_lo, 0x7a, v102
	v_cndmask_b32_e32 v48, 0, v48, vcc_lo
	v_cmp_eq_u32_e32 vcc_lo, 0, v102
	s_delay_alu instid0(VALU_DEP_2) | instskip(SKIP_1) | instid1(VALU_DEP_2)
	v_cndmask_b32_e64 v103, v48, 0x78, vcc_lo
	v_and_b32_e32 v48, 0x7fffff, v98
	v_add_nc_u32_e32 v98, 20, v103
	s_delay_alu instid0(VALU_DEP_2) | instskip(SKIP_1) | instid1(VALU_DEP_3)
	v_or_b32_e32 v100, 0x800000, v48
	v_add_nc_u32_e32 v101, 19, v103
	v_lshlrev_b64_e64 v[98:99], v98, -1
	s_delay_alu instid0(VALU_DEP_3) | instskip(NEXT) | instid1(VALU_DEP_3)
	v_cndmask_b32_e32 v48, v100, v48, vcc_lo
	v_lshlrev_b64_e64 v[100:101], v101, 1
	s_delay_alu instid0(VALU_DEP_3) | instskip(NEXT) | instid1(VALU_DEP_3)
	v_bfi_b32 v47, v99, 0, 0
	v_bfi_b32 v46, v98, 0, v48
	v_lshrrev_b64 v[98:99], v103, v[48:49]
	s_delay_alu instid0(VALU_DEP_2) | instskip(NEXT) | instid1(VALU_DEP_2)
	v_cmp_eq_u64_e64 s10, v[46:47], v[100:101]
	v_mov_b64_e32 v[100:101], v[98:99]
	s_and_saveexec_b32 s41, s10
; %bb.741:                              ;   in Loop: Header=BB2_629 Depth=2
	v_bfe_u32 v48, v98, 20, 1
	s_delay_alu instid0(VALU_DEP_1) | instskip(NEXT) | instid1(VALU_DEP_1)
	v_add_nc_u64_e32 v[100:101], v[98:99], v[48:49]
	v_add_nc_u64_e32 v[100:101], -1, v[100:101]
; %bb.742:                              ;   in Loop: Header=BB2_629 Depth=2
	s_or_b32 exec_lo, exec_lo, s41
	v_add_nc_u32_e32 v48, 0xffffff81, v102
	v_lshrrev_b32_e32 v99, 23, v98
	s_mov_b32 s10, exec_lo
	s_delay_alu instid0(VALU_DEP_2) | instskip(NEXT) | instid1(VALU_DEP_1)
	v_cndmask_b32_e64 v48, v48, 0xffffff82, vcc_lo
	v_add3_u32 v101, v103, v48, v99
	v_and_b32_e32 v48, 0xfffff, v100
                                        ; implicit-def: $vgpr100
	s_delay_alu instid0(VALU_DEP_1) | instskip(NEXT) | instid1(VALU_DEP_1)
	v_dual_add_nc_u32 v102, 6, v101 :: v_dual_add_nc_u32 v48, v48, v98
                                        ; implicit-def: $vgpr98_vgpr99
	v_cmpx_ne_u32_e32 0, v102
	s_xor_b32 s10, exec_lo, s10
; %bb.743:                              ;   in Loop: Header=BB2_629 Depth=2
	s_delay_alu instid0(VALU_DEP_2) | instskip(SKIP_1) | instid1(VALU_DEP_1)
	v_cmp_lt_u64_e32 vcc_lo, 0xffffff, v[48:49]
	v_add_nc_u32_e32 v98, 7, v101
	v_cndmask_b32_e32 v100, v102, v98, vcc_lo
	v_cndmask_b32_e64 v98, 0, 1, vcc_lo
	s_delay_alu instid0(VALU_DEP_1)
	v_lshrrev_b64 v[98:99], v98, v[48:49]
; %bb.744:                              ;   in Loop: Header=BB2_629 Depth=2
	s_and_not1_saveexec_b32 s10, s10
; %bb.745:                              ;   in Loop: Header=BB2_629 Depth=2
	v_mov_b64_e32 v[98:99], v[48:49]
	v_bfe_u32 v100, v48, 23, 1
; %bb.746:                              ;   in Loop: Header=BB2_629 Depth=2
	s_or_b32 exec_lo, exec_lo, s10
	s_delay_alu instid0(VALU_DEP_2) | instskip(NEXT) | instid1(VALU_DEP_2)
	v_lshrrev_b64 v[98:99], 20, v[98:99]
	v_cmp_gt_i32_e32 vcc_lo, 16, v100
	v_min_i32_e32 v48, 15, v100
	v_cmp_eq_u32_e64 s10, 0, v100
	s_delay_alu instid0(VALU_DEP_2) | instskip(SKIP_1) | instid1(VALU_DEP_2)
	v_dual_cndmask_b32 v99, 0, v99 :: v_dual_lshlrev_b32 v48, 3, v48
	v_cndmask_b32_e32 v98, 7, v98, vcc_lo
	v_and_b32_e32 v48, 0xf8, v48
	s_delay_alu instid0(VALU_DEP_2) | instskip(NEXT) | instid1(VALU_DEP_2)
	v_cmp_eq_u64_e32 vcc_lo, 0, v[98:99]
	v_and_or_b32 v48, v98, 7, v48
	s_and_b32 s10, s10, vcc_lo
	s_delay_alu instid0(VALU_DEP_1) | instid1(SALU_CYCLE_1)
	v_cndmask_b32_e64 v48, v48, 0, s10
	s_delay_alu instid0(VALU_DEP_1)
	v_or_b32_e32 v46, v48, v30
.LBB2_747:                              ;   in Loop: Header=BB2_629 Depth=2
	s_or_b32 exec_lo, exec_lo, s40
                                        ; implicit-def: $vgpr30
.LBB2_748:                              ;   in Loop: Header=BB2_629 Depth=2
	s_and_not1_saveexec_b32 s10, s29
; %bb.749:                              ;   in Loop: Header=BB2_629 Depth=2
	v_or_b32_e32 v46, 0x7e, v30
; %bb.750:                              ;   in Loop: Header=BB2_629 Depth=2
	s_or_b32 exec_lo, exec_lo, s10
                                        ; implicit-def: $vgpr30
.LBB2_751:                              ;   in Loop: Header=BB2_629 Depth=2
	s_and_not1_saveexec_b32 s10, s11
; %bb.752:                              ;   in Loop: Header=BB2_629 Depth=2
	v_or_b32_e32 v46, 0x7f, v30
; %bb.753:                              ;   in Loop: Header=BB2_629 Depth=2
	s_or_b32 exec_lo, exec_lo, s10
	v_and_b32_e32 v98, 0xff, v15
	v_dual_mov_b32 v48, v15 :: v_dual_mov_b32 v30, 0
	s_mov_b32 s10, exec_lo
	s_delay_alu instid0(VALU_DEP_2)
	v_cmpx_ne_u16_e32 0, v98
	s_cbranch_execz .LBB2_759
; %bb.754:                              ;   in Loop: Header=BB2_629 Depth=2
	v_bfrev_b32_e32 v30, 1
	s_mov_b32 s11, exec_lo
	v_cmpx_ne_u16_e32 0x80, v98
	s_cbranch_execz .LBB2_758
; %bb.755:                              ;   in Loop: Header=BB2_629 Depth=2
	v_and_b32_e32 v98, 0x7f, v15
	v_mov_b32_e32 v30, 0x7f800001
	s_mov_b32 s29, exec_lo
	s_delay_alu instid0(VALU_DEP_2)
	v_cmpx_ne_u32_e32 0x7f, v98
	s_cbranch_execz .LBB2_757
; %bb.756:                              ;   in Loop: Header=BB2_629 Depth=2
	v_dual_lshrrev_b32 v99, 3, v98 :: v_dual_bitop2_b32 v30, 7, v15 bitop3:0x40
	v_cmp_gt_u32_e32 vcc_lo, 8, v98
	s_delay_alu instid0(VALU_DEP_2) | instskip(NEXT) | instid1(VALU_DEP_1)
	v_clz_i32_u32_e32 v30, v30
	v_min_u32_e32 v30, 32, v30
	s_delay_alu instid0(VALU_DEP_1) | instskip(NEXT) | instid1(VALU_DEP_1)
	v_subrev_nc_u32_e32 v100, 28, v30
	v_dual_sub_nc_u32 v30, 29, v30 :: v_dual_cndmask_b32 v98, 0, v100, vcc_lo
	s_delay_alu instid0(VALU_DEP_1) | instskip(NEXT) | instid1(VALU_DEP_2)
	v_cndmask_b32_e32 v30, v99, v30, vcc_lo
	v_lshlrev_b64_e32 v[98:99], v98, v[48:49]
	v_lshlrev_b32_e32 v99, 24, v48
	s_delay_alu instid0(VALU_DEP_3) | instskip(NEXT) | instid1(VALU_DEP_2)
	v_lshl_add_u32 v30, v30, 23, 0x3c000000
	v_and_b32_e32 v99, 0x80000000, v99
	s_delay_alu instid0(VALU_DEP_4) | instskip(NEXT) | instid1(VALU_DEP_1)
	v_lshlrev_b32_e32 v98, 20, v98
	v_and_b32_e32 v98, 0x700000, v98
	s_delay_alu instid0(VALU_DEP_1)
	v_or3_b32 v30, v98, v99, v30
.LBB2_757:                              ;   in Loop: Header=BB2_629 Depth=2
	s_or_b32 exec_lo, exec_lo, s29
.LBB2_758:                              ;   in Loop: Header=BB2_629 Depth=2
	s_delay_alu instid0(SALU_CYCLE_1)
	s_or_b32 exec_lo, exec_lo, s11
.LBB2_759:                              ;   in Loop: Header=BB2_629 Depth=2
	s_delay_alu instid0(SALU_CYCLE_1) | instskip(SKIP_4) | instid1(VALU_DEP_2)
	s_or_b32 exec_lo, exec_lo, s10
	v_and_b32_e32 v99, 0xff, v11
	v_mov_b32_e32 v98, v11
	s_mov_b32 s10, 0
	s_mov_b32 s11, exec_lo
	v_cmpx_lt_i16_e32 0x7f, v99
	s_xor_b32 s11, exec_lo, s11
	s_cbranch_execz .LBB2_794
; %bb.760:                              ;   in Loop: Header=BB2_629 Depth=2
	s_mov_b32 s10, -1
	s_mov_b32 s29, exec_lo
	v_cmpx_eq_u16_e32 0x80, v99
; %bb.761:                              ;   in Loop: Header=BB2_629 Depth=2
	s_xor_b32 s10, exec_lo, -1
; %bb.762:                              ;   in Loop: Header=BB2_629 Depth=2
	s_or_b32 exec_lo, exec_lo, s29
	s_delay_alu instid0(SALU_CYCLE_1)
	s_and_b32 s10, s10, exec_lo
                                        ; implicit-def: $vgpr99
	s_or_saveexec_b32 s11, s11
	v_bfrev_b32_e32 v100, 1
	s_xor_b32 exec_lo, exec_lo, s11
	s_cbranch_execnz .LBB2_795
.LBB2_763:                              ;   in Loop: Header=BB2_629 Depth=2
	s_or_b32 exec_lo, exec_lo, s11
	v_mov_b32_e32 v99, v49
	s_and_saveexec_b32 s11, s10
	s_cbranch_execz .LBB2_765
.LBB2_764:                              ;   in Loop: Header=BB2_629 Depth=2
	v_and_b32_e32 v100, 7, v11
	v_and_b32_e32 v102, 0x7f, v11
	v_bfe_u32 v101, v11, 3, 4
	s_delay_alu instid0(VALU_DEP_3) | instskip(NEXT) | instid1(VALU_DEP_3)
	v_clz_i32_u32_e32 v100, v100
	v_cmp_gt_u32_e32 vcc_lo, 8, v102
	s_delay_alu instid0(VALU_DEP_2) | instskip(NEXT) | instid1(VALU_DEP_1)
	v_min_u32_e32 v100, 32, v100
	v_subrev_nc_u32_e32 v103, 28, v100
	v_sub_nc_u32_e32 v100, 29, v100
	s_delay_alu instid0(VALU_DEP_1) | instskip(SKIP_1) | instid1(VALU_DEP_2)
	v_dual_cndmask_b32 v47, v101, v100 :: v_dual_cndmask_b32 v100, 0, v103
	v_cmp_ne_u32_e32 vcc_lo, 0x7f, v102
	v_lshlrev_b64_e32 v[100:101], v100, v[98:99]
	v_lshlrev_b32_e32 v99, 24, v98
	s_delay_alu instid0(VALU_DEP_4) | instskip(NEXT) | instid1(VALU_DEP_2)
	v_lshl_add_u32 v101, v47, 23, 0x3c000000
	v_and_b32_e32 v99, 0x80000000, v99
	s_delay_alu instid0(VALU_DEP_4) | instskip(NEXT) | instid1(VALU_DEP_1)
	v_lshlrev_b32_e32 v100, 20, v100
	v_and_b32_e32 v100, 0x700000, v100
	s_delay_alu instid0(VALU_DEP_1) | instskip(NEXT) | instid1(VALU_DEP_1)
	v_or3_b32 v99, v100, v99, v101
	v_cndmask_b32_e32 v100, 0x7f800001, v99, vcc_lo
.LBB2_765:                              ;   in Loop: Header=BB2_629 Depth=2
	s_or_b32 exec_lo, exec_lo, s11
	s_delay_alu instid0(VALU_DEP_1) | instskip(SKIP_1) | instid1(VALU_DEP_1)
	v_dual_mul_f32 v99, v30, v100 :: v_dual_mov_b32 v101, v49
                                        ; implicit-def: $vgpr102
	s_mov_b32 s10, exec_lo
	v_and_b32_e32 v100, 0x7f800000, v99
	v_lshrrev_b32_e32 v30, 24, v99
	s_delay_alu instid0(VALU_DEP_2)
	v_cmpx_ne_u64_e32 0x7f800000, v[100:101]
	s_xor_b32 s11, exec_lo, s10
	s_cbranch_execz .LBB2_779
; %bb.766:                              ;   in Loop: Header=BB2_629 Depth=2
	v_and_b32_e32 v100, 0x7fffffff, v99
	v_mov_b32_e32 v101, v49
	v_and_b32_e32 v30, 0x80, v30
                                        ; implicit-def: $vgpr102
	s_mov_b32 s10, exec_lo
	s_delay_alu instid0(VALU_DEP_2)
	v_cmpx_gt_u64_e32 0x43e00001, v[100:101]
	s_xor_b32 s29, exec_lo, s10
	s_cbranch_execz .LBB2_776
; %bb.767:                              ;   in Loop: Header=BB2_629 Depth=2
	v_mov_b32_e32 v102, 0
	s_mov_b32 s40, exec_lo
	v_cmpx_ne_u32_e32 0, v99
	s_cbranch_execz .LBB2_775
; %bb.768:                              ;   in Loop: Header=BB2_629 Depth=2
	v_bfe_u32 v47, v99, 23, 8
	v_and_b32_e32 v99, 0x7fffff, v99
	s_mov_b32 s41, exec_lo
	s_delay_alu instid0(VALU_DEP_2) | instskip(SKIP_1) | instid1(VALU_DEP_3)
	v_dual_mov_b32 v103, v49 :: v_dual_sub_nc_u32 v100, 0x79, v47
	v_cmp_gt_u32_e32 vcc_lo, 0x7a, v47
	v_or_b32_e32 v102, 0x800000, v99
	s_delay_alu instid0(VALU_DEP_3) | instskip(SKIP_1) | instid1(VALU_DEP_3)
	v_cndmask_b32_e32 v100, 0, v100, vcc_lo
	v_cmp_eq_u32_e32 vcc_lo, 0, v47
	v_cndmask_b32_e32 v102, v102, v99, vcc_lo
	s_delay_alu instid0(VALU_DEP_3) | instskip(NEXT) | instid1(VALU_DEP_1)
	v_cndmask_b32_e64 v56, v100, 0x78, vcc_lo
	v_dual_add_nc_u32 v100, 20, v56 :: v_dual_add_nc_u32 v57, 19, v56
	s_delay_alu instid0(VALU_DEP_1) | instskip(NEXT) | instid1(VALU_DEP_2)
	v_lshlrev_b64_e64 v[100:101], v100, -1
	v_lshlrev_b64_e64 v[58:59], v57, 1
	s_delay_alu instid0(VALU_DEP_2) | instskip(NEXT) | instid1(VALU_DEP_3)
	v_bfi_b32 v61, v101, 0, 0
	v_bfi_b32 v60, v100, 0, v102
	v_lshrrev_b64 v[100:101], v56, v[102:103]
	s_delay_alu instid0(VALU_DEP_1) | instskip(NEXT) | instid1(VALU_DEP_3)
	v_mov_b64_e32 v[102:103], v[100:101]
	v_cmpx_eq_u64_e64 v[60:61], v[58:59]
; %bb.769:                              ;   in Loop: Header=BB2_629 Depth=2
	v_bfe_u32 v102, v100, 20, 1
	v_mov_b32_e32 v103, v49
	s_delay_alu instid0(VALU_DEP_1) | instskip(NEXT) | instid1(VALU_DEP_1)
	v_add_nc_u64_e32 v[102:103], v[100:101], v[102:103]
	v_add_nc_u64_e32 v[102:103], -1, v[102:103]
; %bb.770:                              ;   in Loop: Header=BB2_629 Depth=2
	s_or_b32 exec_lo, exec_lo, s41
	v_add_nc_u32_e32 v99, 0xffffff81, v47
	v_lshrrev_b32_e32 v101, 23, v100
	s_mov_b32 s10, exec_lo
	s_delay_alu instid0(VALU_DEP_2) | instskip(NEXT) | instid1(VALU_DEP_1)
	v_cndmask_b32_e64 v99, v99, 0xffffff82, vcc_lo
	v_add3_u32 v103, v56, v99, v101
	v_and_b32_e32 v99, 0xfffff, v102
	s_delay_alu instid0(VALU_DEP_2) | instskip(NEXT) | instid1(VALU_DEP_2)
	v_dual_mov_b32 v101, v49 :: v_dual_add_nc_u32 v102, 6, v103
	v_add_nc_u32_e32 v100, v99, v100
                                        ; implicit-def: $vgpr99
	s_delay_alu instid0(VALU_DEP_2)
	v_cmpx_ne_u32_e32 0, v102
	s_xor_b32 s10, exec_lo, s10
; %bb.771:                              ;   in Loop: Header=BB2_629 Depth=2
	s_delay_alu instid0(VALU_DEP_2) | instskip(SKIP_1) | instid1(VALU_DEP_1)
	v_cmp_lt_u64_e32 vcc_lo, 0xffffff, v[100:101]
	v_add_nc_u32_e32 v99, 7, v103
	v_cndmask_b32_e32 v99, v102, v99, vcc_lo
	v_cndmask_b32_e64 v102, 0, 1, vcc_lo
	s_delay_alu instid0(VALU_DEP_1)
	v_lshrrev_b64 v[100:101], v102, v[100:101]
; %bb.772:                              ;   in Loop: Header=BB2_629 Depth=2
	s_and_not1_saveexec_b32 s10, s10
; %bb.773:                              ;   in Loop: Header=BB2_629 Depth=2
	s_delay_alu instid0(VALU_DEP_1)
	v_bfe_u32 v99, v100, 23, 1
; %bb.774:                              ;   in Loop: Header=BB2_629 Depth=2
	s_or_b32 exec_lo, exec_lo, s10
	s_delay_alu instid0(VALU_DEP_2) | instskip(NEXT) | instid1(VALU_DEP_2)
	v_lshrrev_b64 v[100:101], 20, v[100:101]
	v_cmp_gt_i32_e32 vcc_lo, 16, v99
	v_min_i32_e32 v102, 15, v99
	v_cmp_eq_u32_e64 s10, 0, v99
	s_delay_alu instid0(VALU_DEP_2) | instskip(SKIP_1) | instid1(VALU_DEP_2)
	v_dual_cndmask_b32 v101, 0, v101 :: v_dual_lshlrev_b32 v102, 3, v102
	v_cndmask_b32_e32 v100, 7, v100, vcc_lo
	v_and_b32_e32 v102, 0xf8, v102
	s_delay_alu instid0(VALU_DEP_2) | instskip(NEXT) | instid1(VALU_DEP_2)
	v_cmp_eq_u64_e32 vcc_lo, 0, v[100:101]
	v_and_or_b32 v99, v100, 7, v102
	s_and_b32 s10, s10, vcc_lo
	s_delay_alu instid0(VALU_DEP_1) | instid1(SALU_CYCLE_1)
	v_cndmask_b32_e64 v99, v99, 0, s10
	s_delay_alu instid0(VALU_DEP_1)
	v_or_b32_e32 v102, v99, v30
.LBB2_775:                              ;   in Loop: Header=BB2_629 Depth=2
	s_or_b32 exec_lo, exec_lo, s40
                                        ; implicit-def: $vgpr30
.LBB2_776:                              ;   in Loop: Header=BB2_629 Depth=2
	s_and_not1_saveexec_b32 s10, s29
; %bb.777:                              ;   in Loop: Header=BB2_629 Depth=2
	v_or_b32_e32 v102, 0x7e, v30
; %bb.778:                              ;   in Loop: Header=BB2_629 Depth=2
	s_or_b32 exec_lo, exec_lo, s10
                                        ; implicit-def: $vgpr30
.LBB2_779:                              ;   in Loop: Header=BB2_629 Depth=2
	s_and_not1_saveexec_b32 s10, s11
; %bb.780:                              ;   in Loop: Header=BB2_629 Depth=2
	v_or_b32_e32 v102, 0x7f, v30
; %bb.781:                              ;   in Loop: Header=BB2_629 Depth=2
	s_or_b32 exec_lo, exec_lo, s10
	v_lshrrev_b16 v30, 8, v48
	v_mov_b32_e32 v99, 0
	s_mov_b32 s10, exec_lo
	s_delay_alu instid0(VALU_DEP_2)
	v_cmpx_ne_u16_e32 0, v30
	s_cbranch_execz .LBB2_789
; %bb.782:                              ;   in Loop: Header=BB2_629 Depth=2
	v_bfrev_b32_e32 v99, 1
	s_mov_b32 s11, exec_lo
	v_cmpx_ne_u16_e32 0x80, v30
	s_cbranch_execz .LBB2_788
; %bb.783:                              ;   in Loop: Header=BB2_629 Depth=2
	v_and_b32_e32 v30, 0xffff, v30
	v_mov_b32_e32 v99, 0x7f800001
	s_mov_b32 s29, exec_lo
	s_delay_alu instid0(VALU_DEP_2) | instskip(NEXT) | instid1(VALU_DEP_1)
	v_and_b32_e32 v103, 0x7f, v30
	v_cmpx_ne_u32_e32 0x7f, v103
	s_cbranch_execz .LBB2_787
; %bb.784:                              ;   in Loop: Header=BB2_629 Depth=2
	v_dual_mov_b32 v101, v49 :: v_dual_bitop2_b32 v100, 7, v30 bitop3:0x40
	v_lshrrev_b32_e32 v30, 3, v103
	s_mov_b32 s40, exec_lo
	v_cmpx_gt_u32_e32 8, v103
; %bb.785:                              ;   in Loop: Header=BB2_629 Depth=2
	s_delay_alu instid0(VALU_DEP_3) | instskip(NEXT) | instid1(VALU_DEP_1)
	v_clz_i32_u32_e32 v30, v100
	v_min_u32_e32 v30, 32, v30
	s_delay_alu instid0(VALU_DEP_1) | instskip(NEXT) | instid1(VALU_DEP_1)
	v_subrev_nc_u32_e32 v99, 28, v30
	v_lshlrev_b64_e32 v[100:101], v99, v[100:101]
	s_delay_alu instid0(VALU_DEP_1)
	v_dual_sub_nc_u32 v30, 29, v30 :: v_dual_bitop2_b32 v100, 7, v100 bitop3:0x40
; %bb.786:                              ;   in Loop: Header=BB2_629 Depth=2
	s_or_b32 exec_lo, exec_lo, s40
	v_lshlrev_b32_e32 v48, 16, v48
	s_delay_alu instid0(VALU_DEP_2) | instskip(NEXT) | instid1(VALU_DEP_3)
	v_lshlrev_b32_e32 v99, 20, v100
	v_lshl_add_u32 v30, v30, 23, 0x3c000000
	s_delay_alu instid0(VALU_DEP_3) | instskip(NEXT) | instid1(VALU_DEP_1)
	v_and_b32_e32 v48, 0x80000000, v48
	v_or3_b32 v99, v99, v48, v30
.LBB2_787:                              ;   in Loop: Header=BB2_629 Depth=2
	s_or_b32 exec_lo, exec_lo, s29
.LBB2_788:                              ;   in Loop: Header=BB2_629 Depth=2
	s_delay_alu instid0(SALU_CYCLE_1)
	s_or_b32 exec_lo, exec_lo, s11
.LBB2_789:                              ;   in Loop: Header=BB2_629 Depth=2
	s_delay_alu instid0(SALU_CYCLE_1) | instskip(SKIP_3) | instid1(VALU_DEP_1)
	s_or_b32 exec_lo, exec_lo, s10
	v_lshrrev_b16 v48, 8, v98
	s_mov_b32 s11, 0
	s_mov_b32 s10, exec_lo
	v_cmpx_lt_i16_e32 0x7f, v48
	s_xor_b32 s10, exec_lo, s10
	s_cbranch_execz .LBB2_796
; %bb.790:                              ;   in Loop: Header=BB2_629 Depth=2
	s_mov_b32 s11, -1
	s_mov_b32 s29, exec_lo
	v_cmpx_eq_u16_e32 0x80, v48
; %bb.791:                              ;   in Loop: Header=BB2_629 Depth=2
	s_xor_b32 s11, exec_lo, -1
; %bb.792:                              ;   in Loop: Header=BB2_629 Depth=2
	s_or_b32 exec_lo, exec_lo, s29
	s_delay_alu instid0(SALU_CYCLE_1)
	s_and_b32 s11, s11, exec_lo
	s_or_saveexec_b32 s10, s10
	v_bfrev_b32_e32 v98, 1
	s_xor_b32 exec_lo, exec_lo, s10
	s_cbranch_execnz .LBB2_797
.LBB2_793:                              ;   in Loop: Header=BB2_629 Depth=2
	s_or_b32 exec_lo, exec_lo, s10
	s_and_saveexec_b32 s10, s11
	s_cbranch_execnz .LBB2_798
	s_branch .LBB2_801
.LBB2_794:                              ;   in Loop: Header=BB2_629 Depth=2
	s_or_saveexec_b32 s11, s11
	v_bfrev_b32_e32 v100, 1
	s_xor_b32 exec_lo, exec_lo, s11
	s_cbranch_execz .LBB2_763
.LBB2_795:                              ;   in Loop: Header=BB2_629 Depth=2
	v_cmp_ne_u16_e32 vcc_lo, 0, v99
	v_mov_b32_e32 v100, 0
	s_and_not1_b32 s10, s10, exec_lo
	s_and_b32 s29, vcc_lo, exec_lo
	s_delay_alu instid0(SALU_CYCLE_1)
	s_or_b32 s10, s10, s29
	s_or_b32 exec_lo, exec_lo, s11
	v_mov_b32_e32 v99, v49
	s_and_saveexec_b32 s11, s10
	s_cbranch_execnz .LBB2_764
	s_branch .LBB2_765
.LBB2_796:                              ;   in Loop: Header=BB2_629 Depth=2
	s_or_saveexec_b32 s10, s10
	v_bfrev_b32_e32 v98, 1
	s_xor_b32 exec_lo, exec_lo, s10
	s_cbranch_execz .LBB2_793
.LBB2_797:                              ;   in Loop: Header=BB2_629 Depth=2
	v_cmp_ne_u16_e32 vcc_lo, 0, v48
	v_mov_b32_e32 v98, 0
	s_and_not1_b32 s11, s11, exec_lo
	s_and_b32 s29, vcc_lo, exec_lo
	s_delay_alu instid0(SALU_CYCLE_1)
	s_or_b32 s11, s11, s29
	s_or_b32 exec_lo, exec_lo, s10
	s_and_saveexec_b32 s10, s11
	s_cbranch_execz .LBB2_801
.LBB2_798:                              ;   in Loop: Header=BB2_629 Depth=2
	v_and_b32_e32 v30, 0xffff, v48
	v_mov_b32_e32 v98, 0x7f800001
	s_mov_b32 s11, exec_lo
	s_delay_alu instid0(VALU_DEP_2) | instskip(NEXT) | instid1(VALU_DEP_1)
	v_and_b32_e32 v100, 0x7f, v30
	v_cmpx_ne_u32_e32 0x7f, v100
	s_cbranch_execz .LBB2_800
; %bb.799:                              ;   in Loop: Header=BB2_629 Depth=2
	v_and_b32_e32 v98, 7, v30
	v_cmp_gt_u32_e32 vcc_lo, 8, v100
	s_delay_alu instid0(VALU_DEP_2) | instskip(NEXT) | instid1(VALU_DEP_1)
	v_clz_i32_u32_e32 v101, v98
	v_min_u32_e32 v101, 32, v101
	s_delay_alu instid0(VALU_DEP_1) | instskip(NEXT) | instid1(VALU_DEP_1)
	v_subrev_nc_u32_e32 v103, 28, v101
	v_lshlrev_b64_e32 v[56:57], v103, v[30:31]
	v_dual_lshrrev_b32 v30, 3, v100 :: v_dual_sub_nc_u32 v101, 29, v101
	s_delay_alu instid0(VALU_DEP_2) | instskip(NEXT) | instid1(VALU_DEP_2)
	v_and_b32_e32 v100, 7, v56
	v_dual_lshlrev_b32 v48, 24, v48 :: v_dual_cndmask_b32 v30, v30, v101, vcc_lo
	s_delay_alu instid0(VALU_DEP_2) | instskip(NEXT) | instid1(VALU_DEP_2)
	v_cndmask_b32_e32 v98, v98, v100, vcc_lo
	v_and_b32_e32 v48, 0x80000000, v48
	s_delay_alu instid0(VALU_DEP_3) | instskip(NEXT) | instid1(VALU_DEP_3)
	v_lshl_add_u32 v30, v30, 23, 0x3c000000
	v_lshlrev_b32_e32 v98, 20, v98
	s_delay_alu instid0(VALU_DEP_1)
	v_or3_b32 v98, v98, v48, v30
.LBB2_800:                              ;   in Loop: Header=BB2_629 Depth=2
	s_or_b32 exec_lo, exec_lo, s11
.LBB2_801:                              ;   in Loop: Header=BB2_629 Depth=2
	s_delay_alu instid0(SALU_CYCLE_1) | instskip(NEXT) | instid1(VALU_DEP_1)
	s_or_b32 exec_lo, exec_lo, s10
	v_mul_f32_e32 v98, v99, v98
                                        ; implicit-def: $vgpr103
	s_mov_b32 s10, exec_lo
	s_delay_alu instid0(VALU_DEP_1) | instskip(SKIP_1) | instid1(VALU_DEP_2)
	v_and_b32_e32 v48, 0x7f800000, v98
	v_lshrrev_b32_e32 v30, 24, v98
	v_cmpx_ne_u64_e32 0x7f800000, v[48:49]
	s_xor_b32 s11, exec_lo, s10
	s_cbranch_execz .LBB2_815
; %bb.802:                              ;   in Loop: Header=BB2_629 Depth=2
	v_and_b32_e32 v48, 0x7fffffff, v98
	v_and_b32_e32 v30, 0x80, v30
                                        ; implicit-def: $vgpr103
	s_mov_b32 s10, exec_lo
	s_delay_alu instid0(VALU_DEP_2)
	v_cmpx_gt_u64_e32 0x43e00001, v[48:49]
	s_xor_b32 s29, exec_lo, s10
	s_cbranch_execz .LBB2_812
; %bb.803:                              ;   in Loop: Header=BB2_629 Depth=2
	v_mov_b32_e32 v103, 0
	s_mov_b32 s40, exec_lo
	v_cmpx_ne_u32_e32 0, v98
	s_cbranch_execz .LBB2_811
; %bb.804:                              ;   in Loop: Header=BB2_629 Depth=2
	v_bfe_u32 v103, v98, 23, 8
	s_delay_alu instid0(VALU_DEP_1) | instskip(SKIP_1) | instid1(VALU_DEP_2)
	v_sub_nc_u32_e32 v48, 0x79, v103
	v_cmp_gt_u32_e32 vcc_lo, 0x7a, v103
	v_cndmask_b32_e32 v48, 0, v48, vcc_lo
	v_cmp_eq_u32_e32 vcc_lo, 0, v103
	s_delay_alu instid0(VALU_DEP_2) | instskip(SKIP_1) | instid1(VALU_DEP_2)
	v_cndmask_b32_e64 v47, v48, 0x78, vcc_lo
	v_and_b32_e32 v48, 0x7fffff, v98
	v_add_nc_u32_e32 v98, 20, v47
	s_delay_alu instid0(VALU_DEP_2) | instskip(SKIP_1) | instid1(VALU_DEP_3)
	v_or_b32_e32 v100, 0x800000, v48
	v_add_nc_u32_e32 v101, 19, v47
	v_lshlrev_b64_e64 v[98:99], v98, -1
	s_delay_alu instid0(VALU_DEP_3) | instskip(NEXT) | instid1(VALU_DEP_3)
	v_cndmask_b32_e32 v48, v100, v48, vcc_lo
	v_lshlrev_b64_e64 v[100:101], v101, 1
	s_delay_alu instid0(VALU_DEP_3) | instskip(NEXT) | instid1(VALU_DEP_3)
	v_bfi_b32 v57, v99, 0, 0
	v_bfi_b32 v56, v98, 0, v48
	v_lshrrev_b64 v[98:99], v47, v[48:49]
	s_delay_alu instid0(VALU_DEP_2) | instskip(NEXT) | instid1(VALU_DEP_2)
	v_cmp_eq_u64_e64 s10, v[56:57], v[100:101]
	v_mov_b64_e32 v[100:101], v[98:99]
	s_and_saveexec_b32 s41, s10
; %bb.805:                              ;   in Loop: Header=BB2_629 Depth=2
	v_bfe_u32 v48, v98, 20, 1
	s_delay_alu instid0(VALU_DEP_1) | instskip(NEXT) | instid1(VALU_DEP_1)
	v_add_nc_u64_e32 v[100:101], v[98:99], v[48:49]
	v_add_nc_u64_e32 v[100:101], -1, v[100:101]
; %bb.806:                              ;   in Loop: Header=BB2_629 Depth=2
	s_or_b32 exec_lo, exec_lo, s41
	v_add_nc_u32_e32 v48, 0xffffff81, v103
	v_lshrrev_b32_e32 v99, 23, v98
	s_mov_b32 s10, exec_lo
	s_delay_alu instid0(VALU_DEP_2) | instskip(NEXT) | instid1(VALU_DEP_1)
	v_cndmask_b32_e64 v48, v48, 0xffffff82, vcc_lo
	v_add3_u32 v101, v47, v48, v99
	v_and_b32_e32 v48, 0xfffff, v100
                                        ; implicit-def: $vgpr100
	s_delay_alu instid0(VALU_DEP_1) | instskip(NEXT) | instid1(VALU_DEP_1)
	v_dual_add_nc_u32 v103, 6, v101 :: v_dual_add_nc_u32 v48, v48, v98
                                        ; implicit-def: $vgpr98_vgpr99
	v_cmpx_ne_u32_e32 0, v103
	s_xor_b32 s10, exec_lo, s10
; %bb.807:                              ;   in Loop: Header=BB2_629 Depth=2
	s_delay_alu instid0(VALU_DEP_2) | instskip(SKIP_1) | instid1(VALU_DEP_1)
	v_cmp_lt_u64_e32 vcc_lo, 0xffffff, v[48:49]
	v_add_nc_u32_e32 v98, 7, v101
	v_cndmask_b32_e32 v100, v103, v98, vcc_lo
	v_cndmask_b32_e64 v98, 0, 1, vcc_lo
	s_delay_alu instid0(VALU_DEP_1)
	v_lshrrev_b64 v[98:99], v98, v[48:49]
; %bb.808:                              ;   in Loop: Header=BB2_629 Depth=2
	s_and_not1_saveexec_b32 s10, s10
; %bb.809:                              ;   in Loop: Header=BB2_629 Depth=2
	v_mov_b64_e32 v[98:99], v[48:49]
	v_bfe_u32 v100, v48, 23, 1
; %bb.810:                              ;   in Loop: Header=BB2_629 Depth=2
	s_or_b32 exec_lo, exec_lo, s10
	s_delay_alu instid0(VALU_DEP_2) | instskip(NEXT) | instid1(VALU_DEP_2)
	v_lshrrev_b64 v[98:99], 20, v[98:99]
	v_cmp_gt_i32_e32 vcc_lo, 16, v100
	v_min_i32_e32 v48, 15, v100
	v_cmp_eq_u32_e64 s10, 0, v100
	s_delay_alu instid0(VALU_DEP_2) | instskip(SKIP_1) | instid1(VALU_DEP_2)
	v_dual_cndmask_b32 v99, 0, v99 :: v_dual_lshlrev_b32 v48, 3, v48
	v_cndmask_b32_e32 v98, 7, v98, vcc_lo
	v_and_b32_e32 v48, 0xf8, v48
	s_delay_alu instid0(VALU_DEP_2) | instskip(NEXT) | instid1(VALU_DEP_2)
	v_cmp_eq_u64_e32 vcc_lo, 0, v[98:99]
	v_and_or_b32 v48, v98, 7, v48
	s_and_b32 s10, s10, vcc_lo
	s_delay_alu instid0(VALU_DEP_1) | instid1(SALU_CYCLE_1)
	v_cndmask_b32_e64 v48, v48, 0, s10
	s_delay_alu instid0(VALU_DEP_1)
	v_or_b32_e32 v103, v48, v30
.LBB2_811:                              ;   in Loop: Header=BB2_629 Depth=2
	s_or_b32 exec_lo, exec_lo, s40
                                        ; implicit-def: $vgpr30
.LBB2_812:                              ;   in Loop: Header=BB2_629 Depth=2
	s_and_not1_saveexec_b32 s10, s29
; %bb.813:                              ;   in Loop: Header=BB2_629 Depth=2
	v_or_b32_e32 v103, 0x7e, v30
; %bb.814:                              ;   in Loop: Header=BB2_629 Depth=2
	s_or_b32 exec_lo, exec_lo, s10
                                        ; implicit-def: $vgpr30
.LBB2_815:                              ;   in Loop: Header=BB2_629 Depth=2
	s_and_not1_saveexec_b32 s10, s11
; %bb.816:                              ;   in Loop: Header=BB2_629 Depth=2
	v_or_b32_e32 v103, 0x7f, v30
; %bb.817:                              ;   in Loop: Header=BB2_629 Depth=2
	s_or_b32 exec_lo, exec_lo, s10
	v_dual_lshrrev_b32 v30, 16, v15 :: v_dual_mov_b32 v48, 0
	s_mov_b32 s10, exec_lo
	s_delay_alu instid0(VALU_DEP_1) | instskip(NEXT) | instid1(VALU_DEP_1)
	v_and_b32_e32 v98, 0xff, v30
	v_cmpx_ne_u16_e32 0, v98
	s_cbranch_execz .LBB2_825
; %bb.818:                              ;   in Loop: Header=BB2_629 Depth=2
	v_bfrev_b32_e32 v48, 1
	s_mov_b32 s11, exec_lo
	v_cmpx_ne_u16_e32 0x80, v98
	s_cbranch_execz .LBB2_824
; %bb.819:                              ;   in Loop: Header=BB2_629 Depth=2
	v_bfe_u32 v99, v15, 16, 7
	v_mov_b32_e32 v48, 0x7f800001
	s_mov_b32 s29, exec_lo
	s_delay_alu instid0(VALU_DEP_2)
	v_cmpx_ne_u32_e32 0x7f, v99
	s_cbranch_execz .LBB2_823
; %bb.820:                              ;   in Loop: Header=BB2_629 Depth=2
	v_dual_lshrrev_b32 v98, 3, v99 :: v_dual_bitop2_b32 v48, 7, v30 bitop3:0x40
	s_mov_b32 s40, exec_lo
	v_cmpx_gt_u32_e32 8, v99
; %bb.821:                              ;   in Loop: Header=BB2_629 Depth=2
	s_delay_alu instid0(VALU_DEP_2) | instskip(NEXT) | instid1(VALU_DEP_1)
	v_clz_i32_u32_e32 v98, v48
	v_min_u32_e32 v98, 32, v98
	s_delay_alu instid0(VALU_DEP_1) | instskip(NEXT) | instid1(VALU_DEP_1)
	v_subrev_nc_u32_e32 v99, 28, v98
	v_lshlrev_b64_e32 v[100:101], v99, v[48:49]
	s_delay_alu instid0(VALU_DEP_1)
	v_dual_sub_nc_u32 v98, 29, v98 :: v_dual_bitop2_b32 v48, 7, v100 bitop3:0x40
; %bb.822:                              ;   in Loop: Header=BB2_629 Depth=2
	s_or_b32 exec_lo, exec_lo, s40
	s_delay_alu instid0(VALU_DEP_1) | instskip(NEXT) | instid1(VALU_DEP_2)
	v_dual_lshlrev_b32 v30, 24, v30 :: v_dual_lshlrev_b32 v48, 20, v48
	v_lshl_add_u32 v98, v98, 23, 0x3c000000
	s_delay_alu instid0(VALU_DEP_2) | instskip(NEXT) | instid1(VALU_DEP_1)
	v_and_b32_e32 v30, 0x80000000, v30
	v_or3_b32 v48, v48, v30, v98
.LBB2_823:                              ;   in Loop: Header=BB2_629 Depth=2
	s_or_b32 exec_lo, exec_lo, s29
.LBB2_824:                              ;   in Loop: Header=BB2_629 Depth=2
	s_delay_alu instid0(SALU_CYCLE_1)
	s_or_b32 exec_lo, exec_lo, s11
.LBB2_825:                              ;   in Loop: Header=BB2_629 Depth=2
	s_delay_alu instid0(SALU_CYCLE_1) | instskip(SKIP_3) | instid1(VALU_DEP_1)
	s_or_b32 exec_lo, exec_lo, s10
	v_lshrrev_b32_e32 v30, 16, v11
	s_mov_b32 s11, 0
	s_mov_b32 s10, exec_lo
	v_and_b32_e32 v99, 0xff, v30
	s_delay_alu instid0(VALU_DEP_1)
	v_cmpx_lt_i16_e32 0x7f, v99
	s_xor_b32 s10, exec_lo, s10
	s_cbranch_execz .LBB2_830
; %bb.826:                              ;   in Loop: Header=BB2_629 Depth=2
	s_mov_b32 s11, -1
	s_mov_b32 s29, exec_lo
	v_cmpx_eq_u16_e32 0x80, v99
; %bb.827:                              ;   in Loop: Header=BB2_629 Depth=2
	s_xor_b32 s11, exec_lo, -1
; %bb.828:                              ;   in Loop: Header=BB2_629 Depth=2
	s_or_b32 exec_lo, exec_lo, s29
	s_delay_alu instid0(SALU_CYCLE_1)
	s_and_b32 s11, s11, exec_lo
                                        ; implicit-def: $vgpr99
	s_or_saveexec_b32 s10, s10
	v_bfrev_b32_e32 v98, 1
	s_xor_b32 exec_lo, exec_lo, s10
	s_cbranch_execnz .LBB2_831
.LBB2_829:                              ;   in Loop: Header=BB2_629 Depth=2
	s_or_b32 exec_lo, exec_lo, s10
	s_and_saveexec_b32 s10, s11
	s_cbranch_execnz .LBB2_832
	s_branch .LBB2_835
.LBB2_830:                              ;   in Loop: Header=BB2_629 Depth=2
	s_or_saveexec_b32 s10, s10
	v_bfrev_b32_e32 v98, 1
	s_xor_b32 exec_lo, exec_lo, s10
	s_cbranch_execz .LBB2_829
.LBB2_831:                              ;   in Loop: Header=BB2_629 Depth=2
	v_cmp_ne_u16_e32 vcc_lo, 0, v99
	v_mov_b32_e32 v98, 0
	s_and_not1_b32 s11, s11, exec_lo
	s_and_b32 s29, vcc_lo, exec_lo
	s_delay_alu instid0(SALU_CYCLE_1)
	s_or_b32 s11, s11, s29
	s_or_b32 exec_lo, exec_lo, s10
	s_and_saveexec_b32 s10, s11
	s_cbranch_execz .LBB2_835
.LBB2_832:                              ;   in Loop: Header=BB2_629 Depth=2
	v_and_b32_e32 v99, 0x7f, v30
	v_mov_b32_e32 v98, 0x7f800001
	s_mov_b32 s11, exec_lo
	s_delay_alu instid0(VALU_DEP_2)
	v_cmpx_ne_u32_e32 0x7f, v99
	s_cbranch_execz .LBB2_834
; %bb.833:                              ;   in Loop: Header=BB2_629 Depth=2
	v_and_b32_e32 v98, 7, v30
	v_cmp_gt_u32_e32 vcc_lo, 8, v99
	s_delay_alu instid0(VALU_DEP_2) | instskip(NEXT) | instid1(VALU_DEP_1)
	v_clz_i32_u32_e32 v100, v98
	v_min_u32_e32 v47, 32, v100
	s_delay_alu instid0(VALU_DEP_1) | instskip(NEXT) | instid1(VALU_DEP_1)
	v_subrev_nc_u32_e32 v100, 28, v47
	v_lshlrev_b64_e32 v[100:101], v100, v[30:31]
	v_lshrrev_b32_e32 v101, 3, v99
	v_dual_sub_nc_u32 v47, 29, v47 :: v_dual_lshlrev_b32 v30, 24, v30
	s_delay_alu instid0(VALU_DEP_1) | instskip(NEXT) | instid1(VALU_DEP_2)
	v_dual_cndmask_b32 v100, v101, v47, vcc_lo :: v_dual_bitop2_b32 v99, 7, v100 bitop3:0x40
	v_and_b32_e32 v30, 0x80000000, v30
	s_delay_alu instid0(VALU_DEP_2) | instskip(NEXT) | instid1(VALU_DEP_3)
	v_cndmask_b32_e32 v98, v98, v99, vcc_lo
	v_lshl_add_u32 v99, v100, 23, 0x3c000000
	s_delay_alu instid0(VALU_DEP_2) | instskip(NEXT) | instid1(VALU_DEP_1)
	v_lshlrev_b32_e32 v98, 20, v98
	v_or3_b32 v98, v98, v30, v99
.LBB2_834:                              ;   in Loop: Header=BB2_629 Depth=2
	s_or_b32 exec_lo, exec_lo, s11
.LBB2_835:                              ;   in Loop: Header=BB2_629 Depth=2
	s_delay_alu instid0(SALU_CYCLE_1) | instskip(NEXT) | instid1(VALU_DEP_1)
	s_or_b32 exec_lo, exec_lo, s10
	v_mul_f32_e32 v98, v48, v98
                                        ; implicit-def: $vgpr30
	s_mov_b32 s10, exec_lo
	s_delay_alu instid0(VALU_DEP_1) | instskip(SKIP_1) | instid1(VALU_DEP_2)
	v_and_b32_e32 v48, 0x7f800000, v98
	v_lshrrev_b32_e32 v99, 24, v98
	v_cmpx_ne_u64_e32 0x7f800000, v[48:49]
	s_xor_b32 s11, exec_lo, s10
	s_cbranch_execz .LBB2_849
; %bb.836:                              ;   in Loop: Header=BB2_629 Depth=2
	v_and_b32_e32 v48, 0x7fffffff, v98
	v_and_b32_e32 v47, 0x80, v99
                                        ; implicit-def: $vgpr30
	s_mov_b32 s10, exec_lo
	s_delay_alu instid0(VALU_DEP_2)
	v_cmpx_gt_u64_e32 0x43e00001, v[48:49]
	s_xor_b32 s29, exec_lo, s10
	s_cbranch_execz .LBB2_846
; %bb.837:                              ;   in Loop: Header=BB2_629 Depth=2
	v_mov_b32_e32 v30, 0
	s_mov_b32 s40, exec_lo
	v_cmpx_ne_u32_e32 0, v98
	s_cbranch_execz .LBB2_845
; %bb.838:                              ;   in Loop: Header=BB2_629 Depth=2
	v_bfe_u32 v30, v98, 23, 8
	s_delay_alu instid0(VALU_DEP_1) | instskip(SKIP_1) | instid1(VALU_DEP_2)
	v_sub_nc_u32_e32 v48, 0x79, v30
	v_cmp_gt_u32_e32 vcc_lo, 0x7a, v30
	v_cndmask_b32_e32 v48, 0, v48, vcc_lo
	v_cmp_eq_u32_e32 vcc_lo, 0, v30
	s_delay_alu instid0(VALU_DEP_2) | instskip(SKIP_1) | instid1(VALU_DEP_2)
	v_cndmask_b32_e64 v56, v48, 0x78, vcc_lo
	v_and_b32_e32 v48, 0x7fffff, v98
	v_dual_add_nc_u32 v98, 20, v56 :: v_dual_add_nc_u32 v101, 19, v56
	s_delay_alu instid0(VALU_DEP_2) | instskip(NEXT) | instid1(VALU_DEP_2)
	v_or_b32_e32 v100, 0x800000, v48
	v_lshlrev_b64_e64 v[98:99], v98, -1
	s_delay_alu instid0(VALU_DEP_2) | instskip(NEXT) | instid1(VALU_DEP_4)
	v_cndmask_b32_e32 v48, v100, v48, vcc_lo
	v_lshlrev_b64_e64 v[100:101], v101, 1
	s_delay_alu instid0(VALU_DEP_3) | instskip(NEXT) | instid1(VALU_DEP_3)
	v_bfi_b32 v59, v99, 0, 0
	v_bfi_b32 v58, v98, 0, v48
	v_lshrrev_b64 v[98:99], v56, v[48:49]
	s_delay_alu instid0(VALU_DEP_2) | instskip(NEXT) | instid1(VALU_DEP_2)
	v_cmp_eq_u64_e64 s10, v[58:59], v[100:101]
	v_mov_b64_e32 v[100:101], v[98:99]
	s_and_saveexec_b32 s41, s10
; %bb.839:                              ;   in Loop: Header=BB2_629 Depth=2
	v_bfe_u32 v48, v98, 20, 1
	s_delay_alu instid0(VALU_DEP_1) | instskip(NEXT) | instid1(VALU_DEP_1)
	v_add_nc_u64_e32 v[100:101], v[98:99], v[48:49]
	v_add_nc_u64_e32 v[100:101], -1, v[100:101]
; %bb.840:                              ;   in Loop: Header=BB2_629 Depth=2
	s_or_b32 exec_lo, exec_lo, s41
	v_add_nc_u32_e32 v30, 0xffffff81, v30
	v_lshrrev_b32_e32 v48, 23, v98
	s_mov_b32 s10, exec_lo
	s_delay_alu instid0(VALU_DEP_2) | instskip(NEXT) | instid1(VALU_DEP_1)
	v_cndmask_b32_e64 v30, v30, 0xffffff82, vcc_lo
	v_add3_u32 v101, v56, v30, v48
	v_and_b32_e32 v30, 0xfffff, v100
	s_delay_alu instid0(VALU_DEP_1) | instskip(NEXT) | instid1(VALU_DEP_1)
	v_dual_add_nc_u32 v100, 6, v101 :: v_dual_add_nc_u32 v48, v30, v98
                                        ; implicit-def: $vgpr98_vgpr99
                                        ; implicit-def: $vgpr30
	v_cmpx_ne_u32_e32 0, v100
	s_xor_b32 s10, exec_lo, s10
; %bb.841:                              ;   in Loop: Header=BB2_629 Depth=2
	s_delay_alu instid0(VALU_DEP_2) | instskip(SKIP_2) | instid1(VALU_DEP_2)
	v_cmp_lt_u64_e32 vcc_lo, 0xffffff, v[48:49]
	v_add_nc_u32_e32 v30, 7, v101
	v_cndmask_b32_e64 v98, 0, 1, vcc_lo
	v_cndmask_b32_e32 v30, v100, v30, vcc_lo
	s_delay_alu instid0(VALU_DEP_2)
	v_lshrrev_b64 v[98:99], v98, v[48:49]
; %bb.842:                              ;   in Loop: Header=BB2_629 Depth=2
	s_and_not1_saveexec_b32 s10, s10
; %bb.843:                              ;   in Loop: Header=BB2_629 Depth=2
	v_mov_b64_e32 v[98:99], v[48:49]
	v_bfe_u32 v30, v48, 23, 1
; %bb.844:                              ;   in Loop: Header=BB2_629 Depth=2
	s_or_b32 exec_lo, exec_lo, s10
	s_delay_alu instid0(VALU_DEP_2) | instskip(NEXT) | instid1(VALU_DEP_2)
	v_lshrrev_b64 v[98:99], 20, v[98:99]
	v_cmp_gt_i32_e32 vcc_lo, 16, v30
	v_min_i32_e32 v48, 15, v30
	v_cmp_eq_u32_e64 s10, 0, v30
	s_delay_alu instid0(VALU_DEP_2) | instskip(SKIP_1) | instid1(VALU_DEP_2)
	v_dual_cndmask_b32 v99, 0, v99 :: v_dual_lshlrev_b32 v48, 3, v48
	v_cndmask_b32_e32 v98, 7, v98, vcc_lo
	v_and_b32_e32 v48, 0xf8, v48
	s_delay_alu instid0(VALU_DEP_2) | instskip(NEXT) | instid1(VALU_DEP_2)
	v_cmp_eq_u64_e32 vcc_lo, 0, v[98:99]
	v_and_or_b32 v30, v98, 7, v48
	s_and_b32 s10, s10, vcc_lo
	s_delay_alu instid0(VALU_DEP_1) | instid1(SALU_CYCLE_1)
	v_cndmask_b32_e64 v30, v30, 0, s10
	s_delay_alu instid0(VALU_DEP_1)
	v_or_b32_e32 v30, v30, v47
.LBB2_845:                              ;   in Loop: Header=BB2_629 Depth=2
	s_or_b32 exec_lo, exec_lo, s40
                                        ; implicit-def: $vgpr47
.LBB2_846:                              ;   in Loop: Header=BB2_629 Depth=2
	s_and_not1_saveexec_b32 s10, s29
; %bb.847:                              ;   in Loop: Header=BB2_629 Depth=2
	v_or_b32_e32 v30, 0x7e, v47
; %bb.848:                              ;   in Loop: Header=BB2_629 Depth=2
	s_or_b32 exec_lo, exec_lo, s10
                                        ; implicit-def: $vgpr99
.LBB2_849:                              ;   in Loop: Header=BB2_629 Depth=2
	s_and_not1_saveexec_b32 s10, s11
; %bb.850:                              ;   in Loop: Header=BB2_629 Depth=2
	v_or_b32_e32 v30, 0x7f, v99
; %bb.851:                              ;   in Loop: Header=BB2_629 Depth=2
	s_or_b32 exec_lo, exec_lo, s10
	v_mov_b32_e32 v48, 0
	s_mov_b32 s10, exec_lo
	v_cmpx_lt_u64_e64 s[14:15], v[14:15]
	s_cbranch_execz .LBB2_859
; %bb.852:                              ;   in Loop: Header=BB2_629 Depth=2
	v_lshrrev_b32_e32 v14, 24, v15
	v_bfrev_b32_e32 v48, 1
	s_mov_b32 s11, exec_lo
	s_delay_alu instid0(VALU_DEP_2)
	v_cmpx_ne_u32_e32 0x80, v14
	s_cbranch_execz .LBB2_858
; %bb.853:                              ;   in Loop: Header=BB2_629 Depth=2
	v_bfe_u32 v98, v15, 24, 7
	v_mov_b32_e32 v48, 0x7f800001
	s_mov_b32 s29, exec_lo
	s_delay_alu instid0(VALU_DEP_2)
	v_cmpx_ne_u32_e32 0x7f, v98
	s_cbranch_execz .LBB2_857
; %bb.854:                              ;   in Loop: Header=BB2_629 Depth=2
	v_and_b32_e32 v48, 7, v14
	v_lshrrev_b32_e32 v15, 3, v98
	s_mov_b32 s40, exec_lo
	v_cmpx_gt_u32_e32 8, v98
; %bb.855:                              ;   in Loop: Header=BB2_629 Depth=2
	s_delay_alu instid0(VALU_DEP_3) | instskip(NEXT) | instid1(VALU_DEP_1)
	v_clz_i32_u32_e32 v15, v48
	v_min_u32_e32 v15, 32, v15
	s_delay_alu instid0(VALU_DEP_1) | instskip(NEXT) | instid1(VALU_DEP_1)
	v_subrev_nc_u32_e32 v98, 28, v15
	v_lshlrev_b64_e32 v[98:99], v98, v[48:49]
	s_delay_alu instid0(VALU_DEP_1)
	v_dual_sub_nc_u32 v15, 29, v15 :: v_dual_bitop2_b32 v48, 7, v98 bitop3:0x40
; %bb.856:                              ;   in Loop: Header=BB2_629 Depth=2
	s_or_b32 exec_lo, exec_lo, s40
	s_delay_alu instid0(VALU_DEP_1) | instskip(NEXT) | instid1(VALU_DEP_2)
	v_dual_lshlrev_b32 v14, 24, v14 :: v_dual_lshlrev_b32 v48, 20, v48
	v_lshl_add_u32 v15, v15, 23, 0x3c000000
	s_delay_alu instid0(VALU_DEP_2) | instskip(NEXT) | instid1(VALU_DEP_1)
	v_and_b32_e32 v14, 0x80000000, v14
	v_or3_b32 v48, v48, v14, v15
.LBB2_857:                              ;   in Loop: Header=BB2_629 Depth=2
	s_or_b32 exec_lo, exec_lo, s29
.LBB2_858:                              ;   in Loop: Header=BB2_629 Depth=2
	s_delay_alu instid0(SALU_CYCLE_1)
	s_or_b32 exec_lo, exec_lo, s11
.LBB2_859:                              ;   in Loop: Header=BB2_629 Depth=2
	s_delay_alu instid0(SALU_CYCLE_1) | instskip(SKIP_3) | instid1(VALU_DEP_3)
	s_or_b32 exec_lo, exec_lo, s10
	v_lshrrev_b32_e32 v14, 24, v11
	v_bfe_u32 v15, v11, 24, 7
	v_cmp_gt_u64_e64 s11, s[16:17], v[10:11]
	v_cmp_eq_u32_e64 s10, 0x80, v14
	s_delay_alu instid0(VALU_DEP_3) | instskip(NEXT) | instid1(VALU_DEP_2)
	v_cmp_eq_u32_e32 vcc_lo, 0x7f, v15
	v_cndmask_b32_e64 v98, 0x7f800001, v118, s10
	s_or_b32 s10, s10, vcc_lo
	s_delay_alu instid0(VALU_DEP_1) | instskip(SKIP_1) | instid1(SALU_CYCLE_1)
	v_cndmask_b32_e64 v10, v98, 0, s11
	s_nor_b32 s11, s11, s10
	s_and_saveexec_b32 s10, s11
	s_cbranch_execz .LBB2_861
; %bb.860:                              ;   in Loop: Header=BB2_629 Depth=2
	v_and_b32_e32 v98, 7, v14
	v_cmp_gt_u32_e32 vcc_lo, 8, v15
	s_delay_alu instid0(VALU_DEP_2) | instskip(NEXT) | instid1(VALU_DEP_1)
	v_clz_i32_u32_e32 v10, v98
	v_min_u32_e32 v99, 32, v10
	s_delay_alu instid0(VALU_DEP_1) | instskip(NEXT) | instid1(VALU_DEP_1)
	v_subrev_nc_u32_e32 v10, 28, v99
	v_lshlrev_b64_e32 v[10:11], v10, v[14:15]
	v_lshrrev_b32_e32 v11, 3, v15
	s_delay_alu instid0(VALU_DEP_2) | instskip(NEXT) | instid1(VALU_DEP_1)
	v_dual_sub_nc_u32 v99, 29, v99 :: v_dual_bitop2_b32 v10, 7, v10 bitop3:0x40
	v_dual_cndmask_b32 v11, v11, v99 :: v_dual_lshlrev_b32 v14, 24, v14
	s_delay_alu instid0(VALU_DEP_2) | instskip(NEXT) | instid1(VALU_DEP_2)
	v_cndmask_b32_e32 v10, v98, v10, vcc_lo
	v_and_b32_e32 v14, 0x80000000, v14
	s_delay_alu instid0(VALU_DEP_3) | instskip(NEXT) | instid1(VALU_DEP_3)
	v_lshl_add_u32 v11, v11, 23, 0x3c000000
	v_lshlrev_b32_e32 v10, 20, v10
	s_delay_alu instid0(VALU_DEP_1)
	v_or3_b32 v10, v10, v14, v11
.LBB2_861:                              ;   in Loop: Header=BB2_629 Depth=2
	s_or_b32 exec_lo, exec_lo, s10
	s_delay_alu instid0(VALU_DEP_1) | instskip(SKIP_1) | instid1(VALU_DEP_1)
	v_mul_f32_e32 v10, v48, v10
                                        ; implicit-def: $vgpr100
	s_mov_b32 s10, exec_lo
	v_and_b32_e32 v48, 0x7f800000, v10
	v_lshrrev_b32_e32 v11, 24, v10
	s_delay_alu instid0(VALU_DEP_2)
	v_cmpx_ne_u64_e32 0x7f800000, v[48:49]
	s_xor_b32 s11, exec_lo, s10
	s_cbranch_execz .LBB2_875
; %bb.862:                              ;   in Loop: Header=BB2_629 Depth=2
	v_and_b32_e32 v48, 0x7fffffff, v10
	v_and_b32_e32 v98, 0x80, v11
                                        ; implicit-def: $vgpr100
	s_mov_b32 s10, exec_lo
	s_delay_alu instid0(VALU_DEP_2)
	v_cmpx_gt_u64_e32 0x43e00001, v[48:49]
	s_xor_b32 s29, exec_lo, s10
	s_cbranch_execz .LBB2_872
; %bb.863:                              ;   in Loop: Header=BB2_629 Depth=2
	v_mov_b32_e32 v100, 0
	s_mov_b32 s40, exec_lo
	v_cmpx_ne_u32_e32 0, v10
	s_cbranch_execz .LBB2_871
; %bb.864:                              ;   in Loop: Header=BB2_629 Depth=2
	v_bfe_u32 v99, v10, 23, 8
	v_and_b32_e32 v14, 0x7fffff, v10
	s_delay_alu instid0(VALU_DEP_2) | instskip(NEXT) | instid1(VALU_DEP_2)
	v_cmp_gt_u32_e32 vcc_lo, 0x7a, v99
	v_or_b32_e32 v15, 0x800000, v14
	v_sub_nc_u32_e32 v11, 0x79, v99
	s_delay_alu instid0(VALU_DEP_1) | instskip(SKIP_1) | instid1(VALU_DEP_2)
	v_cndmask_b32_e32 v11, 0, v11, vcc_lo
	v_cmp_eq_u32_e32 vcc_lo, 0, v99
	v_cndmask_b32_e64 v100, v11, 0x78, vcc_lo
	s_delay_alu instid0(VALU_DEP_1) | instskip(SKIP_1) | instid1(VALU_DEP_2)
	v_dual_cndmask_b32 v48, v15, v14, vcc_lo :: v_dual_add_nc_u32 v10, 20, v100
	v_add_nc_u32_e32 v101, 19, v100
	v_lshlrev_b64_e64 v[10:11], v10, -1
	s_delay_alu instid0(VALU_DEP_2) | instskip(NEXT) | instid1(VALU_DEP_2)
	v_lshlrev_b64_e64 v[14:15], v101, 1
	v_bfi_b32 v57, v11, 0, 0
	s_delay_alu instid0(VALU_DEP_3) | instskip(SKIP_1) | instid1(VALU_DEP_2)
	v_bfi_b32 v56, v10, 0, v48
	v_lshrrev_b64 v[10:11], v100, v[48:49]
	v_cmp_eq_u64_e64 s10, v[56:57], v[14:15]
	s_delay_alu instid0(VALU_DEP_2)
	v_mov_b64_e32 v[14:15], v[10:11]
	s_and_saveexec_b32 s41, s10
; %bb.865:                              ;   in Loop: Header=BB2_629 Depth=2
	v_bfe_u32 v48, v10, 20, 1
	s_delay_alu instid0(VALU_DEP_1) | instskip(NEXT) | instid1(VALU_DEP_1)
	v_add_nc_u64_e32 v[14:15], v[10:11], v[48:49]
	v_add_nc_u64_e32 v[14:15], -1, v[14:15]
; %bb.866:                              ;   in Loop: Header=BB2_629 Depth=2
	s_or_b32 exec_lo, exec_lo, s41
	v_add_nc_u32_e32 v11, 0xffffff81, v99
	v_lshrrev_b32_e32 v15, 23, v10
	s_mov_b32 s10, exec_lo
	s_delay_alu instid0(VALU_DEP_2) | instskip(NEXT) | instid1(VALU_DEP_1)
	v_cndmask_b32_e64 v11, v11, 0xffffff82, vcc_lo
	v_add3_u32 v15, v100, v11, v15
	v_and_b32_e32 v11, 0xfffff, v14
                                        ; implicit-def: $vgpr14
	s_delay_alu instid0(VALU_DEP_1) | instskip(NEXT) | instid1(VALU_DEP_1)
	v_dual_add_nc_u32 v99, 6, v15 :: v_dual_add_nc_u32 v48, v11, v10
                                        ; implicit-def: $vgpr10_vgpr11
	v_cmpx_ne_u32_e32 0, v99
	s_xor_b32 s10, exec_lo, s10
; %bb.867:                              ;   in Loop: Header=BB2_629 Depth=2
	s_delay_alu instid0(VALU_DEP_2) | instskip(SKIP_1) | instid1(VALU_DEP_1)
	v_cmp_lt_u64_e32 vcc_lo, 0xffffff, v[48:49]
	v_add_nc_u32_e32 v10, 7, v15
	v_cndmask_b32_e32 v14, v99, v10, vcc_lo
	v_cndmask_b32_e64 v10, 0, 1, vcc_lo
	s_delay_alu instid0(VALU_DEP_1)
	v_lshrrev_b64 v[10:11], v10, v[48:49]
; %bb.868:                              ;   in Loop: Header=BB2_629 Depth=2
	s_and_not1_saveexec_b32 s10, s10
; %bb.869:                              ;   in Loop: Header=BB2_629 Depth=2
	v_mov_b64_e32 v[10:11], v[48:49]
	v_bfe_u32 v14, v48, 23, 1
; %bb.870:                              ;   in Loop: Header=BB2_629 Depth=2
	s_or_b32 exec_lo, exec_lo, s10
	s_delay_alu instid0(VALU_DEP_2) | instskip(NEXT) | instid1(VALU_DEP_2)
	v_lshrrev_b64 v[10:11], 20, v[10:11]
	v_cmp_gt_i32_e32 vcc_lo, 16, v14
	v_min_i32_e32 v15, 15, v14
	v_cmp_eq_u32_e64 s10, 0, v14
	s_delay_alu instid0(VALU_DEP_4) | instskip(NEXT) | instid1(VALU_DEP_3)
	v_cndmask_b32_e32 v11, 0, v11, vcc_lo
	v_dual_cndmask_b32 v10, 7, v10 :: v_dual_lshlrev_b32 v15, 3, v15
	s_delay_alu instid0(VALU_DEP_1) | instskip(NEXT) | instid1(VALU_DEP_2)
	v_and_b32_e32 v15, 0xf8, v15
	v_cmp_eq_u64_e32 vcc_lo, 0, v[10:11]
	s_delay_alu instid0(VALU_DEP_2)
	v_and_or_b32 v10, v10, 7, v15
	s_and_b32 s10, s10, vcc_lo
	s_delay_alu instid0(VALU_DEP_1) | instid1(SALU_CYCLE_1)
	v_cndmask_b32_e64 v10, v10, 0, s10
	s_delay_alu instid0(VALU_DEP_1)
	v_or_b32_e32 v100, v10, v98
.LBB2_871:                              ;   in Loop: Header=BB2_629 Depth=2
	s_or_b32 exec_lo, exec_lo, s40
                                        ; implicit-def: $vgpr98
.LBB2_872:                              ;   in Loop: Header=BB2_629 Depth=2
	s_and_not1_saveexec_b32 s10, s29
; %bb.873:                              ;   in Loop: Header=BB2_629 Depth=2
	v_or_b32_e32 v100, 0x7e, v98
; %bb.874:                              ;   in Loop: Header=BB2_629 Depth=2
	s_or_b32 exec_lo, exec_lo, s10
                                        ; implicit-def: $vgpr11
.LBB2_875:                              ;   in Loop: Header=BB2_629 Depth=2
	s_and_not1_saveexec_b32 s10, s11
; %bb.876:                              ;   in Loop: Header=BB2_629 Depth=2
	v_or_b32_e32 v100, 0x7f, v11
; %bb.877:                              ;   in Loop: Header=BB2_629 Depth=2
	s_or_b32 exec_lo, exec_lo, s10
	v_and_b32_e32 v11, 0xff, v16
	v_mov_b32_e32 v10, 0
	s_mov_b32 s10, exec_lo
	s_delay_alu instid0(VALU_DEP_2)
	v_cmpx_ne_u16_e32 0, v11
	s_cbranch_execz .LBB2_883
; %bb.878:                              ;   in Loop: Header=BB2_629 Depth=2
	v_bfrev_b32_e32 v10, 1
	s_mov_b32 s11, exec_lo
	v_cmpx_ne_u16_e32 0x80, v11
	s_cbranch_execz .LBB2_882
; %bb.879:                              ;   in Loop: Header=BB2_629 Depth=2
	v_and_b32_e32 v11, 0x7f, v16
	v_mov_b32_e32 v10, 0x7f800001
	s_mov_b32 s29, exec_lo
	s_delay_alu instid0(VALU_DEP_2)
	v_cmpx_ne_u32_e32 0x7f, v11
	s_cbranch_execz .LBB2_881
; %bb.880:                              ;   in Loop: Header=BB2_629 Depth=2
	v_dual_lshrrev_b32 v14, 3, v11 :: v_dual_bitop2_b32 v10, 7, v16 bitop3:0x40
	v_cmp_gt_u32_e32 vcc_lo, 8, v11
	s_delay_alu instid0(VALU_DEP_2) | instskip(NEXT) | instid1(VALU_DEP_1)
	v_clz_i32_u32_e32 v10, v10
	v_min_u32_e32 v10, 32, v10
	s_delay_alu instid0(VALU_DEP_1) | instskip(SKIP_1) | instid1(VALU_DEP_1)
	v_subrev_nc_u32_e32 v15, 28, v10
	v_sub_nc_u32_e32 v10, 29, v10
	v_dual_cndmask_b32 v14, v14, v10, vcc_lo :: v_dual_cndmask_b32 v10, 0, v15, vcc_lo
	s_delay_alu instid0(VALU_DEP_1) | instskip(NEXT) | instid1(VALU_DEP_2)
	v_lshl_add_u32 v14, v14, 23, 0x3c000000
	v_lshlrev_b64_e32 v[10:11], v10, v[16:17]
	v_lshlrev_b32_e32 v11, 24, v16
	s_delay_alu instid0(VALU_DEP_1) | instskip(NEXT) | instid1(VALU_DEP_3)
	v_and_b32_e32 v11, 0x80000000, v11
	v_lshlrev_b32_e32 v10, 20, v10
	s_delay_alu instid0(VALU_DEP_1) | instskip(NEXT) | instid1(VALU_DEP_1)
	v_and_b32_e32 v10, 0x700000, v10
	v_or3_b32 v10, v10, v11, v14
.LBB2_881:                              ;   in Loop: Header=BB2_629 Depth=2
	s_or_b32 exec_lo, exec_lo, s29
.LBB2_882:                              ;   in Loop: Header=BB2_629 Depth=2
	s_delay_alu instid0(SALU_CYCLE_1)
	s_or_b32 exec_lo, exec_lo, s11
.LBB2_883:                              ;   in Loop: Header=BB2_629 Depth=2
	s_delay_alu instid0(SALU_CYCLE_1) | instskip(SKIP_3) | instid1(VALU_DEP_1)
	s_or_b32 exec_lo, exec_lo, s10
	v_and_b32_e32 v14, 0xff, v12
	s_mov_b32 s10, 0
	s_mov_b32 s11, exec_lo
	v_cmpx_lt_i16_e32 0x7f, v14
	s_xor_b32 s11, exec_lo, s11
	s_cbranch_execz .LBB2_918
; %bb.884:                              ;   in Loop: Header=BB2_629 Depth=2
	s_mov_b32 s10, -1
	s_mov_b32 s29, exec_lo
	v_cmpx_eq_u16_e32 0x80, v14
; %bb.885:                              ;   in Loop: Header=BB2_629 Depth=2
	s_xor_b32 s10, exec_lo, -1
; %bb.886:                              ;   in Loop: Header=BB2_629 Depth=2
	s_or_b32 exec_lo, exec_lo, s29
	s_delay_alu instid0(SALU_CYCLE_1)
	s_and_b32 s10, s10, exec_lo
                                        ; implicit-def: $vgpr14
	s_or_saveexec_b32 s11, s11
	v_bfrev_b32_e32 v11, 1
	s_xor_b32 exec_lo, exec_lo, s11
	s_cbranch_execnz .LBB2_919
.LBB2_887:                              ;   in Loop: Header=BB2_629 Depth=2
	s_or_b32 exec_lo, exec_lo, s11
	s_and_saveexec_b32 s11, s10
	s_cbranch_execz .LBB2_889
.LBB2_888:                              ;   in Loop: Header=BB2_629 Depth=2
	v_and_b32_e32 v48, 0x7f, v12
	v_bfe_u32 v14, v12, 3, 4
	s_delay_alu instid0(VALU_DEP_2) | instskip(SKIP_1) | instid1(VALU_DEP_1)
	v_cmp_gt_u32_e32 vcc_lo, 8, v48
	v_and_b32_e32 v11, 7, v12
	v_clz_i32_u32_e32 v11, v11
	s_delay_alu instid0(VALU_DEP_1) | instskip(NEXT) | instid1(VALU_DEP_1)
	v_min_u32_e32 v11, 32, v11
	v_subrev_nc_u32_e32 v15, 28, v11
	v_sub_nc_u32_e32 v11, 29, v11
	s_delay_alu instid0(VALU_DEP_1) | instskip(NEXT) | instid1(VALU_DEP_3)
	v_cndmask_b32_e32 v11, v14, v11, vcc_lo
	v_cndmask_b32_e32 v14, 0, v15, vcc_lo
	v_cmp_ne_u32_e32 vcc_lo, 0x7f, v48
	s_delay_alu instid0(VALU_DEP_2) | instskip(SKIP_1) | instid1(VALU_DEP_1)
	v_lshlrev_b64_e32 v[14:15], v14, v[12:13]
	v_lshlrev_b32_e32 v15, 24, v12
	v_and_b32_e32 v15, 0x80000000, v15
	s_delay_alu instid0(VALU_DEP_3) | instskip(SKIP_1) | instid1(VALU_DEP_2)
	v_lshlrev_b32_e32 v14, 20, v14
	v_lshl_add_u32 v11, v11, 23, 0x3c000000
	v_and_b32_e32 v14, 0x700000, v14
	s_delay_alu instid0(VALU_DEP_1) | instskip(NEXT) | instid1(VALU_DEP_1)
	v_or3_b32 v11, v14, v15, v11
	v_cndmask_b32_e32 v11, 0x7f800001, v11, vcc_lo
.LBB2_889:                              ;   in Loop: Header=BB2_629 Depth=2
	s_or_b32 exec_lo, exec_lo, s11
	s_delay_alu instid0(VALU_DEP_1) | instskip(SKIP_1) | instid1(VALU_DEP_1)
	v_mul_f32_e32 v10, v10, v11
                                        ; implicit-def: $vgpr101
	s_mov_b32 s10, exec_lo
	v_and_b32_e32 v48, 0x7f800000, v10
	v_lshrrev_b32_e32 v11, 24, v10
	s_delay_alu instid0(VALU_DEP_2)
	v_cmpx_ne_u64_e32 0x7f800000, v[48:49]
	s_xor_b32 s11, exec_lo, s10
	s_cbranch_execz .LBB2_903
; %bb.890:                              ;   in Loop: Header=BB2_629 Depth=2
	v_and_b32_e32 v48, 0x7fffffff, v10
	v_and_b32_e32 v98, 0x80, v11
                                        ; implicit-def: $vgpr101
	s_mov_b32 s10, exec_lo
	s_delay_alu instid0(VALU_DEP_2)
	v_cmpx_gt_u64_e32 0x43e00001, v[48:49]
	s_xor_b32 s29, exec_lo, s10
	s_cbranch_execz .LBB2_900
; %bb.891:                              ;   in Loop: Header=BB2_629 Depth=2
	v_mov_b32_e32 v101, 0
	s_mov_b32 s40, exec_lo
	v_cmpx_ne_u32_e32 0, v10
	s_cbranch_execz .LBB2_899
; %bb.892:                              ;   in Loop: Header=BB2_629 Depth=2
	v_bfe_u32 v99, v10, 23, 8
	v_and_b32_e32 v14, 0x7fffff, v10
	s_delay_alu instid0(VALU_DEP_2) | instskip(NEXT) | instid1(VALU_DEP_2)
	v_cmp_gt_u32_e32 vcc_lo, 0x7a, v99
	v_or_b32_e32 v15, 0x800000, v14
	v_sub_nc_u32_e32 v11, 0x79, v99
	s_delay_alu instid0(VALU_DEP_1) | instskip(SKIP_1) | instid1(VALU_DEP_2)
	v_cndmask_b32_e32 v11, 0, v11, vcc_lo
	v_cmp_eq_u32_e32 vcc_lo, 0, v99
	v_cndmask_b32_e64 v101, v11, 0x78, vcc_lo
	s_delay_alu instid0(VALU_DEP_1) | instskip(SKIP_1) | instid1(VALU_DEP_2)
	v_dual_cndmask_b32 v48, v15, v14, vcc_lo :: v_dual_add_nc_u32 v10, 20, v101
	v_add_nc_u32_e32 v47, 19, v101
	v_lshlrev_b64_e64 v[10:11], v10, -1
	s_delay_alu instid0(VALU_DEP_2) | instskip(NEXT) | instid1(VALU_DEP_2)
	v_lshlrev_b64_e64 v[14:15], v47, 1
	v_bfi_b32 v57, v11, 0, 0
	s_delay_alu instid0(VALU_DEP_3) | instskip(SKIP_1) | instid1(VALU_DEP_2)
	v_bfi_b32 v56, v10, 0, v48
	v_lshrrev_b64 v[10:11], v101, v[48:49]
	v_cmp_eq_u64_e64 s10, v[56:57], v[14:15]
	s_delay_alu instid0(VALU_DEP_2)
	v_mov_b64_e32 v[14:15], v[10:11]
	s_and_saveexec_b32 s41, s10
; %bb.893:                              ;   in Loop: Header=BB2_629 Depth=2
	v_bfe_u32 v48, v10, 20, 1
	s_delay_alu instid0(VALU_DEP_1) | instskip(NEXT) | instid1(VALU_DEP_1)
	v_add_nc_u64_e32 v[14:15], v[10:11], v[48:49]
	v_add_nc_u64_e32 v[14:15], -1, v[14:15]
; %bb.894:                              ;   in Loop: Header=BB2_629 Depth=2
	s_or_b32 exec_lo, exec_lo, s41
	v_add_nc_u32_e32 v11, 0xffffff81, v99
	v_lshrrev_b32_e32 v15, 23, v10
	s_mov_b32 s10, exec_lo
	s_delay_alu instid0(VALU_DEP_2) | instskip(NEXT) | instid1(VALU_DEP_1)
	v_cndmask_b32_e64 v11, v11, 0xffffff82, vcc_lo
	v_add3_u32 v15, v101, v11, v15
	v_and_b32_e32 v11, 0xfffff, v14
                                        ; implicit-def: $vgpr14
	s_delay_alu instid0(VALU_DEP_1) | instskip(NEXT) | instid1(VALU_DEP_1)
	v_dual_add_nc_u32 v99, 6, v15 :: v_dual_add_nc_u32 v48, v11, v10
                                        ; implicit-def: $vgpr10_vgpr11
	v_cmpx_ne_u32_e32 0, v99
	s_xor_b32 s10, exec_lo, s10
; %bb.895:                              ;   in Loop: Header=BB2_629 Depth=2
	s_delay_alu instid0(VALU_DEP_2) | instskip(SKIP_1) | instid1(VALU_DEP_1)
	v_cmp_lt_u64_e32 vcc_lo, 0xffffff, v[48:49]
	v_add_nc_u32_e32 v10, 7, v15
	v_cndmask_b32_e32 v14, v99, v10, vcc_lo
	v_cndmask_b32_e64 v10, 0, 1, vcc_lo
	s_delay_alu instid0(VALU_DEP_1)
	v_lshrrev_b64 v[10:11], v10, v[48:49]
; %bb.896:                              ;   in Loop: Header=BB2_629 Depth=2
	s_and_not1_saveexec_b32 s10, s10
; %bb.897:                              ;   in Loop: Header=BB2_629 Depth=2
	v_mov_b64_e32 v[10:11], v[48:49]
	v_bfe_u32 v14, v48, 23, 1
; %bb.898:                              ;   in Loop: Header=BB2_629 Depth=2
	s_or_b32 exec_lo, exec_lo, s10
	s_delay_alu instid0(VALU_DEP_2) | instskip(NEXT) | instid1(VALU_DEP_2)
	v_lshrrev_b64 v[10:11], 20, v[10:11]
	v_cmp_gt_i32_e32 vcc_lo, 16, v14
	v_min_i32_e32 v15, 15, v14
	v_cmp_eq_u32_e64 s10, 0, v14
	s_delay_alu instid0(VALU_DEP_4) | instskip(NEXT) | instid1(VALU_DEP_3)
	v_cndmask_b32_e32 v11, 0, v11, vcc_lo
	v_dual_cndmask_b32 v10, 7, v10 :: v_dual_lshlrev_b32 v15, 3, v15
	s_delay_alu instid0(VALU_DEP_1) | instskip(NEXT) | instid1(VALU_DEP_2)
	v_and_b32_e32 v15, 0xf8, v15
	v_cmp_eq_u64_e32 vcc_lo, 0, v[10:11]
	s_delay_alu instid0(VALU_DEP_2)
	v_and_or_b32 v10, v10, 7, v15
	s_and_b32 s10, s10, vcc_lo
	s_delay_alu instid0(VALU_DEP_1) | instid1(SALU_CYCLE_1)
	v_cndmask_b32_e64 v10, v10, 0, s10
	s_delay_alu instid0(VALU_DEP_1)
	v_or_b32_e32 v101, v10, v98
.LBB2_899:                              ;   in Loop: Header=BB2_629 Depth=2
	s_or_b32 exec_lo, exec_lo, s40
                                        ; implicit-def: $vgpr98
.LBB2_900:                              ;   in Loop: Header=BB2_629 Depth=2
	s_and_not1_saveexec_b32 s10, s29
; %bb.901:                              ;   in Loop: Header=BB2_629 Depth=2
	v_or_b32_e32 v101, 0x7e, v98
; %bb.902:                              ;   in Loop: Header=BB2_629 Depth=2
	s_or_b32 exec_lo, exec_lo, s10
                                        ; implicit-def: $vgpr11
.LBB2_903:                              ;   in Loop: Header=BB2_629 Depth=2
	s_and_not1_saveexec_b32 s10, s11
; %bb.904:                              ;   in Loop: Header=BB2_629 Depth=2
	v_or_b32_e32 v101, 0x7f, v11
; %bb.905:                              ;   in Loop: Header=BB2_629 Depth=2
	s_or_b32 exec_lo, exec_lo, s10
	v_lshrrev_b16 v10, 8, v16
	v_mov_b32_e32 v11, 0
	s_mov_b32 s10, exec_lo
	s_delay_alu instid0(VALU_DEP_2)
	v_cmpx_ne_u16_e32 0, v10
	s_cbranch_execz .LBB2_913
; %bb.906:                              ;   in Loop: Header=BB2_629 Depth=2
	v_bfrev_b32_e32 v11, 1
	s_mov_b32 s11, exec_lo
	v_cmpx_ne_u16_e32 0x80, v10
	s_cbranch_execz .LBB2_912
; %bb.907:                              ;   in Loop: Header=BB2_629 Depth=2
	v_and_b32_e32 v10, 0xffff, v10
	v_mov_b32_e32 v11, 0x7f800001
	s_mov_b32 s29, exec_lo
	s_delay_alu instid0(VALU_DEP_2) | instskip(NEXT) | instid1(VALU_DEP_1)
	v_and_b32_e32 v14, 0x7f, v10
	v_cmpx_ne_u32_e32 0x7f, v14
	s_cbranch_execz .LBB2_911
; %bb.908:                              ;   in Loop: Header=BB2_629 Depth=2
	v_and_b32_e32 v48, 7, v10
	v_lshrrev_b32_e32 v10, 3, v14
	s_mov_b32 s40, exec_lo
	v_cmpx_gt_u32_e32 8, v14
; %bb.909:                              ;   in Loop: Header=BB2_629 Depth=2
	s_delay_alu instid0(VALU_DEP_3) | instskip(NEXT) | instid1(VALU_DEP_1)
	v_clz_i32_u32_e32 v10, v48
	v_min_u32_e32 v10, 32, v10
	s_delay_alu instid0(VALU_DEP_1) | instskip(SKIP_1) | instid1(VALU_DEP_2)
	v_subrev_nc_u32_e32 v11, 28, v10
	v_sub_nc_u32_e32 v10, 29, v10
	v_lshlrev_b64_e32 v[14:15], v11, v[48:49]
	s_delay_alu instid0(VALU_DEP_1)
	v_and_b32_e32 v48, 7, v14
; %bb.910:                              ;   in Loop: Header=BB2_629 Depth=2
	s_or_b32 exec_lo, exec_lo, s40
	v_lshlrev_b32_e32 v11, 16, v16
	s_delay_alu instid0(VALU_DEP_2) | instskip(SKIP_1) | instid1(VALU_DEP_3)
	v_lshlrev_b32_e32 v14, 20, v48
	v_lshl_add_u32 v10, v10, 23, 0x3c000000
	v_and_b32_e32 v11, 0x80000000, v11
	s_delay_alu instid0(VALU_DEP_1)
	v_or3_b32 v11, v14, v11, v10
.LBB2_911:                              ;   in Loop: Header=BB2_629 Depth=2
	s_or_b32 exec_lo, exec_lo, s29
.LBB2_912:                              ;   in Loop: Header=BB2_629 Depth=2
	s_delay_alu instid0(SALU_CYCLE_1)
	s_or_b32 exec_lo, exec_lo, s11
.LBB2_913:                              ;   in Loop: Header=BB2_629 Depth=2
	s_delay_alu instid0(SALU_CYCLE_1) | instskip(SKIP_3) | instid1(VALU_DEP_1)
	s_or_b32 exec_lo, exec_lo, s10
	v_lshrrev_b16 v14, 8, v12
	s_mov_b32 s11, 0
	s_mov_b32 s10, exec_lo
	v_cmpx_lt_i16_e32 0x7f, v14
	s_xor_b32 s10, exec_lo, s10
	s_cbranch_execz .LBB2_920
; %bb.914:                              ;   in Loop: Header=BB2_629 Depth=2
	s_mov_b32 s11, -1
	s_mov_b32 s29, exec_lo
	v_cmpx_eq_u16_e32 0x80, v14
; %bb.915:                              ;   in Loop: Header=BB2_629 Depth=2
	s_xor_b32 s11, exec_lo, -1
; %bb.916:                              ;   in Loop: Header=BB2_629 Depth=2
	s_or_b32 exec_lo, exec_lo, s29
	s_delay_alu instid0(SALU_CYCLE_1)
	s_and_b32 s11, s11, exec_lo
	s_or_saveexec_b32 s10, s10
	v_bfrev_b32_e32 v15, 1
	s_xor_b32 exec_lo, exec_lo, s10
	s_cbranch_execnz .LBB2_921
.LBB2_917:                              ;   in Loop: Header=BB2_629 Depth=2
	s_or_b32 exec_lo, exec_lo, s10
	s_and_saveexec_b32 s10, s11
	s_cbranch_execnz .LBB2_922
	s_branch .LBB2_925
.LBB2_918:                              ;   in Loop: Header=BB2_629 Depth=2
	s_or_saveexec_b32 s11, s11
	v_bfrev_b32_e32 v11, 1
	s_xor_b32 exec_lo, exec_lo, s11
	s_cbranch_execz .LBB2_887
.LBB2_919:                              ;   in Loop: Header=BB2_629 Depth=2
	v_cmp_ne_u16_e32 vcc_lo, 0, v14
	v_mov_b32_e32 v11, 0
	s_and_not1_b32 s10, s10, exec_lo
	s_and_b32 s29, vcc_lo, exec_lo
	s_delay_alu instid0(SALU_CYCLE_1)
	s_or_b32 s10, s10, s29
	s_or_b32 exec_lo, exec_lo, s11
	s_and_saveexec_b32 s11, s10
	s_cbranch_execnz .LBB2_888
	s_branch .LBB2_889
.LBB2_920:                              ;   in Loop: Header=BB2_629 Depth=2
	s_or_saveexec_b32 s10, s10
	v_bfrev_b32_e32 v15, 1
	s_xor_b32 exec_lo, exec_lo, s10
	s_cbranch_execz .LBB2_917
.LBB2_921:                              ;   in Loop: Header=BB2_629 Depth=2
	v_cmp_ne_u16_e32 vcc_lo, 0, v14
	v_mov_b32_e32 v15, 0
	s_and_not1_b32 s11, s11, exec_lo
	s_and_b32 s29, vcc_lo, exec_lo
	s_delay_alu instid0(SALU_CYCLE_1)
	s_or_b32 s11, s11, s29
	s_or_b32 exec_lo, exec_lo, s10
	s_and_saveexec_b32 s10, s11
	s_cbranch_execz .LBB2_925
.LBB2_922:                              ;   in Loop: Header=BB2_629 Depth=2
	v_and_b32_e32 v10, 0xffff, v14
	v_mov_b32_e32 v15, 0x7f800001
	s_mov_b32 s11, exec_lo
	s_delay_alu instid0(VALU_DEP_2) | instskip(NEXT) | instid1(VALU_DEP_1)
	v_and_b32_e32 v48, 0x7f, v10
	v_cmpx_ne_u32_e32 0x7f, v48
	s_cbranch_execz .LBB2_924
; %bb.923:                              ;   in Loop: Header=BB2_629 Depth=2
	v_and_b32_e32 v15, 7, v10
	v_cmp_gt_u32_e32 vcc_lo, 8, v48
	s_delay_alu instid0(VALU_DEP_2) | instskip(NEXT) | instid1(VALU_DEP_1)
	v_clz_i32_u32_e32 v98, v15
	v_min_u32_e32 v47, 32, v98
	s_delay_alu instid0(VALU_DEP_1) | instskip(NEXT) | instid1(VALU_DEP_1)
	v_subrev_nc_u32_e32 v98, 28, v47
	v_lshlrev_b64_e32 v[98:99], v98, v[10:11]
	v_dual_lshrrev_b32 v10, 3, v48 :: v_dual_sub_nc_u32 v99, 29, v47
	s_delay_alu instid0(VALU_DEP_2) | instskip(NEXT) | instid1(VALU_DEP_2)
	v_and_b32_e32 v48, 7, v98
	v_dual_lshlrev_b32 v14, 24, v14 :: v_dual_cndmask_b32 v10, v10, v99, vcc_lo
	s_delay_alu instid0(VALU_DEP_2) | instskip(NEXT) | instid1(VALU_DEP_2)
	v_cndmask_b32_e32 v15, v15, v48, vcc_lo
	v_and_b32_e32 v14, 0x80000000, v14
	s_delay_alu instid0(VALU_DEP_3) | instskip(NEXT) | instid1(VALU_DEP_3)
	v_lshl_add_u32 v10, v10, 23, 0x3c000000
	v_lshlrev_b32_e32 v15, 20, v15
	s_delay_alu instid0(VALU_DEP_1)
	v_or3_b32 v15, v15, v14, v10
.LBB2_924:                              ;   in Loop: Header=BB2_629 Depth=2
	s_or_b32 exec_lo, exec_lo, s11
.LBB2_925:                              ;   in Loop: Header=BB2_629 Depth=2
	s_delay_alu instid0(SALU_CYCLE_1) | instskip(NEXT) | instid1(VALU_DEP_1)
	s_or_b32 exec_lo, exec_lo, s10
	v_mul_f32_e32 v10, v11, v15
                                        ; implicit-def: $vgpr47
	s_mov_b32 s10, exec_lo
	s_delay_alu instid0(VALU_DEP_1) | instskip(SKIP_1) | instid1(VALU_DEP_2)
	v_and_b32_e32 v48, 0x7f800000, v10
	v_lshrrev_b32_e32 v11, 24, v10
	v_cmpx_ne_u64_e32 0x7f800000, v[48:49]
	s_xor_b32 s11, exec_lo, s10
	s_cbranch_execz .LBB2_939
; %bb.926:                              ;   in Loop: Header=BB2_629 Depth=2
	v_and_b32_e32 v48, 0x7fffffff, v10
	v_and_b32_e32 v98, 0x80, v11
                                        ; implicit-def: $vgpr47
	s_mov_b32 s10, exec_lo
	s_delay_alu instid0(VALU_DEP_2)
	v_cmpx_gt_u64_e32 0x43e00001, v[48:49]
	s_xor_b32 s29, exec_lo, s10
	s_cbranch_execz .LBB2_936
; %bb.927:                              ;   in Loop: Header=BB2_629 Depth=2
	v_mov_b32_e32 v47, 0
	s_mov_b32 s40, exec_lo
	v_cmpx_ne_u32_e32 0, v10
	s_cbranch_execz .LBB2_935
; %bb.928:                              ;   in Loop: Header=BB2_629 Depth=2
	v_bfe_u32 v99, v10, 23, 8
	v_and_b32_e32 v14, 0x7fffff, v10
	s_delay_alu instid0(VALU_DEP_2) | instskip(NEXT) | instid1(VALU_DEP_2)
	v_cmp_gt_u32_e32 vcc_lo, 0x7a, v99
	v_or_b32_e32 v15, 0x800000, v14
	v_sub_nc_u32_e32 v11, 0x79, v99
	s_delay_alu instid0(VALU_DEP_1) | instskip(SKIP_1) | instid1(VALU_DEP_2)
	v_cndmask_b32_e32 v11, 0, v11, vcc_lo
	v_cmp_eq_u32_e32 vcc_lo, 0, v99
	v_cndmask_b32_e64 v47, v11, 0x78, vcc_lo
	s_delay_alu instid0(VALU_DEP_1) | instskip(SKIP_1) | instid1(VALU_DEP_2)
	v_dual_cndmask_b32 v48, v15, v14, vcc_lo :: v_dual_add_nc_u32 v10, 20, v47
	v_add_nc_u32_e32 v56, 19, v47
	v_lshlrev_b64_e64 v[10:11], v10, -1
	s_delay_alu instid0(VALU_DEP_2) | instskip(NEXT) | instid1(VALU_DEP_2)
	v_lshlrev_b64_e64 v[14:15], v56, 1
	v_bfi_b32 v57, v11, 0, 0
	s_delay_alu instid0(VALU_DEP_3) | instskip(SKIP_1) | instid1(VALU_DEP_2)
	v_bfi_b32 v56, v10, 0, v48
	v_lshrrev_b64 v[10:11], v47, v[48:49]
	v_cmp_eq_u64_e64 s10, v[56:57], v[14:15]
	s_delay_alu instid0(VALU_DEP_2)
	v_mov_b64_e32 v[14:15], v[10:11]
	s_and_saveexec_b32 s41, s10
; %bb.929:                              ;   in Loop: Header=BB2_629 Depth=2
	v_bfe_u32 v48, v10, 20, 1
	s_delay_alu instid0(VALU_DEP_1) | instskip(NEXT) | instid1(VALU_DEP_1)
	v_add_nc_u64_e32 v[14:15], v[10:11], v[48:49]
	v_add_nc_u64_e32 v[14:15], -1, v[14:15]
; %bb.930:                              ;   in Loop: Header=BB2_629 Depth=2
	s_or_b32 exec_lo, exec_lo, s41
	v_add_nc_u32_e32 v11, 0xffffff81, v99
	v_lshrrev_b32_e32 v15, 23, v10
	s_mov_b32 s10, exec_lo
	s_delay_alu instid0(VALU_DEP_2) | instskip(NEXT) | instid1(VALU_DEP_1)
	v_cndmask_b32_e64 v11, v11, 0xffffff82, vcc_lo
	v_add3_u32 v15, v47, v11, v15
	v_and_b32_e32 v11, 0xfffff, v14
                                        ; implicit-def: $vgpr14
	s_delay_alu instid0(VALU_DEP_1) | instskip(NEXT) | instid1(VALU_DEP_1)
	v_dual_add_nc_u32 v99, 6, v15 :: v_dual_add_nc_u32 v48, v11, v10
                                        ; implicit-def: $vgpr10_vgpr11
	v_cmpx_ne_u32_e32 0, v99
	s_xor_b32 s10, exec_lo, s10
; %bb.931:                              ;   in Loop: Header=BB2_629 Depth=2
	s_delay_alu instid0(VALU_DEP_2) | instskip(SKIP_1) | instid1(VALU_DEP_1)
	v_cmp_lt_u64_e32 vcc_lo, 0xffffff, v[48:49]
	v_add_nc_u32_e32 v10, 7, v15
	v_cndmask_b32_e32 v14, v99, v10, vcc_lo
	v_cndmask_b32_e64 v10, 0, 1, vcc_lo
	s_delay_alu instid0(VALU_DEP_1)
	v_lshrrev_b64 v[10:11], v10, v[48:49]
; %bb.932:                              ;   in Loop: Header=BB2_629 Depth=2
	s_and_not1_saveexec_b32 s10, s10
; %bb.933:                              ;   in Loop: Header=BB2_629 Depth=2
	v_mov_b64_e32 v[10:11], v[48:49]
	v_bfe_u32 v14, v48, 23, 1
; %bb.934:                              ;   in Loop: Header=BB2_629 Depth=2
	s_or_b32 exec_lo, exec_lo, s10
	s_delay_alu instid0(VALU_DEP_2) | instskip(NEXT) | instid1(VALU_DEP_2)
	v_lshrrev_b64 v[10:11], 20, v[10:11]
	v_cmp_gt_i32_e32 vcc_lo, 16, v14
	v_min_i32_e32 v15, 15, v14
	v_cmp_eq_u32_e64 s10, 0, v14
	s_delay_alu instid0(VALU_DEP_4) | instskip(NEXT) | instid1(VALU_DEP_3)
	v_cndmask_b32_e32 v11, 0, v11, vcc_lo
	v_dual_cndmask_b32 v10, 7, v10 :: v_dual_lshlrev_b32 v15, 3, v15
	s_delay_alu instid0(VALU_DEP_1) | instskip(NEXT) | instid1(VALU_DEP_2)
	v_and_b32_e32 v15, 0xf8, v15
	v_cmp_eq_u64_e32 vcc_lo, 0, v[10:11]
	s_delay_alu instid0(VALU_DEP_2)
	v_and_or_b32 v10, v10, 7, v15
	s_and_b32 s10, s10, vcc_lo
	s_delay_alu instid0(VALU_DEP_1) | instid1(SALU_CYCLE_1)
	v_cndmask_b32_e64 v10, v10, 0, s10
	s_delay_alu instid0(VALU_DEP_1)
	v_or_b32_e32 v47, v10, v98
.LBB2_935:                              ;   in Loop: Header=BB2_629 Depth=2
	s_or_b32 exec_lo, exec_lo, s40
                                        ; implicit-def: $vgpr98
.LBB2_936:                              ;   in Loop: Header=BB2_629 Depth=2
	s_and_not1_saveexec_b32 s10, s29
; %bb.937:                              ;   in Loop: Header=BB2_629 Depth=2
	v_or_b32_e32 v47, 0x7e, v98
; %bb.938:                              ;   in Loop: Header=BB2_629 Depth=2
	s_or_b32 exec_lo, exec_lo, s10
                                        ; implicit-def: $vgpr11
.LBB2_939:                              ;   in Loop: Header=BB2_629 Depth=2
	s_and_not1_saveexec_b32 s10, s11
; %bb.940:                              ;   in Loop: Header=BB2_629 Depth=2
	v_or_b32_e32 v47, 0x7f, v11
; %bb.941:                              ;   in Loop: Header=BB2_629 Depth=2
	s_or_b32 exec_lo, exec_lo, s10
	v_dual_mov_b32 v11, 0 :: v_dual_lshrrev_b32 v10, 16, v16
	s_mov_b32 s10, exec_lo
	s_delay_alu instid0(VALU_DEP_1) | instskip(NEXT) | instid1(VALU_DEP_1)
	v_and_b32_e32 v14, 0xff, v10
	v_cmpx_ne_u16_e32 0, v14
	s_cbranch_execz .LBB2_949
; %bb.942:                              ;   in Loop: Header=BB2_629 Depth=2
	v_bfrev_b32_e32 v11, 1
	s_mov_b32 s11, exec_lo
	v_cmpx_ne_u16_e32 0x80, v14
	s_cbranch_execz .LBB2_948
; %bb.943:                              ;   in Loop: Header=BB2_629 Depth=2
	v_bfe_u32 v14, v16, 16, 7
	v_mov_b32_e32 v11, 0x7f800001
	s_mov_b32 s29, exec_lo
	s_delay_alu instid0(VALU_DEP_2)
	v_cmpx_ne_u32_e32 0x7f, v14
	s_cbranch_execz .LBB2_947
; %bb.944:                              ;   in Loop: Header=BB2_629 Depth=2
	v_and_b32_e32 v48, 7, v10
	v_lshrrev_b32_e32 v11, 3, v14
	s_mov_b32 s40, exec_lo
	v_cmpx_gt_u32_e32 8, v14
; %bb.945:                              ;   in Loop: Header=BB2_629 Depth=2
	s_delay_alu instid0(VALU_DEP_3) | instskip(NEXT) | instid1(VALU_DEP_1)
	v_clz_i32_u32_e32 v11, v48
	v_min_u32_e32 v11, 32, v11
	s_delay_alu instid0(VALU_DEP_1) | instskip(NEXT) | instid1(VALU_DEP_1)
	v_subrev_nc_u32_e32 v14, 28, v11
	v_lshlrev_b64_e32 v[14:15], v14, v[48:49]
	s_delay_alu instid0(VALU_DEP_1)
	v_dual_sub_nc_u32 v11, 29, v11 :: v_dual_bitop2_b32 v48, 7, v14 bitop3:0x40
; %bb.946:                              ;   in Loop: Header=BB2_629 Depth=2
	s_or_b32 exec_lo, exec_lo, s40
	s_delay_alu instid0(VALU_DEP_1) | instskip(NEXT) | instid1(VALU_DEP_2)
	v_dual_lshlrev_b32 v10, 24, v10 :: v_dual_lshlrev_b32 v14, 20, v48
	v_lshl_add_u32 v11, v11, 23, 0x3c000000
	s_delay_alu instid0(VALU_DEP_2) | instskip(NEXT) | instid1(VALU_DEP_1)
	v_and_b32_e32 v10, 0x80000000, v10
	v_or3_b32 v11, v14, v10, v11
.LBB2_947:                              ;   in Loop: Header=BB2_629 Depth=2
	s_or_b32 exec_lo, exec_lo, s29
.LBB2_948:                              ;   in Loop: Header=BB2_629 Depth=2
	s_delay_alu instid0(SALU_CYCLE_1)
	s_or_b32 exec_lo, exec_lo, s11
.LBB2_949:                              ;   in Loop: Header=BB2_629 Depth=2
	s_delay_alu instid0(SALU_CYCLE_1) | instskip(SKIP_3) | instid1(VALU_DEP_1)
	s_or_b32 exec_lo, exec_lo, s10
	v_lshrrev_b32_e32 v10, 16, v12
	s_mov_b32 s11, 0
	s_mov_b32 s10, exec_lo
	v_and_b32_e32 v15, 0xff, v10
	s_delay_alu instid0(VALU_DEP_1)
	v_cmpx_lt_i16_e32 0x7f, v15
	s_xor_b32 s10, exec_lo, s10
	s_cbranch_execz .LBB2_954
; %bb.950:                              ;   in Loop: Header=BB2_629 Depth=2
	s_mov_b32 s11, -1
	s_mov_b32 s29, exec_lo
	v_cmpx_eq_u16_e32 0x80, v15
; %bb.951:                              ;   in Loop: Header=BB2_629 Depth=2
	s_xor_b32 s11, exec_lo, -1
; %bb.952:                              ;   in Loop: Header=BB2_629 Depth=2
	s_or_b32 exec_lo, exec_lo, s29
	s_delay_alu instid0(SALU_CYCLE_1)
	s_and_b32 s11, s11, exec_lo
                                        ; implicit-def: $vgpr15
	s_or_saveexec_b32 s10, s10
	v_bfrev_b32_e32 v14, 1
	s_xor_b32 exec_lo, exec_lo, s10
	s_cbranch_execnz .LBB2_955
.LBB2_953:                              ;   in Loop: Header=BB2_629 Depth=2
	s_or_b32 exec_lo, exec_lo, s10
	s_and_saveexec_b32 s10, s11
	s_cbranch_execnz .LBB2_956
	s_branch .LBB2_959
.LBB2_954:                              ;   in Loop: Header=BB2_629 Depth=2
	s_or_saveexec_b32 s10, s10
	v_bfrev_b32_e32 v14, 1
	s_xor_b32 exec_lo, exec_lo, s10
	s_cbranch_execz .LBB2_953
.LBB2_955:                              ;   in Loop: Header=BB2_629 Depth=2
	v_cmp_ne_u16_e32 vcc_lo, 0, v15
	v_mov_b32_e32 v14, 0
	s_and_not1_b32 s11, s11, exec_lo
	s_and_b32 s29, vcc_lo, exec_lo
	s_delay_alu instid0(SALU_CYCLE_1)
	s_or_b32 s11, s11, s29
	s_or_b32 exec_lo, exec_lo, s10
	s_and_saveexec_b32 s10, s11
	s_cbranch_execz .LBB2_959
.LBB2_956:                              ;   in Loop: Header=BB2_629 Depth=2
	v_and_b32_e32 v15, 0x7f, v10
	v_mov_b32_e32 v14, 0x7f800001
	s_mov_b32 s11, exec_lo
	s_delay_alu instid0(VALU_DEP_2)
	v_cmpx_ne_u32_e32 0x7f, v15
	s_cbranch_execz .LBB2_958
; %bb.957:                              ;   in Loop: Header=BB2_629 Depth=2
	v_and_b32_e32 v14, 7, v10
	v_cmp_gt_u32_e32 vcc_lo, 8, v15
	s_delay_alu instid0(VALU_DEP_2) | instskip(NEXT) | instid1(VALU_DEP_1)
	v_clz_i32_u32_e32 v48, v14
	v_min_u32_e32 v48, 32, v48
	s_delay_alu instid0(VALU_DEP_1) | instskip(NEXT) | instid1(VALU_DEP_1)
	v_subrev_nc_u32_e32 v98, 28, v48
	v_lshlrev_b64_e32 v[98:99], v98, v[10:11]
	v_dual_lshrrev_b32 v99, 3, v15 :: v_dual_sub_nc_u32 v48, 29, v48
	s_delay_alu instid0(VALU_DEP_2) | instskip(NEXT) | instid1(VALU_DEP_2)
	v_and_b32_e32 v15, 7, v98
	v_dual_lshlrev_b32 v10, 24, v10 :: v_dual_cndmask_b32 v48, v99, v48, vcc_lo
	s_delay_alu instid0(VALU_DEP_2) | instskip(NEXT) | instid1(VALU_DEP_2)
	v_cndmask_b32_e32 v14, v14, v15, vcc_lo
	v_and_b32_e32 v10, 0x80000000, v10
	s_delay_alu instid0(VALU_DEP_3) | instskip(NEXT) | instid1(VALU_DEP_3)
	v_lshl_add_u32 v15, v48, 23, 0x3c000000
	v_lshlrev_b32_e32 v14, 20, v14
	s_delay_alu instid0(VALU_DEP_1)
	v_or3_b32 v14, v14, v10, v15
.LBB2_958:                              ;   in Loop: Header=BB2_629 Depth=2
	s_or_b32 exec_lo, exec_lo, s11
.LBB2_959:                              ;   in Loop: Header=BB2_629 Depth=2
	s_delay_alu instid0(SALU_CYCLE_1) | instskip(NEXT) | instid1(VALU_DEP_1)
	s_or_b32 exec_lo, exec_lo, s10
	v_mul_f32_e32 v10, v11, v14
                                        ; implicit-def: $vgpr56
	s_mov_b32 s10, exec_lo
	s_delay_alu instid0(VALU_DEP_1) | instskip(SKIP_1) | instid1(VALU_DEP_2)
	v_and_b32_e32 v48, 0x7f800000, v10
	v_lshrrev_b32_e32 v11, 24, v10
	v_cmpx_ne_u64_e32 0x7f800000, v[48:49]
	s_xor_b32 s11, exec_lo, s10
	s_cbranch_execz .LBB2_973
; %bb.960:                              ;   in Loop: Header=BB2_629 Depth=2
	v_and_b32_e32 v48, 0x7fffffff, v10
	v_and_b32_e32 v98, 0x80, v11
                                        ; implicit-def: $vgpr56
	s_mov_b32 s10, exec_lo
	s_delay_alu instid0(VALU_DEP_2)
	v_cmpx_gt_u64_e32 0x43e00001, v[48:49]
	s_xor_b32 s29, exec_lo, s10
	s_cbranch_execz .LBB2_970
; %bb.961:                              ;   in Loop: Header=BB2_629 Depth=2
	v_mov_b32_e32 v56, 0
	s_mov_b32 s40, exec_lo
	v_cmpx_ne_u32_e32 0, v10
	s_cbranch_execz .LBB2_969
; %bb.962:                              ;   in Loop: Header=BB2_629 Depth=2
	v_bfe_u32 v99, v10, 23, 8
	v_and_b32_e32 v14, 0x7fffff, v10
	s_delay_alu instid0(VALU_DEP_2) | instskip(NEXT) | instid1(VALU_DEP_2)
	v_cmp_gt_u32_e32 vcc_lo, 0x7a, v99
	v_or_b32_e32 v15, 0x800000, v14
	v_sub_nc_u32_e32 v11, 0x79, v99
	s_delay_alu instid0(VALU_DEP_1) | instskip(SKIP_1) | instid1(VALU_DEP_2)
	v_cndmask_b32_e32 v11, 0, v11, vcc_lo
	v_cmp_eq_u32_e32 vcc_lo, 0, v99
	v_cndmask_b32_e64 v56, v11, 0x78, vcc_lo
	s_delay_alu instid0(VALU_DEP_1) | instskip(SKIP_1) | instid1(VALU_DEP_2)
	v_dual_cndmask_b32 v48, v15, v14, vcc_lo :: v_dual_add_nc_u32 v10, 20, v56
	v_add_nc_u32_e32 v57, 19, v56
	v_lshlrev_b64_e64 v[10:11], v10, -1
	s_delay_alu instid0(VALU_DEP_2) | instskip(NEXT) | instid1(VALU_DEP_2)
	v_lshlrev_b64_e64 v[14:15], v57, 1
	v_bfi_b32 v59, v11, 0, 0
	s_delay_alu instid0(VALU_DEP_3) | instskip(SKIP_1) | instid1(VALU_DEP_2)
	v_bfi_b32 v58, v10, 0, v48
	v_lshrrev_b64 v[10:11], v56, v[48:49]
	v_cmp_eq_u64_e64 s10, v[58:59], v[14:15]
	s_delay_alu instid0(VALU_DEP_2)
	v_mov_b64_e32 v[14:15], v[10:11]
	s_and_saveexec_b32 s41, s10
; %bb.963:                              ;   in Loop: Header=BB2_629 Depth=2
	v_bfe_u32 v48, v10, 20, 1
	s_delay_alu instid0(VALU_DEP_1) | instskip(NEXT) | instid1(VALU_DEP_1)
	v_add_nc_u64_e32 v[14:15], v[10:11], v[48:49]
	v_add_nc_u64_e32 v[14:15], -1, v[14:15]
; %bb.964:                              ;   in Loop: Header=BB2_629 Depth=2
	s_or_b32 exec_lo, exec_lo, s41
	v_add_nc_u32_e32 v11, 0xffffff81, v99
	v_lshrrev_b32_e32 v15, 23, v10
	s_mov_b32 s10, exec_lo
	s_delay_alu instid0(VALU_DEP_2) | instskip(NEXT) | instid1(VALU_DEP_1)
	v_cndmask_b32_e64 v11, v11, 0xffffff82, vcc_lo
	v_add3_u32 v15, v56, v11, v15
	v_and_b32_e32 v11, 0xfffff, v14
                                        ; implicit-def: $vgpr14
	s_delay_alu instid0(VALU_DEP_1) | instskip(NEXT) | instid1(VALU_DEP_1)
	v_dual_add_nc_u32 v99, 6, v15 :: v_dual_add_nc_u32 v48, v11, v10
                                        ; implicit-def: $vgpr10_vgpr11
	v_cmpx_ne_u32_e32 0, v99
	s_xor_b32 s10, exec_lo, s10
; %bb.965:                              ;   in Loop: Header=BB2_629 Depth=2
	s_delay_alu instid0(VALU_DEP_2) | instskip(SKIP_1) | instid1(VALU_DEP_1)
	v_cmp_lt_u64_e32 vcc_lo, 0xffffff, v[48:49]
	v_add_nc_u32_e32 v10, 7, v15
	v_cndmask_b32_e32 v14, v99, v10, vcc_lo
	v_cndmask_b32_e64 v10, 0, 1, vcc_lo
	s_delay_alu instid0(VALU_DEP_1)
	v_lshrrev_b64 v[10:11], v10, v[48:49]
; %bb.966:                              ;   in Loop: Header=BB2_629 Depth=2
	s_and_not1_saveexec_b32 s10, s10
; %bb.967:                              ;   in Loop: Header=BB2_629 Depth=2
	v_mov_b64_e32 v[10:11], v[48:49]
	v_bfe_u32 v14, v48, 23, 1
; %bb.968:                              ;   in Loop: Header=BB2_629 Depth=2
	s_or_b32 exec_lo, exec_lo, s10
	s_delay_alu instid0(VALU_DEP_2) | instskip(NEXT) | instid1(VALU_DEP_2)
	v_lshrrev_b64 v[10:11], 20, v[10:11]
	v_cmp_gt_i32_e32 vcc_lo, 16, v14
	v_min_i32_e32 v15, 15, v14
	v_cmp_eq_u32_e64 s10, 0, v14
	s_delay_alu instid0(VALU_DEP_4) | instskip(NEXT) | instid1(VALU_DEP_3)
	v_cndmask_b32_e32 v11, 0, v11, vcc_lo
	v_dual_cndmask_b32 v10, 7, v10 :: v_dual_lshlrev_b32 v15, 3, v15
	s_delay_alu instid0(VALU_DEP_1) | instskip(NEXT) | instid1(VALU_DEP_2)
	v_and_b32_e32 v15, 0xf8, v15
	v_cmp_eq_u64_e32 vcc_lo, 0, v[10:11]
	s_delay_alu instid0(VALU_DEP_2)
	v_and_or_b32 v10, v10, 7, v15
	s_and_b32 s10, s10, vcc_lo
	s_delay_alu instid0(VALU_DEP_1) | instid1(SALU_CYCLE_1)
	v_cndmask_b32_e64 v10, v10, 0, s10
	s_delay_alu instid0(VALU_DEP_1)
	v_or_b32_e32 v56, v10, v98
.LBB2_969:                              ;   in Loop: Header=BB2_629 Depth=2
	s_or_b32 exec_lo, exec_lo, s40
                                        ; implicit-def: $vgpr98
.LBB2_970:                              ;   in Loop: Header=BB2_629 Depth=2
	s_and_not1_saveexec_b32 s10, s29
; %bb.971:                              ;   in Loop: Header=BB2_629 Depth=2
	v_or_b32_e32 v56, 0x7e, v98
; %bb.972:                              ;   in Loop: Header=BB2_629 Depth=2
	s_or_b32 exec_lo, exec_lo, s10
                                        ; implicit-def: $vgpr11
.LBB2_973:                              ;   in Loop: Header=BB2_629 Depth=2
	s_and_not1_saveexec_b32 s10, s11
; %bb.974:                              ;   in Loop: Header=BB2_629 Depth=2
	v_or_b32_e32 v56, 0x7f, v11
; %bb.975:                              ;   in Loop: Header=BB2_629 Depth=2
	s_or_b32 exec_lo, exec_lo, s10
	v_mov_b32_e32 v11, 0
	s_mov_b32 s10, exec_lo
	v_cmpx_lt_u32_e32 0xffffff, v16
	s_cbranch_execz .LBB2_983
; %bb.976:                              ;   in Loop: Header=BB2_629 Depth=2
	v_lshrrev_b32_e32 v10, 24, v16
	v_bfrev_b32_e32 v11, 1
	s_mov_b32 s11, exec_lo
	s_delay_alu instid0(VALU_DEP_2)
	v_cmpx_ne_u32_e32 0x80, v10
	s_cbranch_execz .LBB2_982
; %bb.977:                              ;   in Loop: Header=BB2_629 Depth=2
	v_bfe_u32 v14, v16, 24, 7
	v_mov_b32_e32 v11, 0x7f800001
	s_mov_b32 s29, exec_lo
	s_delay_alu instid0(VALU_DEP_2)
	v_cmpx_ne_u32_e32 0x7f, v14
	s_cbranch_execz .LBB2_981
; %bb.978:                              ;   in Loop: Header=BB2_629 Depth=2
	v_and_b32_e32 v48, 7, v10
	v_lshrrev_b32_e32 v11, 3, v14
	s_mov_b32 s40, exec_lo
	v_cmpx_gt_u32_e32 8, v14
; %bb.979:                              ;   in Loop: Header=BB2_629 Depth=2
	s_delay_alu instid0(VALU_DEP_3) | instskip(NEXT) | instid1(VALU_DEP_1)
	v_clz_i32_u32_e32 v11, v48
	v_min_u32_e32 v11, 32, v11
	s_delay_alu instid0(VALU_DEP_1) | instskip(NEXT) | instid1(VALU_DEP_1)
	v_subrev_nc_u32_e32 v14, 28, v11
	v_lshlrev_b64_e32 v[14:15], v14, v[48:49]
	s_delay_alu instid0(VALU_DEP_1)
	v_dual_sub_nc_u32 v11, 29, v11 :: v_dual_bitop2_b32 v48, 7, v14 bitop3:0x40
; %bb.980:                              ;   in Loop: Header=BB2_629 Depth=2
	s_or_b32 exec_lo, exec_lo, s40
	s_delay_alu instid0(VALU_DEP_1) | instskip(NEXT) | instid1(VALU_DEP_2)
	v_dual_lshlrev_b32 v10, 24, v10 :: v_dual_lshlrev_b32 v14, 20, v48
	v_lshl_add_u32 v11, v11, 23, 0x3c000000
	s_delay_alu instid0(VALU_DEP_2) | instskip(NEXT) | instid1(VALU_DEP_1)
	v_and_b32_e32 v10, 0x80000000, v10
	v_or3_b32 v11, v14, v10, v11
.LBB2_981:                              ;   in Loop: Header=BB2_629 Depth=2
	s_or_b32 exec_lo, exec_lo, s29
.LBB2_982:                              ;   in Loop: Header=BB2_629 Depth=2
	s_delay_alu instid0(SALU_CYCLE_1)
	s_or_b32 exec_lo, exec_lo, s11
.LBB2_983:                              ;   in Loop: Header=BB2_629 Depth=2
	s_delay_alu instid0(SALU_CYCLE_1) | instskip(SKIP_3) | instid1(VALU_DEP_3)
	s_or_b32 exec_lo, exec_lo, s10
	v_lshrrev_b32_e32 v10, 24, v12
	v_bfe_u32 v14, v12, 24, 7
	v_cmp_gt_u32_e64 s11, 0x1000000, v12
	v_cmp_eq_u32_e32 vcc_lo, 0x80, v10
	s_delay_alu instid0(VALU_DEP_3) | instskip(SKIP_2) | instid1(VALU_DEP_1)
	v_cmp_eq_u32_e64 s10, 0x7f, v14
	v_cndmask_b32_e32 v15, 0x7f800001, v118, vcc_lo
	s_or_b32 s10, vcc_lo, s10
	v_cndmask_b32_e64 v15, v15, 0, s11
	s_nor_b32 s11, s11, s10
	s_delay_alu instid0(SALU_CYCLE_1)
	s_and_saveexec_b32 s10, s11
	s_cbranch_execz .LBB2_985
; %bb.984:                              ;   in Loop: Header=BB2_629 Depth=2
	v_and_b32_e32 v15, 7, v10
	v_cmp_gt_u32_e32 vcc_lo, 8, v14
	s_delay_alu instid0(VALU_DEP_2) | instskip(NEXT) | instid1(VALU_DEP_1)
	v_clz_i32_u32_e32 v48, v15
	v_min_u32_e32 v48, 32, v48
	s_delay_alu instid0(VALU_DEP_1) | instskip(SKIP_1) | instid1(VALU_DEP_2)
	v_subrev_nc_u32_e32 v98, 28, v48
	v_sub_nc_u32_e32 v48, 29, v48
	v_lshlrev_b64_e32 v[98:99], v98, v[10:11]
	v_lshrrev_b32_e32 v99, 3, v14
	v_lshlrev_b32_e32 v10, 24, v10
	s_delay_alu instid0(VALU_DEP_1) | instskip(NEXT) | instid1(VALU_DEP_4)
	v_and_b32_e32 v10, 0x80000000, v10
	v_and_b32_e32 v14, 7, v98
	s_delay_alu instid0(VALU_DEP_1) | instskip(NEXT) | instid1(VALU_DEP_1)
	v_cndmask_b32_e32 v14, v15, v14, vcc_lo
	v_dual_cndmask_b32 v48, v99, v48, vcc_lo :: v_dual_lshlrev_b32 v14, 20, v14
	s_delay_alu instid0(VALU_DEP_1) | instskip(NEXT) | instid1(VALU_DEP_1)
	v_lshl_add_u32 v15, v48, 23, 0x3c000000
	v_or3_b32 v15, v14, v10, v15
.LBB2_985:                              ;   in Loop: Header=BB2_629 Depth=2
	s_or_b32 exec_lo, exec_lo, s10
	s_delay_alu instid0(VALU_DEP_1) | instskip(SKIP_1) | instid1(VALU_DEP_1)
	v_mul_f32_e32 v10, v11, v15
                                        ; implicit-def: $vgpr57
	s_mov_b32 s10, exec_lo
	v_and_b32_e32 v48, 0x7f800000, v10
	v_lshrrev_b32_e32 v11, 24, v10
	s_delay_alu instid0(VALU_DEP_2)
	v_cmpx_ne_u64_e32 0x7f800000, v[48:49]
	s_xor_b32 s11, exec_lo, s10
	s_cbranch_execz .LBB2_999
; %bb.986:                              ;   in Loop: Header=BB2_629 Depth=2
	v_and_b32_e32 v48, 0x7fffffff, v10
	v_and_b32_e32 v98, 0x80, v11
                                        ; implicit-def: $vgpr57
	s_mov_b32 s10, exec_lo
	s_delay_alu instid0(VALU_DEP_2)
	v_cmpx_gt_u64_e32 0x43e00001, v[48:49]
	s_xor_b32 s29, exec_lo, s10
	s_cbranch_execz .LBB2_996
; %bb.987:                              ;   in Loop: Header=BB2_629 Depth=2
	v_mov_b32_e32 v57, 0
	s_mov_b32 s40, exec_lo
	v_cmpx_ne_u32_e32 0, v10
	s_cbranch_execz .LBB2_995
; %bb.988:                              ;   in Loop: Header=BB2_629 Depth=2
	v_bfe_u32 v99, v10, 23, 8
	v_and_b32_e32 v14, 0x7fffff, v10
	s_delay_alu instid0(VALU_DEP_2) | instskip(NEXT) | instid1(VALU_DEP_2)
	v_cmp_gt_u32_e32 vcc_lo, 0x7a, v99
	v_or_b32_e32 v15, 0x800000, v14
	v_sub_nc_u32_e32 v11, 0x79, v99
	s_delay_alu instid0(VALU_DEP_1) | instskip(SKIP_1) | instid1(VALU_DEP_2)
	v_cndmask_b32_e32 v11, 0, v11, vcc_lo
	v_cmp_eq_u32_e32 vcc_lo, 0, v99
	v_cndmask_b32_e64 v57, v11, 0x78, vcc_lo
	s_delay_alu instid0(VALU_DEP_1) | instskip(SKIP_1) | instid1(VALU_DEP_2)
	v_dual_cndmask_b32 v48, v15, v14, vcc_lo :: v_dual_add_nc_u32 v10, 20, v57
	v_add_nc_u32_e32 v58, 19, v57
	v_lshlrev_b64_e64 v[10:11], v10, -1
	s_delay_alu instid0(VALU_DEP_2) | instskip(NEXT) | instid1(VALU_DEP_2)
	v_lshlrev_b64_e64 v[14:15], v58, 1
	v_bfi_b32 v59, v11, 0, 0
	s_delay_alu instid0(VALU_DEP_3) | instskip(SKIP_1) | instid1(VALU_DEP_2)
	v_bfi_b32 v58, v10, 0, v48
	v_lshrrev_b64 v[10:11], v57, v[48:49]
	v_cmp_eq_u64_e64 s10, v[58:59], v[14:15]
	s_delay_alu instid0(VALU_DEP_2)
	v_mov_b64_e32 v[14:15], v[10:11]
	s_and_saveexec_b32 s41, s10
; %bb.989:                              ;   in Loop: Header=BB2_629 Depth=2
	v_bfe_u32 v48, v10, 20, 1
	s_delay_alu instid0(VALU_DEP_1) | instskip(NEXT) | instid1(VALU_DEP_1)
	v_add_nc_u64_e32 v[14:15], v[10:11], v[48:49]
	v_add_nc_u64_e32 v[14:15], -1, v[14:15]
; %bb.990:                              ;   in Loop: Header=BB2_629 Depth=2
	s_or_b32 exec_lo, exec_lo, s41
	v_add_nc_u32_e32 v11, 0xffffff81, v99
	v_lshrrev_b32_e32 v15, 23, v10
	s_mov_b32 s10, exec_lo
	s_delay_alu instid0(VALU_DEP_2) | instskip(NEXT) | instid1(VALU_DEP_1)
	v_cndmask_b32_e64 v11, v11, 0xffffff82, vcc_lo
	v_add3_u32 v15, v57, v11, v15
	v_and_b32_e32 v11, 0xfffff, v14
                                        ; implicit-def: $vgpr14
	s_delay_alu instid0(VALU_DEP_1) | instskip(NEXT) | instid1(VALU_DEP_1)
	v_dual_add_nc_u32 v99, 6, v15 :: v_dual_add_nc_u32 v48, v11, v10
                                        ; implicit-def: $vgpr10_vgpr11
	v_cmpx_ne_u32_e32 0, v99
	s_xor_b32 s10, exec_lo, s10
; %bb.991:                              ;   in Loop: Header=BB2_629 Depth=2
	s_delay_alu instid0(VALU_DEP_2) | instskip(SKIP_1) | instid1(VALU_DEP_1)
	v_cmp_lt_u64_e32 vcc_lo, 0xffffff, v[48:49]
	v_add_nc_u32_e32 v10, 7, v15
	v_cndmask_b32_e32 v14, v99, v10, vcc_lo
	v_cndmask_b32_e64 v10, 0, 1, vcc_lo
	s_delay_alu instid0(VALU_DEP_1)
	v_lshrrev_b64 v[10:11], v10, v[48:49]
; %bb.992:                              ;   in Loop: Header=BB2_629 Depth=2
	s_and_not1_saveexec_b32 s10, s10
; %bb.993:                              ;   in Loop: Header=BB2_629 Depth=2
	v_mov_b64_e32 v[10:11], v[48:49]
	v_bfe_u32 v14, v48, 23, 1
; %bb.994:                              ;   in Loop: Header=BB2_629 Depth=2
	s_or_b32 exec_lo, exec_lo, s10
	s_delay_alu instid0(VALU_DEP_2) | instskip(NEXT) | instid1(VALU_DEP_2)
	v_lshrrev_b64 v[10:11], 20, v[10:11]
	v_cmp_gt_i32_e32 vcc_lo, 16, v14
	v_min_i32_e32 v15, 15, v14
	v_cmp_eq_u32_e64 s10, 0, v14
	s_delay_alu instid0(VALU_DEP_4) | instskip(NEXT) | instid1(VALU_DEP_3)
	v_cndmask_b32_e32 v11, 0, v11, vcc_lo
	v_dual_cndmask_b32 v10, 7, v10 :: v_dual_lshlrev_b32 v15, 3, v15
	s_delay_alu instid0(VALU_DEP_1) | instskip(NEXT) | instid1(VALU_DEP_2)
	v_and_b32_e32 v15, 0xf8, v15
	v_cmp_eq_u64_e32 vcc_lo, 0, v[10:11]
	s_delay_alu instid0(VALU_DEP_2)
	v_and_or_b32 v10, v10, 7, v15
	s_and_b32 s10, s10, vcc_lo
	s_delay_alu instid0(VALU_DEP_1) | instid1(SALU_CYCLE_1)
	v_cndmask_b32_e64 v10, v10, 0, s10
	s_delay_alu instid0(VALU_DEP_1)
	v_or_b32_e32 v57, v10, v98
.LBB2_995:                              ;   in Loop: Header=BB2_629 Depth=2
	s_or_b32 exec_lo, exec_lo, s40
                                        ; implicit-def: $vgpr98
.LBB2_996:                              ;   in Loop: Header=BB2_629 Depth=2
	s_and_not1_saveexec_b32 s10, s29
; %bb.997:                              ;   in Loop: Header=BB2_629 Depth=2
	v_or_b32_e32 v57, 0x7e, v98
; %bb.998:                              ;   in Loop: Header=BB2_629 Depth=2
	s_or_b32 exec_lo, exec_lo, s10
                                        ; implicit-def: $vgpr11
.LBB2_999:                              ;   in Loop: Header=BB2_629 Depth=2
	s_and_not1_saveexec_b32 s10, s11
; %bb.1000:                             ;   in Loop: Header=BB2_629 Depth=2
	v_or_b32_e32 v57, 0x7f, v11
; %bb.1001:                             ;   in Loop: Header=BB2_629 Depth=2
	s_or_b32 exec_lo, exec_lo, s10
	v_and_b32_e32 v10, 0xff, v17
	v_dual_mov_b32 v48, v17 :: v_dual_mov_b32 v14, 0
	s_mov_b32 s10, exec_lo
	s_delay_alu instid0(VALU_DEP_2)
	v_cmpx_ne_u16_e32 0, v10
	s_cbranch_execz .LBB2_1007
; %bb.1002:                             ;   in Loop: Header=BB2_629 Depth=2
	v_bfrev_b32_e32 v14, 1
	s_mov_b32 s11, exec_lo
	v_cmpx_ne_u16_e32 0x80, v10
	s_cbranch_execz .LBB2_1006
; %bb.1003:                             ;   in Loop: Header=BB2_629 Depth=2
	v_and_b32_e32 v10, 0x7f, v17
	v_mov_b32_e32 v14, 0x7f800001
	s_mov_b32 s29, exec_lo
	s_delay_alu instid0(VALU_DEP_2)
	v_cmpx_ne_u32_e32 0x7f, v10
	s_cbranch_execz .LBB2_1005
; %bb.1004:                             ;   in Loop: Header=BB2_629 Depth=2
	v_dual_lshrrev_b32 v14, 3, v10 :: v_dual_bitop2_b32 v11, 7, v17 bitop3:0x40
	v_cmp_gt_u32_e32 vcc_lo, 8, v10
	s_delay_alu instid0(VALU_DEP_2) | instskip(NEXT) | instid1(VALU_DEP_1)
	v_clz_i32_u32_e32 v11, v11
	v_min_u32_e32 v11, 32, v11
	s_delay_alu instid0(VALU_DEP_1) | instskip(SKIP_1) | instid1(VALU_DEP_2)
	v_subrev_nc_u32_e32 v15, 28, v11
	v_sub_nc_u32_e32 v11, 29, v11
	v_cndmask_b32_e32 v10, 0, v15, vcc_lo
	s_delay_alu instid0(VALU_DEP_2) | instskip(NEXT) | instid1(VALU_DEP_2)
	v_cndmask_b32_e32 v14, v14, v11, vcc_lo
	v_lshlrev_b64_e32 v[10:11], v10, v[48:49]
	v_lshlrev_b32_e32 v11, 24, v48
	s_delay_alu instid0(VALU_DEP_3) | instskip(NEXT) | instid1(VALU_DEP_2)
	v_lshl_add_u32 v14, v14, 23, 0x3c000000
	v_and_b32_e32 v11, 0x80000000, v11
	s_delay_alu instid0(VALU_DEP_4) | instskip(NEXT) | instid1(VALU_DEP_1)
	v_lshlrev_b32_e32 v10, 20, v10
	v_and_b32_e32 v10, 0x700000, v10
	s_delay_alu instid0(VALU_DEP_1)
	v_or3_b32 v14, v10, v11, v14
.LBB2_1005:                             ;   in Loop: Header=BB2_629 Depth=2
	s_or_b32 exec_lo, exec_lo, s29
.LBB2_1006:                             ;   in Loop: Header=BB2_629 Depth=2
	s_delay_alu instid0(SALU_CYCLE_1)
	s_or_b32 exec_lo, exec_lo, s11
.LBB2_1007:                             ;   in Loop: Header=BB2_629 Depth=2
	s_delay_alu instid0(SALU_CYCLE_1) | instskip(SKIP_4) | instid1(VALU_DEP_2)
	s_or_b32 exec_lo, exec_lo, s10
	v_and_b32_e32 v11, 0xff, v13
	v_mov_b32_e32 v10, v13
	s_mov_b32 s10, 0
	s_mov_b32 s11, exec_lo
	v_cmpx_lt_i16_e32 0x7f, v11
	s_xor_b32 s11, exec_lo, s11
	s_cbranch_execz .LBB2_1042
; %bb.1008:                             ;   in Loop: Header=BB2_629 Depth=2
	s_mov_b32 s10, -1
	s_mov_b32 s29, exec_lo
	v_cmpx_eq_u16_e32 0x80, v11
; %bb.1009:                             ;   in Loop: Header=BB2_629 Depth=2
	s_xor_b32 s10, exec_lo, -1
; %bb.1010:                             ;   in Loop: Header=BB2_629 Depth=2
	s_or_b32 exec_lo, exec_lo, s29
	s_delay_alu instid0(SALU_CYCLE_1)
	s_and_b32 s10, s10, exec_lo
                                        ; implicit-def: $vgpr11
	s_or_saveexec_b32 s11, s11
	v_bfrev_b32_e32 v15, 1
	s_xor_b32 exec_lo, exec_lo, s11
	s_cbranch_execnz .LBB2_1043
.LBB2_1011:                             ;   in Loop: Header=BB2_629 Depth=2
	s_or_b32 exec_lo, exec_lo, s11
	v_mov_b32_e32 v11, v49
	s_and_saveexec_b32 s11, s10
	s_cbranch_execz .LBB2_1013
.LBB2_1012:                             ;   in Loop: Header=BB2_629 Depth=2
	v_and_b32_e32 v58, 0x7f, v13
	v_bfe_u32 v98, v13, 3, 4
	s_delay_alu instid0(VALU_DEP_2) | instskip(SKIP_1) | instid1(VALU_DEP_1)
	v_cmp_gt_u32_e32 vcc_lo, 8, v58
	v_and_b32_e32 v15, 7, v13
	v_clz_i32_u32_e32 v15, v15
	s_delay_alu instid0(VALU_DEP_1) | instskip(NEXT) | instid1(VALU_DEP_1)
	v_min_u32_e32 v15, 32, v15
	v_subrev_nc_u32_e32 v99, 28, v15
	v_sub_nc_u32_e32 v15, 29, v15
	s_delay_alu instid0(VALU_DEP_1) | instskip(NEXT) | instid1(VALU_DEP_3)
	v_cndmask_b32_e32 v15, v98, v15, vcc_lo
	v_cndmask_b32_e32 v98, 0, v99, vcc_lo
	v_cmp_ne_u32_e32 vcc_lo, 0x7f, v58
	s_delay_alu instid0(VALU_DEP_2) | instskip(SKIP_1) | instid1(VALU_DEP_1)
	v_lshlrev_b64_e32 v[98:99], v98, v[10:11]
	v_lshlrev_b32_e32 v11, 24, v10
	v_and_b32_e32 v11, 0x80000000, v11
	s_delay_alu instid0(VALU_DEP_3) | instskip(SKIP_1) | instid1(VALU_DEP_2)
	v_lshlrev_b32_e32 v98, 20, v98
	v_lshl_add_u32 v15, v15, 23, 0x3c000000
	v_and_b32_e32 v98, 0x700000, v98
	s_delay_alu instid0(VALU_DEP_1) | instskip(NEXT) | instid1(VALU_DEP_1)
	v_or3_b32 v11, v98, v11, v15
	v_cndmask_b32_e32 v15, 0x7f800001, v11, vcc_lo
.LBB2_1013:                             ;   in Loop: Header=BB2_629 Depth=2
	s_or_b32 exec_lo, exec_lo, s11
	s_delay_alu instid0(VALU_DEP_1) | instskip(NEXT) | instid1(VALU_DEP_1)
	v_dual_mul_f32 v14, v14, v15 :: v_dual_mov_b32 v99, v49
	v_and_b32_e32 v98, 0x7f800000, v14
	v_lshrrev_b32_e32 v11, 24, v14
	s_delay_alu instid0(VALU_DEP_2) | instskip(SKIP_1) | instid1(SALU_CYCLE_1)
	v_cmp_ne_u64_e32 vcc_lo, 0x7f800000, v[98:99]
                                        ; implicit-def: $vgpr98
	s_and_saveexec_b32 s10, vcc_lo
	s_xor_b32 s11, exec_lo, s10
	s_cbranch_execz .LBB2_1027
; %bb.1014:                             ;   in Loop: Header=BB2_629 Depth=2
	v_and_b32_e32 v98, 0x7fffffff, v14
	v_mov_b32_e32 v99, v49
	v_and_b32_e32 v11, 0x80, v11
	s_delay_alu instid0(VALU_DEP_2) | instskip(SKIP_1) | instid1(SALU_CYCLE_1)
	v_cmp_gt_u64_e32 vcc_lo, 0x43e00001, v[98:99]
                                        ; implicit-def: $vgpr98
	s_and_saveexec_b32 s10, vcc_lo
	s_xor_b32 s29, exec_lo, s10
	s_cbranch_execz .LBB2_1024
; %bb.1015:                             ;   in Loop: Header=BB2_629 Depth=2
	v_mov_b32_e32 v98, 0
	s_mov_b32 s40, exec_lo
	v_cmpx_ne_u32_e32 0, v14
	s_cbranch_execz .LBB2_1023
; %bb.1016:                             ;   in Loop: Header=BB2_629 Depth=2
	v_bfe_u32 v58, v14, 23, 8
	v_and_b32_e32 v98, 0x7fffff, v14
	s_mov_b32 s41, exec_lo
	s_delay_alu instid0(VALU_DEP_2) | instskip(SKIP_1) | instid1(VALU_DEP_3)
	v_sub_nc_u32_e32 v15, 0x79, v58
	v_cmp_gt_u32_e32 vcc_lo, 0x7a, v58
	v_or_b32_e32 v99, 0x800000, v98
	s_delay_alu instid0(VALU_DEP_3) | instskip(SKIP_1) | instid1(VALU_DEP_3)
	v_cndmask_b32_e32 v15, 0, v15, vcc_lo
	v_cmp_eq_u32_e32 vcc_lo, 0, v58
	v_cndmask_b32_e32 v98, v99, v98, vcc_lo
	s_delay_alu instid0(VALU_DEP_3) | instskip(NEXT) | instid1(VALU_DEP_1)
	v_cndmask_b32_e64 v59, v15, 0x78, vcc_lo
	v_dual_mov_b32 v99, v49 :: v_dual_add_nc_u32 v14, 20, v59
	v_add_nc_u32_e32 v60, 19, v59
	s_delay_alu instid0(VALU_DEP_2) | instskip(NEXT) | instid1(VALU_DEP_2)
	v_lshlrev_b64_e64 v[14:15], v14, -1
	v_lshlrev_b64_e64 v[60:61], v60, 1
	s_delay_alu instid0(VALU_DEP_2) | instskip(NEXT) | instid1(VALU_DEP_3)
	v_bfi_b32 v63, v15, 0, 0
	v_bfi_b32 v62, v14, 0, v98
	v_lshrrev_b64 v[14:15], v59, v[98:99]
	s_delay_alu instid0(VALU_DEP_1) | instskip(NEXT) | instid1(VALU_DEP_3)
	v_mov_b64_e32 v[98:99], v[14:15]
	v_cmpx_eq_u64_e64 v[62:63], v[60:61]
; %bb.1017:                             ;   in Loop: Header=BB2_629 Depth=2
	v_bfe_u32 v98, v14, 20, 1
	v_mov_b32_e32 v99, v49
	s_delay_alu instid0(VALU_DEP_1) | instskip(NEXT) | instid1(VALU_DEP_1)
	v_add_nc_u64_e32 v[98:99], v[14:15], v[98:99]
	v_add_nc_u64_e32 v[98:99], -1, v[98:99]
; %bb.1018:                             ;   in Loop: Header=BB2_629 Depth=2
	s_or_b32 exec_lo, exec_lo, s41
	v_add_nc_u32_e32 v15, 0xffffff81, v58
	v_lshrrev_b32_e32 v99, 23, v14
	s_mov_b32 s10, exec_lo
	s_delay_alu instid0(VALU_DEP_2) | instskip(NEXT) | instid1(VALU_DEP_1)
	v_cndmask_b32_e64 v15, v15, 0xffffff82, vcc_lo
	v_add3_u32 v99, v59, v15, v99
	v_and_b32_e32 v15, 0xfffff, v98
                                        ; implicit-def: $vgpr98
	s_delay_alu instid0(VALU_DEP_1) | instskip(SKIP_1) | instid1(VALU_DEP_2)
	v_dual_add_nc_u32 v58, 6, v99 :: v_dual_add_nc_u32 v14, v15, v14
	v_mov_b32_e32 v15, v49
	v_cmpx_ne_u32_e32 0, v58
	s_xor_b32 s10, exec_lo, s10
; %bb.1019:                             ;   in Loop: Header=BB2_629 Depth=2
	s_delay_alu instid0(VALU_DEP_2) | instskip(SKIP_2) | instid1(VALU_DEP_2)
	v_cmp_lt_u64_e32 vcc_lo, 0xffffff, v[14:15]
	v_add_nc_u32_e32 v98, 7, v99
	v_cndmask_b32_e64 v99, 0, 1, vcc_lo
	v_cndmask_b32_e32 v98, v58, v98, vcc_lo
	s_delay_alu instid0(VALU_DEP_2)
	v_lshrrev_b64 v[14:15], v99, v[14:15]
; %bb.1020:                             ;   in Loop: Header=BB2_629 Depth=2
	s_and_not1_saveexec_b32 s10, s10
; %bb.1021:                             ;   in Loop: Header=BB2_629 Depth=2
	s_delay_alu instid0(VALU_DEP_1)
	v_bfe_u32 v98, v14, 23, 1
; %bb.1022:                             ;   in Loop: Header=BB2_629 Depth=2
	s_or_b32 exec_lo, exec_lo, s10
	s_delay_alu instid0(VALU_DEP_2) | instskip(NEXT) | instid1(VALU_DEP_2)
	v_lshrrev_b64 v[14:15], 20, v[14:15]
	v_cmp_gt_i32_e32 vcc_lo, 16, v98
	v_min_i32_e32 v99, 15, v98
	v_cmp_eq_u32_e64 s10, 0, v98
	s_delay_alu instid0(VALU_DEP_4) | instskip(NEXT) | instid1(VALU_DEP_3)
	v_cndmask_b32_e32 v15, 0, v15, vcc_lo
	v_dual_cndmask_b32 v14, 7, v14 :: v_dual_lshlrev_b32 v99, 3, v99
	s_delay_alu instid0(VALU_DEP_1) | instskip(NEXT) | instid1(VALU_DEP_2)
	v_and_b32_e32 v99, 0xf8, v99
	v_cmp_eq_u64_e32 vcc_lo, 0, v[14:15]
	s_delay_alu instid0(VALU_DEP_2)
	v_and_or_b32 v14, v14, 7, v99
	s_and_b32 s10, s10, vcc_lo
	s_delay_alu instid0(VALU_DEP_1) | instid1(SALU_CYCLE_1)
	v_cndmask_b32_e64 v14, v14, 0, s10
	s_delay_alu instid0(VALU_DEP_1)
	v_or_b32_e32 v98, v14, v11
.LBB2_1023:                             ;   in Loop: Header=BB2_629 Depth=2
	s_or_b32 exec_lo, exec_lo, s40
                                        ; implicit-def: $vgpr11
.LBB2_1024:                             ;   in Loop: Header=BB2_629 Depth=2
	s_and_not1_saveexec_b32 s10, s29
; %bb.1025:                             ;   in Loop: Header=BB2_629 Depth=2
	v_or_b32_e32 v98, 0x7e, v11
; %bb.1026:                             ;   in Loop: Header=BB2_629 Depth=2
	s_or_b32 exec_lo, exec_lo, s10
                                        ; implicit-def: $vgpr11
.LBB2_1027:                             ;   in Loop: Header=BB2_629 Depth=2
	s_and_not1_saveexec_b32 s10, s11
; %bb.1028:                             ;   in Loop: Header=BB2_629 Depth=2
	v_or_b32_e32 v98, 0x7f, v11
; %bb.1029:                             ;   in Loop: Header=BB2_629 Depth=2
	s_or_b32 exec_lo, exec_lo, s10
	v_lshrrev_b16 v14, 8, v48
	v_mov_b32_e32 v11, 0
	s_mov_b32 s10, exec_lo
	s_delay_alu instid0(VALU_DEP_2)
	v_cmpx_ne_u16_e32 0, v14
	s_cbranch_execz .LBB2_1037
; %bb.1030:                             ;   in Loop: Header=BB2_629 Depth=2
	v_bfrev_b32_e32 v11, 1
	s_mov_b32 s11, exec_lo
	v_cmpx_ne_u16_e32 0x80, v14
	s_cbranch_execz .LBB2_1036
; %bb.1031:                             ;   in Loop: Header=BB2_629 Depth=2
	v_and_b32_e32 v14, 0xffff, v14
	v_mov_b32_e32 v11, 0x7f800001
	s_mov_b32 s29, exec_lo
	s_delay_alu instid0(VALU_DEP_2) | instskip(NEXT) | instid1(VALU_DEP_1)
	v_and_b32_e32 v99, 0x7f, v14
	v_cmpx_ne_u32_e32 0x7f, v99
	s_cbranch_execz .LBB2_1035
; %bb.1032:                             ;   in Loop: Header=BB2_629 Depth=2
	v_dual_mov_b32 v15, v49 :: v_dual_bitop2_b32 v14, 7, v14 bitop3:0x40
	v_lshrrev_b32_e32 v11, 3, v99
	s_mov_b32 s40, exec_lo
	v_cmpx_gt_u32_e32 8, v99
; %bb.1033:                             ;   in Loop: Header=BB2_629 Depth=2
	s_delay_alu instid0(VALU_DEP_3) | instskip(NEXT) | instid1(VALU_DEP_1)
	v_clz_i32_u32_e32 v11, v14
	v_min_u32_e32 v11, 32, v11
	s_delay_alu instid0(VALU_DEP_1) | instskip(NEXT) | instid1(VALU_DEP_1)
	v_subrev_nc_u32_e32 v99, 28, v11
	v_lshlrev_b64_e32 v[14:15], v99, v[14:15]
	s_delay_alu instid0(VALU_DEP_1)
	v_dual_sub_nc_u32 v11, 29, v11 :: v_dual_bitop2_b32 v14, 7, v14 bitop3:0x40
; %bb.1034:                             ;   in Loop: Header=BB2_629 Depth=2
	s_or_b32 exec_lo, exec_lo, s40
	s_delay_alu instid0(VALU_DEP_1) | instskip(NEXT) | instid1(VALU_DEP_2)
	v_dual_lshlrev_b32 v15, 16, v48 :: v_dual_lshlrev_b32 v14, 20, v14
	v_lshl_add_u32 v11, v11, 23, 0x3c000000
	s_delay_alu instid0(VALU_DEP_2) | instskip(NEXT) | instid1(VALU_DEP_1)
	v_and_b32_e32 v15, 0x80000000, v15
	v_or3_b32 v11, v14, v15, v11
.LBB2_1035:                             ;   in Loop: Header=BB2_629 Depth=2
	s_or_b32 exec_lo, exec_lo, s29
.LBB2_1036:                             ;   in Loop: Header=BB2_629 Depth=2
	s_delay_alu instid0(SALU_CYCLE_1)
	s_or_b32 exec_lo, exec_lo, s11
.LBB2_1037:                             ;   in Loop: Header=BB2_629 Depth=2
	s_delay_alu instid0(SALU_CYCLE_1) | instskip(SKIP_3) | instid1(VALU_DEP_1)
	s_or_b32 exec_lo, exec_lo, s10
	v_lshrrev_b16 v14, 8, v10
	s_mov_b32 s11, 0
	s_mov_b32 s10, exec_lo
	v_cmpx_lt_i16_e32 0x7f, v14
	s_xor_b32 s10, exec_lo, s10
	s_cbranch_execz .LBB2_1044
; %bb.1038:                             ;   in Loop: Header=BB2_629 Depth=2
	s_mov_b32 s11, -1
	s_mov_b32 s29, exec_lo
	v_cmpx_eq_u16_e32 0x80, v14
; %bb.1039:                             ;   in Loop: Header=BB2_629 Depth=2
	s_xor_b32 s11, exec_lo, -1
; %bb.1040:                             ;   in Loop: Header=BB2_629 Depth=2
	s_or_b32 exec_lo, exec_lo, s29
	s_delay_alu instid0(SALU_CYCLE_1)
	s_and_b32 s11, s11, exec_lo
	s_or_saveexec_b32 s10, s10
	v_bfrev_b32_e32 v15, 1
	s_xor_b32 exec_lo, exec_lo, s10
	s_cbranch_execnz .LBB2_1045
.LBB2_1041:                             ;   in Loop: Header=BB2_629 Depth=2
	s_or_b32 exec_lo, exec_lo, s10
	s_and_saveexec_b32 s10, s11
	s_cbranch_execnz .LBB2_1046
	s_branch .LBB2_1049
.LBB2_1042:                             ;   in Loop: Header=BB2_629 Depth=2
	s_or_saveexec_b32 s11, s11
	v_bfrev_b32_e32 v15, 1
	s_xor_b32 exec_lo, exec_lo, s11
	s_cbranch_execz .LBB2_1011
.LBB2_1043:                             ;   in Loop: Header=BB2_629 Depth=2
	v_cmp_ne_u16_e32 vcc_lo, 0, v11
	v_mov_b32_e32 v15, 0
	s_and_not1_b32 s10, s10, exec_lo
	s_and_b32 s29, vcc_lo, exec_lo
	s_delay_alu instid0(SALU_CYCLE_1)
	s_or_b32 s10, s10, s29
	s_or_b32 exec_lo, exec_lo, s11
	v_mov_b32_e32 v11, v49
	s_and_saveexec_b32 s11, s10
	s_cbranch_execnz .LBB2_1012
	s_branch .LBB2_1013
.LBB2_1044:                             ;   in Loop: Header=BB2_629 Depth=2
	s_or_saveexec_b32 s10, s10
	v_bfrev_b32_e32 v15, 1
	s_xor_b32 exec_lo, exec_lo, s10
	s_cbranch_execz .LBB2_1041
.LBB2_1045:                             ;   in Loop: Header=BB2_629 Depth=2
	v_cmp_ne_u16_e32 vcc_lo, 0, v14
	v_mov_b32_e32 v15, 0
	s_and_not1_b32 s11, s11, exec_lo
	s_and_b32 s29, vcc_lo, exec_lo
	s_delay_alu instid0(SALU_CYCLE_1)
	s_or_b32 s11, s11, s29
	s_or_b32 exec_lo, exec_lo, s10
	s_and_saveexec_b32 s10, s11
	s_cbranch_execz .LBB2_1049
.LBB2_1046:                             ;   in Loop: Header=BB2_629 Depth=2
	v_and_b32_e32 v10, 0xffff, v14
	v_mov_b32_e32 v15, 0x7f800001
	s_mov_b32 s11, exec_lo
	s_delay_alu instid0(VALU_DEP_2) | instskip(NEXT) | instid1(VALU_DEP_1)
	v_and_b32_e32 v48, 0x7f, v10
	v_cmpx_ne_u32_e32 0x7f, v48
	s_cbranch_execz .LBB2_1048
; %bb.1047:                             ;   in Loop: Header=BB2_629 Depth=2
	v_and_b32_e32 v15, 7, v10
	v_cmp_gt_u32_e32 vcc_lo, 8, v48
	s_delay_alu instid0(VALU_DEP_2) | instskip(NEXT) | instid1(VALU_DEP_1)
	v_clz_i32_u32_e32 v99, v15
	v_min_u32_e32 v99, 32, v99
	s_delay_alu instid0(VALU_DEP_1) | instskip(NEXT) | instid1(VALU_DEP_1)
	v_subrev_nc_u32_e32 v58, 28, v99
	v_lshlrev_b64_e32 v[58:59], v58, v[10:11]
	v_dual_lshrrev_b32 v10, 3, v48 :: v_dual_sub_nc_u32 v99, 29, v99
	s_delay_alu instid0(VALU_DEP_2) | instskip(NEXT) | instid1(VALU_DEP_2)
	v_and_b32_e32 v48, 7, v58
	v_dual_lshlrev_b32 v14, 24, v14 :: v_dual_cndmask_b32 v10, v10, v99, vcc_lo
	s_delay_alu instid0(VALU_DEP_2) | instskip(NEXT) | instid1(VALU_DEP_2)
	v_cndmask_b32_e32 v15, v15, v48, vcc_lo
	v_and_b32_e32 v14, 0x80000000, v14
	s_delay_alu instid0(VALU_DEP_3) | instskip(NEXT) | instid1(VALU_DEP_3)
	v_lshl_add_u32 v10, v10, 23, 0x3c000000
	v_lshlrev_b32_e32 v15, 20, v15
	s_delay_alu instid0(VALU_DEP_1)
	v_or3_b32 v15, v15, v14, v10
.LBB2_1048:                             ;   in Loop: Header=BB2_629 Depth=2
	s_or_b32 exec_lo, exec_lo, s11
.LBB2_1049:                             ;   in Loop: Header=BB2_629 Depth=2
	s_delay_alu instid0(SALU_CYCLE_1) | instskip(NEXT) | instid1(VALU_DEP_1)
	s_or_b32 exec_lo, exec_lo, s10
	v_mul_f32_e32 v10, v11, v15
                                        ; implicit-def: $vgpr99
	s_mov_b32 s10, exec_lo
	s_delay_alu instid0(VALU_DEP_1) | instskip(SKIP_1) | instid1(VALU_DEP_2)
	v_and_b32_e32 v48, 0x7f800000, v10
	v_lshrrev_b32_e32 v11, 24, v10
	v_cmpx_ne_u64_e32 0x7f800000, v[48:49]
	s_xor_b32 s11, exec_lo, s10
	s_cbranch_execz .LBB2_1063
; %bb.1050:                             ;   in Loop: Header=BB2_629 Depth=2
	v_and_b32_e32 v48, 0x7fffffff, v10
	v_and_b32_e32 v58, 0x80, v11
                                        ; implicit-def: $vgpr99
	s_mov_b32 s10, exec_lo
	s_delay_alu instid0(VALU_DEP_2)
	v_cmpx_gt_u64_e32 0x43e00001, v[48:49]
	s_xor_b32 s29, exec_lo, s10
	s_cbranch_execz .LBB2_1060
; %bb.1051:                             ;   in Loop: Header=BB2_629 Depth=2
	v_mov_b32_e32 v99, 0
	s_mov_b32 s40, exec_lo
	v_cmpx_ne_u32_e32 0, v10
	s_cbranch_execz .LBB2_1059
; %bb.1052:                             ;   in Loop: Header=BB2_629 Depth=2
	v_bfe_u32 v99, v10, 23, 8
	v_and_b32_e32 v14, 0x7fffff, v10
	s_delay_alu instid0(VALU_DEP_2) | instskip(NEXT) | instid1(VALU_DEP_2)
	v_cmp_gt_u32_e32 vcc_lo, 0x7a, v99
	v_or_b32_e32 v15, 0x800000, v14
	v_sub_nc_u32_e32 v11, 0x79, v99
	s_delay_alu instid0(VALU_DEP_1) | instskip(SKIP_1) | instid1(VALU_DEP_2)
	v_cndmask_b32_e32 v11, 0, v11, vcc_lo
	v_cmp_eq_u32_e32 vcc_lo, 0, v99
	v_cndmask_b32_e64 v59, v11, 0x78, vcc_lo
	s_delay_alu instid0(VALU_DEP_1) | instskip(SKIP_1) | instid1(VALU_DEP_2)
	v_dual_cndmask_b32 v48, v15, v14, vcc_lo :: v_dual_add_nc_u32 v10, 20, v59
	v_add_nc_u32_e32 v60, 19, v59
	v_lshlrev_b64_e64 v[10:11], v10, -1
	s_delay_alu instid0(VALU_DEP_2) | instskip(NEXT) | instid1(VALU_DEP_2)
	v_lshlrev_b64_e64 v[14:15], v60, 1
	v_bfi_b32 v61, v11, 0, 0
	s_delay_alu instid0(VALU_DEP_3) | instskip(SKIP_1) | instid1(VALU_DEP_2)
	v_bfi_b32 v60, v10, 0, v48
	v_lshrrev_b64 v[10:11], v59, v[48:49]
	v_cmp_eq_u64_e64 s10, v[60:61], v[14:15]
	s_delay_alu instid0(VALU_DEP_2)
	v_mov_b64_e32 v[14:15], v[10:11]
	s_and_saveexec_b32 s41, s10
; %bb.1053:                             ;   in Loop: Header=BB2_629 Depth=2
	v_bfe_u32 v48, v10, 20, 1
	s_delay_alu instid0(VALU_DEP_1) | instskip(NEXT) | instid1(VALU_DEP_1)
	v_add_nc_u64_e32 v[14:15], v[10:11], v[48:49]
	v_add_nc_u64_e32 v[14:15], -1, v[14:15]
; %bb.1054:                             ;   in Loop: Header=BB2_629 Depth=2
	s_or_b32 exec_lo, exec_lo, s41
	v_add_nc_u32_e32 v11, 0xffffff81, v99
	v_lshrrev_b32_e32 v15, 23, v10
	s_mov_b32 s10, exec_lo
	s_delay_alu instid0(VALU_DEP_2) | instskip(NEXT) | instid1(VALU_DEP_1)
	v_cndmask_b32_e64 v11, v11, 0xffffff82, vcc_lo
	v_add3_u32 v15, v59, v11, v15
	v_and_b32_e32 v11, 0xfffff, v14
                                        ; implicit-def: $vgpr14
	s_delay_alu instid0(VALU_DEP_1) | instskip(NEXT) | instid1(VALU_DEP_1)
	v_dual_add_nc_u32 v99, 6, v15 :: v_dual_add_nc_u32 v48, v11, v10
                                        ; implicit-def: $vgpr10_vgpr11
	v_cmpx_ne_u32_e32 0, v99
	s_xor_b32 s10, exec_lo, s10
; %bb.1055:                             ;   in Loop: Header=BB2_629 Depth=2
	s_delay_alu instid0(VALU_DEP_2) | instskip(SKIP_1) | instid1(VALU_DEP_1)
	v_cmp_lt_u64_e32 vcc_lo, 0xffffff, v[48:49]
	v_add_nc_u32_e32 v10, 7, v15
	v_cndmask_b32_e32 v14, v99, v10, vcc_lo
	v_cndmask_b32_e64 v10, 0, 1, vcc_lo
	s_delay_alu instid0(VALU_DEP_1)
	v_lshrrev_b64 v[10:11], v10, v[48:49]
; %bb.1056:                             ;   in Loop: Header=BB2_629 Depth=2
	s_and_not1_saveexec_b32 s10, s10
; %bb.1057:                             ;   in Loop: Header=BB2_629 Depth=2
	v_mov_b64_e32 v[10:11], v[48:49]
	v_bfe_u32 v14, v48, 23, 1
; %bb.1058:                             ;   in Loop: Header=BB2_629 Depth=2
	s_or_b32 exec_lo, exec_lo, s10
	s_delay_alu instid0(VALU_DEP_2) | instskip(NEXT) | instid1(VALU_DEP_2)
	v_lshrrev_b64 v[10:11], 20, v[10:11]
	v_cmp_gt_i32_e32 vcc_lo, 16, v14
	v_min_i32_e32 v15, 15, v14
	v_cmp_eq_u32_e64 s10, 0, v14
	s_delay_alu instid0(VALU_DEP_4) | instskip(NEXT) | instid1(VALU_DEP_3)
	v_cndmask_b32_e32 v11, 0, v11, vcc_lo
	v_dual_cndmask_b32 v10, 7, v10 :: v_dual_lshlrev_b32 v15, 3, v15
	s_delay_alu instid0(VALU_DEP_1) | instskip(NEXT) | instid1(VALU_DEP_2)
	v_and_b32_e32 v15, 0xf8, v15
	v_cmp_eq_u64_e32 vcc_lo, 0, v[10:11]
	s_delay_alu instid0(VALU_DEP_2)
	v_and_or_b32 v10, v10, 7, v15
	s_and_b32 s10, s10, vcc_lo
	s_delay_alu instid0(VALU_DEP_1) | instid1(SALU_CYCLE_1)
	v_cndmask_b32_e64 v10, v10, 0, s10
	s_delay_alu instid0(VALU_DEP_1)
	v_or_b32_e32 v99, v10, v58
.LBB2_1059:                             ;   in Loop: Header=BB2_629 Depth=2
	s_or_b32 exec_lo, exec_lo, s40
                                        ; implicit-def: $vgpr58
.LBB2_1060:                             ;   in Loop: Header=BB2_629 Depth=2
	s_and_not1_saveexec_b32 s10, s29
; %bb.1061:                             ;   in Loop: Header=BB2_629 Depth=2
	v_or_b32_e32 v99, 0x7e, v58
; %bb.1062:                             ;   in Loop: Header=BB2_629 Depth=2
	s_or_b32 exec_lo, exec_lo, s10
                                        ; implicit-def: $vgpr11
.LBB2_1063:                             ;   in Loop: Header=BB2_629 Depth=2
	s_and_not1_saveexec_b32 s10, s11
; %bb.1064:                             ;   in Loop: Header=BB2_629 Depth=2
	v_or_b32_e32 v99, 0x7f, v11
; %bb.1065:                             ;   in Loop: Header=BB2_629 Depth=2
	s_or_b32 exec_lo, exec_lo, s10
	v_dual_mov_b32 v11, 0 :: v_dual_lshrrev_b32 v10, 16, v17
	s_mov_b32 s10, exec_lo
	s_delay_alu instid0(VALU_DEP_1) | instskip(NEXT) | instid1(VALU_DEP_1)
	v_and_b32_e32 v14, 0xff, v10
	v_cmpx_ne_u16_e32 0, v14
	s_cbranch_execz .LBB2_1073
; %bb.1066:                             ;   in Loop: Header=BB2_629 Depth=2
	v_bfrev_b32_e32 v11, 1
	s_mov_b32 s11, exec_lo
	v_cmpx_ne_u16_e32 0x80, v14
	s_cbranch_execz .LBB2_1072
; %bb.1067:                             ;   in Loop: Header=BB2_629 Depth=2
	v_bfe_u32 v14, v17, 16, 7
	v_mov_b32_e32 v11, 0x7f800001
	s_mov_b32 s29, exec_lo
	s_delay_alu instid0(VALU_DEP_2)
	v_cmpx_ne_u32_e32 0x7f, v14
	s_cbranch_execz .LBB2_1071
; %bb.1068:                             ;   in Loop: Header=BB2_629 Depth=2
	v_and_b32_e32 v48, 7, v10
	v_lshrrev_b32_e32 v11, 3, v14
	s_mov_b32 s40, exec_lo
	v_cmpx_gt_u32_e32 8, v14
; %bb.1069:                             ;   in Loop: Header=BB2_629 Depth=2
	s_delay_alu instid0(VALU_DEP_3) | instskip(NEXT) | instid1(VALU_DEP_1)
	v_clz_i32_u32_e32 v11, v48
	v_min_u32_e32 v11, 32, v11
	s_delay_alu instid0(VALU_DEP_1) | instskip(NEXT) | instid1(VALU_DEP_1)
	v_subrev_nc_u32_e32 v14, 28, v11
	v_lshlrev_b64_e32 v[14:15], v14, v[48:49]
	s_delay_alu instid0(VALU_DEP_1)
	v_dual_sub_nc_u32 v11, 29, v11 :: v_dual_bitop2_b32 v48, 7, v14 bitop3:0x40
; %bb.1070:                             ;   in Loop: Header=BB2_629 Depth=2
	s_or_b32 exec_lo, exec_lo, s40
	s_delay_alu instid0(VALU_DEP_1) | instskip(NEXT) | instid1(VALU_DEP_2)
	v_dual_lshlrev_b32 v10, 24, v10 :: v_dual_lshlrev_b32 v14, 20, v48
	v_lshl_add_u32 v11, v11, 23, 0x3c000000
	s_delay_alu instid0(VALU_DEP_2) | instskip(NEXT) | instid1(VALU_DEP_1)
	v_and_b32_e32 v10, 0x80000000, v10
	v_or3_b32 v11, v14, v10, v11
.LBB2_1071:                             ;   in Loop: Header=BB2_629 Depth=2
	s_or_b32 exec_lo, exec_lo, s29
.LBB2_1072:                             ;   in Loop: Header=BB2_629 Depth=2
	s_delay_alu instid0(SALU_CYCLE_1)
	s_or_b32 exec_lo, exec_lo, s11
.LBB2_1073:                             ;   in Loop: Header=BB2_629 Depth=2
	s_delay_alu instid0(SALU_CYCLE_1) | instskip(SKIP_3) | instid1(VALU_DEP_1)
	s_or_b32 exec_lo, exec_lo, s10
	v_lshrrev_b32_e32 v10, 16, v13
	s_mov_b32 s11, 0
	s_mov_b32 s10, exec_lo
	v_and_b32_e32 v15, 0xff, v10
	s_delay_alu instid0(VALU_DEP_1)
	v_cmpx_lt_i16_e32 0x7f, v15
	s_xor_b32 s10, exec_lo, s10
	s_cbranch_execz .LBB2_1078
; %bb.1074:                             ;   in Loop: Header=BB2_629 Depth=2
	s_mov_b32 s11, -1
	s_mov_b32 s29, exec_lo
	v_cmpx_eq_u16_e32 0x80, v15
; %bb.1075:                             ;   in Loop: Header=BB2_629 Depth=2
	s_xor_b32 s11, exec_lo, -1
; %bb.1076:                             ;   in Loop: Header=BB2_629 Depth=2
	s_or_b32 exec_lo, exec_lo, s29
	s_delay_alu instid0(SALU_CYCLE_1)
	s_and_b32 s11, s11, exec_lo
                                        ; implicit-def: $vgpr15
	s_or_saveexec_b32 s10, s10
	v_bfrev_b32_e32 v14, 1
	s_xor_b32 exec_lo, exec_lo, s10
	s_cbranch_execnz .LBB2_1079
.LBB2_1077:                             ;   in Loop: Header=BB2_629 Depth=2
	s_or_b32 exec_lo, exec_lo, s10
	s_and_saveexec_b32 s10, s11
	s_cbranch_execnz .LBB2_1080
	s_branch .LBB2_1083
.LBB2_1078:                             ;   in Loop: Header=BB2_629 Depth=2
	s_or_saveexec_b32 s10, s10
	v_bfrev_b32_e32 v14, 1
	s_xor_b32 exec_lo, exec_lo, s10
	s_cbranch_execz .LBB2_1077
.LBB2_1079:                             ;   in Loop: Header=BB2_629 Depth=2
	v_cmp_ne_u16_e32 vcc_lo, 0, v15
	v_mov_b32_e32 v14, 0
	s_and_not1_b32 s11, s11, exec_lo
	s_and_b32 s29, vcc_lo, exec_lo
	s_delay_alu instid0(SALU_CYCLE_1)
	s_or_b32 s11, s11, s29
	s_or_b32 exec_lo, exec_lo, s10
	s_and_saveexec_b32 s10, s11
	s_cbranch_execz .LBB2_1083
.LBB2_1080:                             ;   in Loop: Header=BB2_629 Depth=2
	v_and_b32_e32 v15, 0x7f, v10
	v_mov_b32_e32 v14, 0x7f800001
	s_mov_b32 s11, exec_lo
	s_delay_alu instid0(VALU_DEP_2)
	v_cmpx_ne_u32_e32 0x7f, v15
	s_cbranch_execz .LBB2_1082
; %bb.1081:                             ;   in Loop: Header=BB2_629 Depth=2
	v_and_b32_e32 v14, 7, v10
	v_cmp_gt_u32_e32 vcc_lo, 8, v15
	s_delay_alu instid0(VALU_DEP_2) | instskip(NEXT) | instid1(VALU_DEP_1)
	v_clz_i32_u32_e32 v48, v14
	v_min_u32_e32 v48, 32, v48
	s_delay_alu instid0(VALU_DEP_1) | instskip(NEXT) | instid1(VALU_DEP_1)
	v_subrev_nc_u32_e32 v58, 28, v48
	v_lshlrev_b64_e32 v[58:59], v58, v[10:11]
	v_dual_lshrrev_b32 v59, 3, v15 :: v_dual_sub_nc_u32 v48, 29, v48
	s_delay_alu instid0(VALU_DEP_2) | instskip(NEXT) | instid1(VALU_DEP_2)
	v_and_b32_e32 v15, 7, v58
	v_dual_lshlrev_b32 v10, 24, v10 :: v_dual_cndmask_b32 v48, v59, v48, vcc_lo
	s_delay_alu instid0(VALU_DEP_2) | instskip(NEXT) | instid1(VALU_DEP_2)
	v_cndmask_b32_e32 v14, v14, v15, vcc_lo
	v_and_b32_e32 v10, 0x80000000, v10
	s_delay_alu instid0(VALU_DEP_3) | instskip(NEXT) | instid1(VALU_DEP_3)
	v_lshl_add_u32 v15, v48, 23, 0x3c000000
	v_lshlrev_b32_e32 v14, 20, v14
	s_delay_alu instid0(VALU_DEP_1)
	v_or3_b32 v14, v14, v10, v15
.LBB2_1082:                             ;   in Loop: Header=BB2_629 Depth=2
	s_or_b32 exec_lo, exec_lo, s11
.LBB2_1083:                             ;   in Loop: Header=BB2_629 Depth=2
	s_delay_alu instid0(SALU_CYCLE_1) | instskip(NEXT) | instid1(VALU_DEP_1)
	s_or_b32 exec_lo, exec_lo, s10
	v_mul_f32_e32 v10, v11, v14
                                        ; implicit-def: $vgpr14
	s_mov_b32 s10, exec_lo
	s_delay_alu instid0(VALU_DEP_1) | instskip(SKIP_1) | instid1(VALU_DEP_2)
	v_and_b32_e32 v48, 0x7f800000, v10
	v_lshrrev_b32_e32 v11, 24, v10
	v_cmpx_ne_u64_e32 0x7f800000, v[48:49]
	s_xor_b32 s11, exec_lo, s10
	s_cbranch_execz .LBB2_1097
; %bb.1084:                             ;   in Loop: Header=BB2_629 Depth=2
	v_and_b32_e32 v48, 0x7fffffff, v10
	v_and_b32_e32 v58, 0x80, v11
                                        ; implicit-def: $vgpr14
	s_mov_b32 s10, exec_lo
	s_delay_alu instid0(VALU_DEP_2)
	v_cmpx_gt_u64_e32 0x43e00001, v[48:49]
	s_xor_b32 s29, exec_lo, s10
	s_cbranch_execz .LBB2_1094
; %bb.1085:                             ;   in Loop: Header=BB2_629 Depth=2
	v_mov_b32_e32 v14, 0
	s_mov_b32 s40, exec_lo
	v_cmpx_ne_u32_e32 0, v10
	s_cbranch_execz .LBB2_1093
; %bb.1086:                             ;   in Loop: Header=BB2_629 Depth=2
	v_bfe_u32 v59, v10, 23, 8
	v_and_b32_e32 v14, 0x7fffff, v10
	s_delay_alu instid0(VALU_DEP_2) | instskip(NEXT) | instid1(VALU_DEP_2)
	v_cmp_gt_u32_e32 vcc_lo, 0x7a, v59
	v_or_b32_e32 v15, 0x800000, v14
	v_sub_nc_u32_e32 v11, 0x79, v59
	s_delay_alu instid0(VALU_DEP_1) | instskip(SKIP_1) | instid1(VALU_DEP_2)
	v_cndmask_b32_e32 v11, 0, v11, vcc_lo
	v_cmp_eq_u32_e32 vcc_lo, 0, v59
	v_cndmask_b32_e64 v60, v11, 0x78, vcc_lo
	s_delay_alu instid0(VALU_DEP_1) | instskip(SKIP_1) | instid1(VALU_DEP_2)
	v_dual_cndmask_b32 v48, v15, v14, vcc_lo :: v_dual_add_nc_u32 v10, 20, v60
	v_add_nc_u32_e32 v61, 19, v60
	v_lshlrev_b64_e64 v[10:11], v10, -1
	s_delay_alu instid0(VALU_DEP_2) | instskip(NEXT) | instid1(VALU_DEP_2)
	v_lshlrev_b64_e64 v[14:15], v61, 1
	v_bfi_b32 v63, v11, 0, 0
	s_delay_alu instid0(VALU_DEP_3) | instskip(SKIP_1) | instid1(VALU_DEP_2)
	v_bfi_b32 v62, v10, 0, v48
	v_lshrrev_b64 v[10:11], v60, v[48:49]
	v_cmp_eq_u64_e64 s10, v[62:63], v[14:15]
	s_delay_alu instid0(VALU_DEP_2)
	v_mov_b64_e32 v[14:15], v[10:11]
	s_and_saveexec_b32 s41, s10
; %bb.1087:                             ;   in Loop: Header=BB2_629 Depth=2
	v_bfe_u32 v48, v10, 20, 1
	s_delay_alu instid0(VALU_DEP_1) | instskip(NEXT) | instid1(VALU_DEP_1)
	v_add_nc_u64_e32 v[14:15], v[10:11], v[48:49]
	v_add_nc_u64_e32 v[14:15], -1, v[14:15]
; %bb.1088:                             ;   in Loop: Header=BB2_629 Depth=2
	s_or_b32 exec_lo, exec_lo, s41
	v_add_nc_u32_e32 v11, 0xffffff81, v59
	v_lshrrev_b32_e32 v15, 23, v10
	s_mov_b32 s10, exec_lo
	s_delay_alu instid0(VALU_DEP_2) | instskip(NEXT) | instid1(VALU_DEP_1)
	v_cndmask_b32_e64 v11, v11, 0xffffff82, vcc_lo
	v_add3_u32 v15, v60, v11, v15
	v_and_b32_e32 v11, 0xfffff, v14
                                        ; implicit-def: $vgpr14
	s_delay_alu instid0(VALU_DEP_1) | instskip(NEXT) | instid1(VALU_DEP_1)
	v_dual_add_nc_u32 v59, 6, v15 :: v_dual_add_nc_u32 v48, v11, v10
                                        ; implicit-def: $vgpr10_vgpr11
	v_cmpx_ne_u32_e32 0, v59
	s_xor_b32 s10, exec_lo, s10
; %bb.1089:                             ;   in Loop: Header=BB2_629 Depth=2
	s_delay_alu instid0(VALU_DEP_2) | instskip(SKIP_1) | instid1(VALU_DEP_1)
	v_cmp_lt_u64_e32 vcc_lo, 0xffffff, v[48:49]
	v_add_nc_u32_e32 v10, 7, v15
	v_cndmask_b32_e32 v14, v59, v10, vcc_lo
	v_cndmask_b32_e64 v10, 0, 1, vcc_lo
	s_delay_alu instid0(VALU_DEP_1)
	v_lshrrev_b64 v[10:11], v10, v[48:49]
; %bb.1090:                             ;   in Loop: Header=BB2_629 Depth=2
	s_and_not1_saveexec_b32 s10, s10
; %bb.1091:                             ;   in Loop: Header=BB2_629 Depth=2
	v_mov_b64_e32 v[10:11], v[48:49]
	v_bfe_u32 v14, v48, 23, 1
; %bb.1092:                             ;   in Loop: Header=BB2_629 Depth=2
	s_or_b32 exec_lo, exec_lo, s10
	s_delay_alu instid0(VALU_DEP_2) | instskip(NEXT) | instid1(VALU_DEP_2)
	v_lshrrev_b64 v[10:11], 20, v[10:11]
	v_cmp_gt_i32_e32 vcc_lo, 16, v14
	v_min_i32_e32 v15, 15, v14
	v_cmp_eq_u32_e64 s10, 0, v14
	s_delay_alu instid0(VALU_DEP_4) | instskip(NEXT) | instid1(VALU_DEP_3)
	v_cndmask_b32_e32 v11, 0, v11, vcc_lo
	v_dual_cndmask_b32 v10, 7, v10 :: v_dual_lshlrev_b32 v15, 3, v15
	s_delay_alu instid0(VALU_DEP_1) | instskip(NEXT) | instid1(VALU_DEP_2)
	v_and_b32_e32 v15, 0xf8, v15
	v_cmp_eq_u64_e32 vcc_lo, 0, v[10:11]
	s_delay_alu instid0(VALU_DEP_2)
	v_and_or_b32 v10, v10, 7, v15
	s_and_b32 s10, s10, vcc_lo
	s_delay_alu instid0(VALU_DEP_1) | instid1(SALU_CYCLE_1)
	v_cndmask_b32_e64 v10, v10, 0, s10
	s_delay_alu instid0(VALU_DEP_1)
	v_or_b32_e32 v14, v10, v58
.LBB2_1093:                             ;   in Loop: Header=BB2_629 Depth=2
	s_or_b32 exec_lo, exec_lo, s40
                                        ; implicit-def: $vgpr58
.LBB2_1094:                             ;   in Loop: Header=BB2_629 Depth=2
	s_and_not1_saveexec_b32 s10, s29
; %bb.1095:                             ;   in Loop: Header=BB2_629 Depth=2
	v_or_b32_e32 v14, 0x7e, v58
; %bb.1096:                             ;   in Loop: Header=BB2_629 Depth=2
	s_or_b32 exec_lo, exec_lo, s10
                                        ; implicit-def: $vgpr11
.LBB2_1097:                             ;   in Loop: Header=BB2_629 Depth=2
	s_and_not1_saveexec_b32 s10, s11
; %bb.1098:                             ;   in Loop: Header=BB2_629 Depth=2
	v_or_b32_e32 v14, 0x7f, v11
; %bb.1099:                             ;   in Loop: Header=BB2_629 Depth=2
	s_or_b32 exec_lo, exec_lo, s10
	v_mov_b32_e32 v11, 0
	s_mov_b32 s10, exec_lo
	v_cmpx_lt_u64_e64 s[14:15], v[16:17]
	s_cbranch_execz .LBB2_1107
; %bb.1100:                             ;   in Loop: Header=BB2_629 Depth=2
	v_lshrrev_b32_e32 v10, 24, v17
	v_bfrev_b32_e32 v11, 1
	s_mov_b32 s11, exec_lo
	s_delay_alu instid0(VALU_DEP_2)
	v_cmpx_ne_u32_e32 0x80, v10
	s_cbranch_execz .LBB2_1106
; %bb.1101:                             ;   in Loop: Header=BB2_629 Depth=2
	v_bfe_u32 v15, v17, 24, 7
	v_mov_b32_e32 v11, 0x7f800001
	s_mov_b32 s29, exec_lo
	s_delay_alu instid0(VALU_DEP_2)
	v_cmpx_ne_u32_e32 0x7f, v15
	s_cbranch_execz .LBB2_1105
; %bb.1102:                             ;   in Loop: Header=BB2_629 Depth=2
	v_dual_lshrrev_b32 v11, 3, v15 :: v_dual_bitop2_b32 v48, 7, v10 bitop3:0x40
	s_mov_b32 s40, exec_lo
	v_cmpx_gt_u32_e32 8, v15
; %bb.1103:                             ;   in Loop: Header=BB2_629 Depth=2
	s_delay_alu instid0(VALU_DEP_2) | instskip(NEXT) | instid1(VALU_DEP_1)
	v_clz_i32_u32_e32 v11, v48
	v_min_u32_e32 v11, 32, v11
	s_delay_alu instid0(VALU_DEP_1) | instskip(NEXT) | instid1(VALU_DEP_1)
	v_subrev_nc_u32_e32 v15, 28, v11
	v_lshlrev_b64_e32 v[16:17], v15, v[48:49]
	s_delay_alu instid0(VALU_DEP_1)
	v_dual_sub_nc_u32 v11, 29, v11 :: v_dual_bitop2_b32 v48, 7, v16 bitop3:0x40
; %bb.1104:                             ;   in Loop: Header=BB2_629 Depth=2
	s_or_b32 exec_lo, exec_lo, s40
	s_delay_alu instid0(VALU_DEP_1) | instskip(NEXT) | instid1(VALU_DEP_2)
	v_dual_lshlrev_b32 v10, 24, v10 :: v_dual_lshlrev_b32 v15, 20, v48
	v_lshl_add_u32 v11, v11, 23, 0x3c000000
	s_delay_alu instid0(VALU_DEP_2) | instskip(NEXT) | instid1(VALU_DEP_1)
	v_and_b32_e32 v10, 0x80000000, v10
	v_or3_b32 v11, v15, v10, v11
.LBB2_1105:                             ;   in Loop: Header=BB2_629 Depth=2
	s_or_b32 exec_lo, exec_lo, s29
.LBB2_1106:                             ;   in Loop: Header=BB2_629 Depth=2
	s_delay_alu instid0(SALU_CYCLE_1)
	s_or_b32 exec_lo, exec_lo, s11
.LBB2_1107:                             ;   in Loop: Header=BB2_629 Depth=2
	s_delay_alu instid0(SALU_CYCLE_1) | instskip(SKIP_3) | instid1(VALU_DEP_3)
	s_or_b32 exec_lo, exec_lo, s10
	v_lshrrev_b32_e32 v10, 24, v13
	v_bfe_u32 v15, v13, 24, 7
	v_cmp_gt_u64_e64 s11, s[16:17], v[12:13]
	v_cmp_eq_u32_e64 s10, 0x80, v10
	s_delay_alu instid0(VALU_DEP_3) | instskip(NEXT) | instid1(VALU_DEP_2)
	v_cmp_eq_u32_e32 vcc_lo, 0x7f, v15
	v_cndmask_b32_e64 v16, 0x7f800001, v118, s10
	s_or_b32 s10, s10, vcc_lo
	s_delay_alu instid0(VALU_DEP_1) | instskip(SKIP_1) | instid1(SALU_CYCLE_1)
	v_cndmask_b32_e64 v12, v16, 0, s11
	s_nor_b32 s11, s11, s10
	s_and_saveexec_b32 s10, s11
	s_cbranch_execz .LBB2_1109
; %bb.1108:                             ;   in Loop: Header=BB2_629 Depth=2
	v_and_b32_e32 v16, 7, v10
	v_cmp_gt_u32_e32 vcc_lo, 8, v15
	s_delay_alu instid0(VALU_DEP_2) | instskip(NEXT) | instid1(VALU_DEP_1)
	v_clz_i32_u32_e32 v12, v16
	v_min_u32_e32 v17, 32, v12
	s_delay_alu instid0(VALU_DEP_1) | instskip(NEXT) | instid1(VALU_DEP_1)
	v_subrev_nc_u32_e32 v12, 28, v17
	v_lshlrev_b64_e32 v[12:13], v12, v[10:11]
	v_dual_lshrrev_b32 v13, 3, v15 :: v_dual_sub_nc_u32 v17, 29, v17
	s_delay_alu instid0(VALU_DEP_2) | instskip(NEXT) | instid1(VALU_DEP_1)
	v_dual_lshlrev_b32 v10, 24, v10 :: v_dual_bitop2_b32 v12, 7, v12 bitop3:0x40
	v_dual_cndmask_b32 v13, v13, v17 :: v_dual_cndmask_b32 v12, v16, v12
	s_delay_alu instid0(VALU_DEP_2) | instskip(NEXT) | instid1(VALU_DEP_2)
	v_and_b32_e32 v10, 0x80000000, v10
	v_lshl_add_u32 v13, v13, 23, 0x3c000000
	s_delay_alu instid0(VALU_DEP_3) | instskip(NEXT) | instid1(VALU_DEP_1)
	v_lshlrev_b32_e32 v12, 20, v12
	v_or3_b32 v12, v12, v10, v13
.LBB2_1109:                             ;   in Loop: Header=BB2_629 Depth=2
	s_or_b32 exec_lo, exec_lo, s10
	s_delay_alu instid0(VALU_DEP_1) | instskip(SKIP_1) | instid1(VALU_DEP_1)
	v_mul_f32_e32 v11, v11, v12
                                        ; implicit-def: $vgpr10
	s_mov_b32 s10, exec_lo
	v_and_b32_e32 v48, 0x7f800000, v11
	v_lshrrev_b32_e32 v12, 24, v11
	s_delay_alu instid0(VALU_DEP_2)
	v_cmpx_ne_u64_e32 0x7f800000, v[48:49]
	s_xor_b32 s11, exec_lo, s10
	s_cbranch_execz .LBB2_1123
; %bb.1110:                             ;   in Loop: Header=BB2_629 Depth=2
	v_and_b32_e32 v48, 0x7fffffff, v11
	v_and_b32_e32 v15, 0x80, v12
                                        ; implicit-def: $vgpr10
	s_mov_b32 s10, exec_lo
	s_delay_alu instid0(VALU_DEP_2)
	v_cmpx_gt_u64_e32 0x43e00001, v[48:49]
	s_xor_b32 s29, exec_lo, s10
	s_cbranch_execz .LBB2_1120
; %bb.1111:                             ;   in Loop: Header=BB2_629 Depth=2
	v_mov_b32_e32 v10, 0
	s_mov_b32 s40, exec_lo
	v_cmpx_ne_u32_e32 0, v11
	s_cbranch_execz .LBB2_1119
; %bb.1112:                             ;   in Loop: Header=BB2_629 Depth=2
	v_bfe_u32 v16, v11, 23, 8
	v_and_b32_e32 v12, 0x7fffff, v11
	s_delay_alu instid0(VALU_DEP_2) | instskip(SKIP_1) | instid1(VALU_DEP_3)
	v_sub_nc_u32_e32 v10, 0x79, v16
	v_cmp_gt_u32_e32 vcc_lo, 0x7a, v16
	v_or_b32_e32 v13, 0x800000, v12
	s_delay_alu instid0(VALU_DEP_3) | instskip(SKIP_1) | instid1(VALU_DEP_2)
	v_cndmask_b32_e32 v10, 0, v10, vcc_lo
	v_cmp_eq_u32_e32 vcc_lo, 0, v16
	v_cndmask_b32_e64 v17, v10, 0x78, vcc_lo
	s_delay_alu instid0(VALU_DEP_1) | instskip(SKIP_1) | instid1(VALU_DEP_2)
	v_dual_cndmask_b32 v48, v13, v12, vcc_lo :: v_dual_add_nc_u32 v10, 20, v17
	v_add_nc_u32_e32 v58, 19, v17
	v_lshlrev_b64_e64 v[10:11], v10, -1
	s_delay_alu instid0(VALU_DEP_2) | instskip(NEXT) | instid1(VALU_DEP_2)
	v_lshlrev_b64_e64 v[12:13], v58, 1
	v_bfi_b32 v59, v11, 0, 0
	s_delay_alu instid0(VALU_DEP_3) | instskip(SKIP_1) | instid1(VALU_DEP_2)
	v_bfi_b32 v58, v10, 0, v48
	v_lshrrev_b64 v[10:11], v17, v[48:49]
	v_cmp_eq_u64_e64 s10, v[58:59], v[12:13]
	s_delay_alu instid0(VALU_DEP_2)
	v_mov_b64_e32 v[12:13], v[10:11]
	s_and_saveexec_b32 s41, s10
; %bb.1113:                             ;   in Loop: Header=BB2_629 Depth=2
	v_bfe_u32 v48, v10, 20, 1
	s_delay_alu instid0(VALU_DEP_1) | instskip(NEXT) | instid1(VALU_DEP_1)
	v_add_nc_u64_e32 v[12:13], v[10:11], v[48:49]
	v_add_nc_u64_e32 v[12:13], -1, v[12:13]
; %bb.1114:                             ;   in Loop: Header=BB2_629 Depth=2
	s_or_b32 exec_lo, exec_lo, s41
	v_add_nc_u32_e32 v11, 0xffffff81, v16
	v_lshrrev_b32_e32 v13, 23, v10
	s_mov_b32 s10, exec_lo
	s_delay_alu instid0(VALU_DEP_2) | instskip(NEXT) | instid1(VALU_DEP_1)
	v_cndmask_b32_e64 v11, v11, 0xffffff82, vcc_lo
	v_add3_u32 v13, v17, v11, v13
	v_and_b32_e32 v11, 0xfffff, v12
                                        ; implicit-def: $vgpr12
	s_delay_alu instid0(VALU_DEP_1) | instskip(NEXT) | instid1(VALU_DEP_1)
	v_dual_add_nc_u32 v16, 6, v13 :: v_dual_add_nc_u32 v48, v11, v10
                                        ; implicit-def: $vgpr10_vgpr11
	v_cmpx_ne_u32_e32 0, v16
	s_xor_b32 s10, exec_lo, s10
; %bb.1115:                             ;   in Loop: Header=BB2_629 Depth=2
	s_delay_alu instid0(VALU_DEP_2) | instskip(SKIP_1) | instid1(VALU_DEP_1)
	v_cmp_lt_u64_e32 vcc_lo, 0xffffff, v[48:49]
	v_add_nc_u32_e32 v10, 7, v13
	v_cndmask_b32_e32 v12, v16, v10, vcc_lo
	v_cndmask_b32_e64 v10, 0, 1, vcc_lo
	s_delay_alu instid0(VALU_DEP_1)
	v_lshrrev_b64 v[10:11], v10, v[48:49]
; %bb.1116:                             ;   in Loop: Header=BB2_629 Depth=2
	s_and_not1_saveexec_b32 s10, s10
; %bb.1117:                             ;   in Loop: Header=BB2_629 Depth=2
	v_mov_b64_e32 v[10:11], v[48:49]
	v_bfe_u32 v12, v48, 23, 1
; %bb.1118:                             ;   in Loop: Header=BB2_629 Depth=2
	s_or_b32 exec_lo, exec_lo, s10
	s_delay_alu instid0(VALU_DEP_2) | instskip(NEXT) | instid1(VALU_DEP_2)
	v_lshrrev_b64 v[10:11], 20, v[10:11]
	v_cmp_gt_i32_e32 vcc_lo, 16, v12
	v_min_i32_e32 v13, 15, v12
	v_cmp_eq_u32_e64 s10, 0, v12
	s_delay_alu instid0(VALU_DEP_2) | instskip(SKIP_1) | instid1(VALU_DEP_2)
	v_dual_cndmask_b32 v11, 0, v11, vcc_lo :: v_dual_lshlrev_b32 v13, 3, v13
	v_cndmask_b32_e32 v10, 7, v10, vcc_lo
	v_and_b32_e32 v13, 0xf8, v13
	s_delay_alu instid0(VALU_DEP_2) | instskip(NEXT) | instid1(VALU_DEP_2)
	v_cmp_eq_u64_e32 vcc_lo, 0, v[10:11]
	v_and_or_b32 v10, v10, 7, v13
	s_and_b32 s10, s10, vcc_lo
	s_delay_alu instid0(VALU_DEP_1) | instid1(SALU_CYCLE_1)
	v_cndmask_b32_e64 v10, v10, 0, s10
	s_delay_alu instid0(VALU_DEP_1)
	v_or_b32_e32 v10, v10, v15
.LBB2_1119:                             ;   in Loop: Header=BB2_629 Depth=2
	s_or_b32 exec_lo, exec_lo, s40
                                        ; implicit-def: $vgpr15
.LBB2_1120:                             ;   in Loop: Header=BB2_629 Depth=2
	s_and_not1_saveexec_b32 s10, s29
; %bb.1121:                             ;   in Loop: Header=BB2_629 Depth=2
	v_or_b32_e32 v10, 0x7e, v15
; %bb.1122:                             ;   in Loop: Header=BB2_629 Depth=2
	s_or_b32 exec_lo, exec_lo, s10
                                        ; implicit-def: $vgpr12
.LBB2_1123:                             ;   in Loop: Header=BB2_629 Depth=2
	s_and_not1_saveexec_b32 s10, s11
	s_cbranch_execz .LBB2_628
; %bb.1124:                             ;   in Loop: Header=BB2_629 Depth=2
	v_or_b32_e32 v10, 0x7f, v12
	s_branch .LBB2_628
.LBB2_1125:                             ;   in Loop: Header=BB2_49 Depth=1
	s_or_b32 exec_lo, exec_lo, s28
.LBB2_1126:                             ;   in Loop: Header=BB2_49 Depth=1
	s_delay_alu instid0(SALU_CYCLE_1) | instskip(SKIP_3) | instid1(VALU_DEP_1)
	s_or_b32 exec_lo, exec_lo, s27
	v_cmp_lt_i32_e32 vcc_lo, 0, v41
	s_mov_b32 s27, exec_lo
	v_cndmask_b32_e32 v10, 0, v38, vcc_lo
	v_sub_nc_u32_e32 v10, v10, v41
	s_delay_alu instid0(VALU_DEP_1)
	v_lshl_add_u32 v30, v10, 5, v40
.LBB2_1127:                             ;   in Loop: Header=BB2_49 Depth=1
	s_or_b32 exec_lo, exec_lo, s12
	s_and_saveexec_b32 s11, s27
	s_cbranch_execz .LBB2_1460
.LBB2_1128:                             ;   in Loop: Header=BB2_49 Depth=1
	s_delay_alu instid0(VALU_DEP_1) | instskip(SKIP_1) | instid1(VALU_DEP_1)
	v_dual_ashrrev_i32 v10, 31, v30 :: v_dual_lshrrev_b32 v11, 8, v119
	s_mov_b32 s12, exec_lo
	v_lshrrev_b32_e32 v10, 27, v10
	s_delay_alu instid0(VALU_DEP_1) | instskip(NEXT) | instid1(VALU_DEP_1)
	v_add_nc_u32_e32 v10, v30, v10
	v_ashrrev_i32_e32 v84, 5, v10
	s_delay_alu instid0(VALU_DEP_1) | instskip(NEXT) | instid1(VALU_DEP_1)
	v_sub_nc_u32_e32 v85, v11, v84
	v_cmpx_lt_i32_e32 0, v85
	s_cbranch_execz .LBB2_1420
; %bb.1129:                             ;   in Loop: Header=BB2_49 Depth=1
	v_and_b32_e32 v10, 0xffffffe0, v10
	s_trap 2
	ds_load_b64 v[12:13], v0
	v_lshlrev_b32_e32 v11, 8, v84
	v_add_nc_u64_e32 v[16:17], 0xe0, v[82:83]
	v_sub_nc_u32_e32 v10, v30, v10
	s_mov_b32 s27, 0
	s_delay_alu instid0(VALU_DEP_1) | instskip(NEXT) | instid1(VALU_DEP_1)
	v_add3_u32 v14, v71, v10, v11
	v_ashrrev_i32_e32 v15, 31, v14
	s_delay_alu instid0(VALU_DEP_1)
	v_add_nc_u64_e32 v[10:11], v[14:15], v[80:81]
	s_wait_dscnt 0x0
	v_add_nc_u64_e32 v[12:13], v[12:13], v[14:15]
	v_add_nc_u64_e32 v[14:15], v[16:17], v[14:15]
	s_branch .LBB2_1131
.LBB2_1130:                             ;   in Loop: Header=BB2_1131 Depth=2
	s_or_b32 exec_lo, exec_lo, s10
	v_sub_nc_u32_e32 v85, v85, v38
	s_clause 0x7
	flat_store_b8 v[14:15], v83 offset:-224 th:TH_STORE_NT
	flat_store_b8 v[14:15], v96 offset:-192 th:TH_STORE_NT
	;; [unrolled: 1-line block ×7, first 2 shown]
	flat_store_b8 v[14:15], v17 th:TH_STORE_NT
	v_add_nc_u64_e32 v[10:11], v[10:11], v[54:55]
	v_add_nc_u64_e32 v[12:13], v[12:13], v[54:55]
	s_wait_xcnt 0x0
	v_add_nc_u64_e32 v[14:15], v[14:15], v[54:55]
	v_cmp_gt_i32_e32 vcc_lo, 1, v85
	s_or_b32 s27, vcc_lo, s27
	s_delay_alu instid0(SALU_CYCLE_1)
	s_and_not1_b32 exec_lo, exec_lo, s27
	s_cbranch_execz .LBB2_1419
.LBB2_1131:                             ;   Parent Loop BB2_49 Depth=1
                                        ; =>  This Inner Loop Header: Depth=2
	s_clause 0x7
	flat_load_u8 v81, v[10:11] th:TH_LOAD_NT
	flat_load_u8 v42, v[10:11] offset:32 th:TH_LOAD_NT
	flat_load_u8 v41, v[10:11] offset:64 th:TH_LOAD_NT
	;; [unrolled: 1-line block ×7, first 2 shown]
	s_clause 0x7
	flat_load_u8 v16, v[12:13] th:TH_LOAD_NT
	flat_load_u8 v96, v[12:13] offset:32 th:TH_LOAD_NT
	flat_load_u8 v99, v[12:13] offset:64 th:TH_LOAD_NT
	;; [unrolled: 1-line block ×7, first 2 shown]
	v_dual_mov_b32 v17, 0 :: v_dual_mov_b32 v80, 0
	s_mov_b32 s10, exec_lo
	s_wait_loadcnt_dscnt 0xf0f
	s_wait_xcnt 0x0
	v_cmpx_ne_u16_e32 0, v81
	s_cbranch_execz .LBB2_1139
; %bb.1132:                             ;   in Loop: Header=BB2_1131 Depth=2
	v_bfrev_b32_e32 v80, 1
	s_mov_b32 s28, exec_lo
	v_cmpx_ne_u16_e32 0x80, v81
	s_cbranch_execz .LBB2_1138
; %bb.1133:                             ;   in Loop: Header=BB2_1131 Depth=2
	v_and_b32_e32 v48, 0xffff, v81
	v_mov_b32_e32 v80, 0x7f800001
	s_mov_b32 s29, exec_lo
	s_delay_alu instid0(VALU_DEP_2) | instskip(NEXT) | instid1(VALU_DEP_1)
	v_and_b32_e32 v83, 0x7f, v48
	v_cmpx_ne_u32_e32 0x7f, v83
	s_cbranch_execz .LBB2_1137
; %bb.1134:                             ;   in Loop: Header=BB2_1131 Depth=2
	v_dual_lshrrev_b32 v80, 3, v83 :: v_dual_bitop2_b32 v48, 7, v48 bitop3:0x40
	s_mov_b32 s40, exec_lo
	v_cmpx_gt_u32_e32 8, v83
; %bb.1135:                             ;   in Loop: Header=BB2_1131 Depth=2
	s_delay_alu instid0(VALU_DEP_2) | instskip(NEXT) | instid1(VALU_DEP_1)
	v_clz_i32_u32_e32 v80, v48
	v_min_u32_e32 v80, 32, v80
	s_delay_alu instid0(VALU_DEP_1) | instskip(SKIP_1) | instid1(VALU_DEP_2)
	v_subrev_nc_u32_e32 v83, 28, v80
	v_sub_nc_u32_e32 v80, 29, v80
	v_lshlrev_b64_e32 v[44:45], v83, v[48:49]
	s_delay_alu instid0(VALU_DEP_1)
	v_and_b32_e32 v48, 7, v44
; %bb.1136:                             ;   in Loop: Header=BB2_1131 Depth=2
	s_or_b32 exec_lo, exec_lo, s40
	s_delay_alu instid0(VALU_DEP_1) | instskip(SKIP_1) | instid1(VALU_DEP_2)
	v_dual_lshlrev_b32 v81, 24, v81 :: v_dual_lshlrev_b32 v48, 20, v48
	v_lshl_add_u32 v80, v80, 23, 0x3c000000
	v_and_b32_e32 v81, 0x80000000, v81
	s_delay_alu instid0(VALU_DEP_1)
	v_or3_b32 v80, v48, v81, v80
.LBB2_1137:                             ;   in Loop: Header=BB2_1131 Depth=2
	s_or_b32 exec_lo, exec_lo, s29
.LBB2_1138:                             ;   in Loop: Header=BB2_1131 Depth=2
	s_delay_alu instid0(SALU_CYCLE_1)
	s_or_b32 exec_lo, exec_lo, s28
.LBB2_1139:                             ;   in Loop: Header=BB2_1131 Depth=2
	s_delay_alu instid0(SALU_CYCLE_1) | instskip(SKIP_3) | instid1(VALU_DEP_1)
	s_or_b32 exec_lo, exec_lo, s10
	s_wait_loadcnt_dscnt 0x707
	v_and_b32_e32 v48, 0xff, v16
	s_mov_b32 s10, exec_lo
	v_cmpx_ne_u16_e32 0, v48
	s_cbranch_execz .LBB2_1147
; %bb.1140:                             ;   in Loop: Header=BB2_1131 Depth=2
	v_bfrev_b32_e32 v17, 1
	s_mov_b32 s28, exec_lo
	v_cmpx_ne_u16_e32 0x80, v48
	s_cbranch_execz .LBB2_1146
; %bb.1141:                             ;   in Loop: Header=BB2_1131 Depth=2
	v_and_b32_e32 v81, 0x7f, v16
	v_mov_b32_e32 v17, 0x7f800001
	s_mov_b32 s29, exec_lo
	s_delay_alu instid0(VALU_DEP_2)
	v_cmpx_ne_u32_e32 0x7f, v81
	s_cbranch_execz .LBB2_1145
; %bb.1142:                             ;   in Loop: Header=BB2_1131 Depth=2
	v_dual_lshrrev_b32 v17, 3, v81 :: v_dual_bitop2_b32 v48, 7, v48 bitop3:0x40
	s_mov_b32 s40, exec_lo
	v_cmpx_gt_u32_e32 8, v81
; %bb.1143:                             ;   in Loop: Header=BB2_1131 Depth=2
	s_delay_alu instid0(VALU_DEP_2) | instskip(NEXT) | instid1(VALU_DEP_1)
	v_clz_i32_u32_e32 v17, v48
	v_min_u32_e32 v17, 32, v17
	s_delay_alu instid0(VALU_DEP_1) | instskip(NEXT) | instid1(VALU_DEP_1)
	v_subrev_nc_u32_e32 v81, 28, v17
	v_lshlrev_b64_e32 v[44:45], v81, v[48:49]
	s_delay_alu instid0(VALU_DEP_1)
	v_dual_sub_nc_u32 v17, 29, v17 :: v_dual_bitop2_b32 v48, 7, v44 bitop3:0x40
; %bb.1144:                             ;   in Loop: Header=BB2_1131 Depth=2
	s_or_b32 exec_lo, exec_lo, s40
	v_lshlrev_b32_e32 v16, 24, v16
	s_delay_alu instid0(VALU_DEP_2) | instskip(NEXT) | instid1(VALU_DEP_3)
	v_lshlrev_b32_e32 v48, 20, v48
	v_lshl_add_u32 v17, v17, 23, 0x3c000000
	s_delay_alu instid0(VALU_DEP_3) | instskip(NEXT) | instid1(VALU_DEP_1)
	v_and_b32_e32 v16, 0x80000000, v16
	v_or3_b32 v17, v48, v16, v17
.LBB2_1145:                             ;   in Loop: Header=BB2_1131 Depth=2
	s_or_b32 exec_lo, exec_lo, s29
.LBB2_1146:                             ;   in Loop: Header=BB2_1131 Depth=2
	s_delay_alu instid0(SALU_CYCLE_1)
	s_or_b32 exec_lo, exec_lo, s28
.LBB2_1147:                             ;   in Loop: Header=BB2_1131 Depth=2
	s_delay_alu instid0(SALU_CYCLE_1) | instskip(NEXT) | instid1(VALU_DEP_1)
	s_or_b32 exec_lo, exec_lo, s10
	v_mul_f32_e32 v16, v80, v17
                                        ; implicit-def: $vgpr83
	s_mov_b32 s10, exec_lo
	s_delay_alu instid0(VALU_DEP_1) | instskip(SKIP_1) | instid1(VALU_DEP_2)
	v_and_b32_e32 v48, 0x7f800000, v16
	v_lshrrev_b32_e32 v17, 24, v16
	v_cmpx_ne_u64_e32 0x7f800000, v[48:49]
	s_xor_b32 s28, exec_lo, s10
	s_cbranch_execz .LBB2_1165
; %bb.1148:                             ;   in Loop: Header=BB2_1131 Depth=2
	v_and_b32_e32 v48, 0x7fffffff, v16
	v_and_b32_e32 v43, 0x80, v17
                                        ; implicit-def: $vgpr83
	s_mov_b32 s10, exec_lo
	s_delay_alu instid0(VALU_DEP_2)
	v_cmpx_gt_u64_e32 0x43e00001, v[48:49]
	s_xor_b32 s29, exec_lo, s10
	s_cbranch_execz .LBB2_1162
; %bb.1149:                             ;   in Loop: Header=BB2_1131 Depth=2
	v_mov_b32_e32 v83, 0
	s_mov_b32 s40, exec_lo
	v_cmpx_ne_u32_e32 0, v16
	s_cbranch_execz .LBB2_1161
; %bb.1150:                             ;   in Loop: Header=BB2_1131 Depth=2
	v_bfe_u32 v83, v16, 23, 8
	v_and_b32_e32 v48, 0x7fffff, v16
	s_delay_alu instid0(VALU_DEP_2) | instskip(NEXT) | instid1(VALU_DEP_2)
	v_cmp_gt_u32_e32 vcc_lo, 0x7a, v83
	v_or_b32_e32 v80, 0x800000, v48
	v_sub_nc_u32_e32 v17, 0x79, v83
	s_delay_alu instid0(VALU_DEP_1) | instskip(SKIP_1) | instid1(VALU_DEP_2)
	v_cndmask_b32_e32 v17, 0, v17, vcc_lo
	v_cmp_eq_u32_e32 vcc_lo, 0, v83
	v_cndmask_b32_e64 v44, v17, 0x78, vcc_lo
	v_cndmask_b32_e32 v48, v80, v48, vcc_lo
	s_delay_alu instid0(VALU_DEP_2) | instskip(NEXT) | instid1(VALU_DEP_1)
	v_dual_add_nc_u32 v16, 20, v44 :: v_dual_add_nc_u32 v81, 19, v44
	v_lshlrev_b64_e64 v[16:17], v16, -1
	s_delay_alu instid0(VALU_DEP_2) | instskip(NEXT) | instid1(VALU_DEP_2)
	v_lshlrev_b64_e64 v[80:81], v81, 1
	v_bfi_b32 v47, v17, 0, 0
	s_delay_alu instid0(VALU_DEP_3) | instskip(SKIP_1) | instid1(VALU_DEP_2)
	v_bfi_b32 v46, v16, 0, v48
	v_lshrrev_b64 v[16:17], v44, v[48:49]
	v_cmp_eq_u64_e64 s10, v[46:47], v[80:81]
	s_delay_alu instid0(VALU_DEP_2)
	v_mov_b64_e32 v[80:81], v[16:17]
	s_and_saveexec_b32 s41, s10
; %bb.1151:                             ;   in Loop: Header=BB2_1131 Depth=2
	v_bfe_u32 v48, v16, 20, 1
	s_delay_alu instid0(VALU_DEP_1) | instskip(NEXT) | instid1(VALU_DEP_1)
	v_add_nc_u64_e32 v[80:81], v[16:17], v[48:49]
	v_add_nc_u64_e32 v[80:81], -1, v[80:81]
; %bb.1152:                             ;   in Loop: Header=BB2_1131 Depth=2
	s_or_b32 exec_lo, exec_lo, s41
	v_add_nc_u32_e32 v17, 0xffffff81, v83
	v_lshrrev_b32_e32 v48, 23, v16
	s_mov_b32 s10, exec_lo
	s_delay_alu instid0(VALU_DEP_2) | instskip(NEXT) | instid1(VALU_DEP_1)
	v_cndmask_b32_e64 v17, v17, 0xffffff82, vcc_lo
	v_add3_u32 v81, v44, v17, v48
	v_and_b32_e32 v17, 0xfffff, v80
                                        ; implicit-def: $vgpr80
	s_delay_alu instid0(VALU_DEP_1) | instskip(NEXT) | instid1(VALU_DEP_1)
	v_dual_add_nc_u32 v83, 6, v81 :: v_dual_add_nc_u32 v48, v17, v16
                                        ; implicit-def: $vgpr16_vgpr17
	v_cmpx_ne_u32_e32 0, v83
	s_xor_b32 s10, exec_lo, s10
; %bb.1153:                             ;   in Loop: Header=BB2_1131 Depth=2
	s_delay_alu instid0(VALU_DEP_2) | instskip(SKIP_1) | instid1(VALU_DEP_1)
	v_cmp_lt_u64_e32 vcc_lo, 0xffffff, v[48:49]
	v_add_nc_u32_e32 v16, 7, v81
	v_cndmask_b32_e32 v80, v83, v16, vcc_lo
	v_cndmask_b32_e64 v16, 0, 1, vcc_lo
	s_delay_alu instid0(VALU_DEP_1)
	v_lshrrev_b64 v[16:17], v16, v[48:49]
; %bb.1154:                             ;   in Loop: Header=BB2_1131 Depth=2
	s_and_not1_saveexec_b32 s10, s10
; %bb.1155:                             ;   in Loop: Header=BB2_1131 Depth=2
	v_mov_b64_e32 v[16:17], v[48:49]
	v_bfe_u32 v80, v48, 23, 1
; %bb.1156:                             ;   in Loop: Header=BB2_1131 Depth=2
	s_or_b32 exec_lo, exec_lo, s10
	s_delay_alu instid0(VALU_DEP_2) | instskip(NEXT) | instid1(VALU_DEP_2)
	v_lshrrev_b64 v[16:17], 20, v[16:17]
	v_cmp_gt_i32_e32 vcc_lo, 16, v80
	v_cmp_ne_u32_e64 s10, 0, v80
                                        ; implicit-def: $vgpr83
	s_delay_alu instid0(VALU_DEP_3) | instskip(NEXT) | instid1(VALU_DEP_1)
	v_dual_cndmask_b32 v17, 0, v17 :: v_dual_cndmask_b32 v16, 7, v16
	v_cmp_ne_u64_e32 vcc_lo, 0, v[16:17]
	s_or_b32 s10, s10, vcc_lo
	s_delay_alu instid0(SALU_CYCLE_1) | instskip(NEXT) | instid1(SALU_CYCLE_1)
	s_and_saveexec_b32 s41, s10
	s_xor_b32 s10, exec_lo, s41
; %bb.1157:                             ;   in Loop: Header=BB2_1131 Depth=2
	v_min_i32_e32 v17, 15, v80
	s_delay_alu instid0(VALU_DEP_1) | instskip(NEXT) | instid1(VALU_DEP_1)
	v_lshl_or_b32 v17, v17, 3, v43
                                        ; implicit-def: $vgpr43
	v_and_or_b32 v83, v16, 7, v17
; %bb.1158:                             ;   in Loop: Header=BB2_1131 Depth=2
	s_and_not1_saveexec_b32 s10, s10
; %bb.1159:                             ;   in Loop: Header=BB2_1131 Depth=2
	v_mov_b32_e32 v83, v43
; %bb.1160:                             ;   in Loop: Header=BB2_1131 Depth=2
	s_or_b32 exec_lo, exec_lo, s10
.LBB2_1161:                             ;   in Loop: Header=BB2_1131 Depth=2
	s_delay_alu instid0(SALU_CYCLE_1)
	s_or_b32 exec_lo, exec_lo, s40
                                        ; implicit-def: $vgpr43
.LBB2_1162:                             ;   in Loop: Header=BB2_1131 Depth=2
	s_and_not1_saveexec_b32 s10, s29
; %bb.1163:                             ;   in Loop: Header=BB2_1131 Depth=2
	v_or_b32_e32 v83, 0x7e, v43
; %bb.1164:                             ;   in Loop: Header=BB2_1131 Depth=2
	s_or_b32 exec_lo, exec_lo, s10
                                        ; implicit-def: $vgpr17
.LBB2_1165:                             ;   in Loop: Header=BB2_1131 Depth=2
	s_and_not1_saveexec_b32 s10, s28
; %bb.1166:                             ;   in Loop: Header=BB2_1131 Depth=2
	v_or_b32_e32 v83, 0x7f, v17
; %bb.1167:                             ;   in Loop: Header=BB2_1131 Depth=2
	s_or_b32 exec_lo, exec_lo, s10
	v_and_b32_e32 v48, 0xff, v42
	v_dual_mov_b32 v16, 0 :: v_dual_mov_b32 v17, 0
	s_mov_b32 s10, exec_lo
	s_delay_alu instid0(VALU_DEP_2)
	v_cmpx_ne_u16_e32 0, v48
	s_cbranch_execz .LBB2_1175
; %bb.1168:                             ;   in Loop: Header=BB2_1131 Depth=2
	v_bfrev_b32_e32 v17, 1
	s_mov_b32 s28, exec_lo
	v_cmpx_ne_u16_e32 0x80, v48
	s_cbranch_execz .LBB2_1174
; %bb.1169:                             ;   in Loop: Header=BB2_1131 Depth=2
	v_and_b32_e32 v80, 0x7f, v42
	v_mov_b32_e32 v17, 0x7f800001
	s_mov_b32 s29, exec_lo
	s_delay_alu instid0(VALU_DEP_2)
	v_cmpx_ne_u32_e32 0x7f, v80
	s_cbranch_execz .LBB2_1173
; %bb.1170:                             ;   in Loop: Header=BB2_1131 Depth=2
	v_and_b32_e32 v48, 7, v48
	v_lshrrev_b32_e32 v17, 3, v80
	s_mov_b32 s40, exec_lo
	v_cmpx_gt_u32_e32 8, v80
; %bb.1171:                             ;   in Loop: Header=BB2_1131 Depth=2
	s_delay_alu instid0(VALU_DEP_3) | instskip(NEXT) | instid1(VALU_DEP_1)
	v_clz_i32_u32_e32 v17, v48
	v_min_u32_e32 v17, 32, v17
	s_delay_alu instid0(VALU_DEP_1) | instskip(NEXT) | instid1(VALU_DEP_1)
	v_subrev_nc_u32_e32 v80, 28, v17
	v_lshlrev_b64_e32 v[80:81], v80, v[48:49]
	s_delay_alu instid0(VALU_DEP_1)
	v_dual_sub_nc_u32 v17, 29, v17 :: v_dual_bitop2_b32 v48, 7, v80 bitop3:0x40
; %bb.1172:                             ;   in Loop: Header=BB2_1131 Depth=2
	s_or_b32 exec_lo, exec_lo, s40
	s_delay_alu instid0(VALU_DEP_1) | instskip(NEXT) | instid1(VALU_DEP_2)
	v_dual_lshlrev_b32 v80, 24, v42 :: v_dual_lshlrev_b32 v48, 20, v48
	v_lshl_add_u32 v17, v17, 23, 0x3c000000
	s_delay_alu instid0(VALU_DEP_2) | instskip(NEXT) | instid1(VALU_DEP_1)
	v_and_b32_e32 v80, 0x80000000, v80
	v_or3_b32 v17, v48, v80, v17
.LBB2_1173:                             ;   in Loop: Header=BB2_1131 Depth=2
	s_or_b32 exec_lo, exec_lo, s29
.LBB2_1174:                             ;   in Loop: Header=BB2_1131 Depth=2
	s_delay_alu instid0(SALU_CYCLE_1)
	s_or_b32 exec_lo, exec_lo, s28
.LBB2_1175:                             ;   in Loop: Header=BB2_1131 Depth=2
	s_delay_alu instid0(SALU_CYCLE_1) | instskip(SKIP_3) | instid1(VALU_DEP_1)
	s_or_b32 exec_lo, exec_lo, s10
	s_wait_loadcnt_dscnt 0x606
	v_and_b32_e32 v48, 0xff, v96
	s_mov_b32 s10, exec_lo
	v_cmpx_ne_u16_e32 0, v48
	s_cbranch_execz .LBB2_1183
; %bb.1176:                             ;   in Loop: Header=BB2_1131 Depth=2
	v_bfrev_b32_e32 v16, 1
	s_mov_b32 s28, exec_lo
	v_cmpx_ne_u16_e32 0x80, v48
	s_cbranch_execz .LBB2_1182
; %bb.1177:                             ;   in Loop: Header=BB2_1131 Depth=2
	v_and_b32_e32 v80, 0x7f, v96
	v_mov_b32_e32 v16, 0x7f800001
	s_mov_b32 s29, exec_lo
	s_delay_alu instid0(VALU_DEP_2)
	v_cmpx_ne_u32_e32 0x7f, v80
	s_cbranch_execz .LBB2_1181
; %bb.1178:                             ;   in Loop: Header=BB2_1131 Depth=2
	v_and_b32_e32 v48, 7, v48
	v_lshrrev_b32_e32 v16, 3, v80
	s_mov_b32 s40, exec_lo
	v_cmpx_gt_u32_e32 8, v80
; %bb.1179:                             ;   in Loop: Header=BB2_1131 Depth=2
	s_delay_alu instid0(VALU_DEP_3) | instskip(NEXT) | instid1(VALU_DEP_1)
	v_clz_i32_u32_e32 v16, v48
	v_min_u32_e32 v16, 32, v16
	s_delay_alu instid0(VALU_DEP_1) | instskip(SKIP_1) | instid1(VALU_DEP_2)
	v_subrev_nc_u32_e32 v80, 28, v16
	v_sub_nc_u32_e32 v16, 29, v16
	v_lshlrev_b64_e32 v[80:81], v80, v[48:49]
	s_delay_alu instid0(VALU_DEP_1)
	v_and_b32_e32 v48, 7, v80
; %bb.1180:                             ;   in Loop: Header=BB2_1131 Depth=2
	s_or_b32 exec_lo, exec_lo, s40
	v_lshlrev_b32_e32 v80, 24, v96
	s_delay_alu instid0(VALU_DEP_2) | instskip(SKIP_1) | instid1(VALU_DEP_3)
	v_lshlrev_b32_e32 v48, 20, v48
	v_lshl_add_u32 v16, v16, 23, 0x3c000000
	v_and_b32_e32 v80, 0x80000000, v80
	s_delay_alu instid0(VALU_DEP_1)
	v_or3_b32 v16, v48, v80, v16
.LBB2_1181:                             ;   in Loop: Header=BB2_1131 Depth=2
	s_or_b32 exec_lo, exec_lo, s29
.LBB2_1182:                             ;   in Loop: Header=BB2_1131 Depth=2
	s_delay_alu instid0(SALU_CYCLE_1)
	s_or_b32 exec_lo, exec_lo, s28
.LBB2_1183:                             ;   in Loop: Header=BB2_1131 Depth=2
	s_delay_alu instid0(SALU_CYCLE_1) | instskip(NEXT) | instid1(VALU_DEP_1)
	s_or_b32 exec_lo, exec_lo, s10
	v_mul_f32_e32 v16, v17, v16
                                        ; implicit-def: $vgpr96
	s_mov_b32 s10, exec_lo
	s_delay_alu instid0(VALU_DEP_1) | instskip(SKIP_1) | instid1(VALU_DEP_2)
	v_and_b32_e32 v48, 0x7f800000, v16
	v_lshrrev_b32_e32 v17, 24, v16
	v_cmpx_ne_u64_e32 0x7f800000, v[48:49]
	s_xor_b32 s28, exec_lo, s10
	s_cbranch_execz .LBB2_1201
; %bb.1184:                             ;   in Loop: Header=BB2_1131 Depth=2
	v_and_b32_e32 v48, 0x7fffffff, v16
	v_and_b32_e32 v42, 0x80, v17
                                        ; implicit-def: $vgpr96
	s_mov_b32 s10, exec_lo
	s_delay_alu instid0(VALU_DEP_2)
	v_cmpx_gt_u64_e32 0x43e00001, v[48:49]
	s_xor_b32 s29, exec_lo, s10
	s_cbranch_execz .LBB2_1198
; %bb.1185:                             ;   in Loop: Header=BB2_1131 Depth=2
	v_mov_b32_e32 v96, 0
	s_mov_b32 s40, exec_lo
	v_cmpx_ne_u32_e32 0, v16
	s_cbranch_execz .LBB2_1197
; %bb.1186:                             ;   in Loop: Header=BB2_1131 Depth=2
	v_bfe_u32 v96, v16, 23, 8
	v_and_b32_e32 v48, 0x7fffff, v16
	s_delay_alu instid0(VALU_DEP_2) | instskip(SKIP_1) | instid1(VALU_DEP_3)
	v_sub_nc_u32_e32 v17, 0x79, v96
	v_cmp_gt_u32_e32 vcc_lo, 0x7a, v96
	v_or_b32_e32 v80, 0x800000, v48
	s_delay_alu instid0(VALU_DEP_3) | instskip(SKIP_1) | instid1(VALU_DEP_2)
	v_cndmask_b32_e32 v17, 0, v17, vcc_lo
	v_cmp_eq_u32_e32 vcc_lo, 0, v96
	v_cndmask_b32_e64 v43, v17, 0x78, vcc_lo
	s_delay_alu instid0(VALU_DEP_1) | instskip(SKIP_1) | instid1(VALU_DEP_2)
	v_dual_cndmask_b32 v48, v80, v48 :: v_dual_add_nc_u32 v81, 19, v43
	v_add_nc_u32_e32 v16, 20, v43
	v_lshlrev_b64_e64 v[80:81], v81, 1
	s_delay_alu instid0(VALU_DEP_2) | instskip(NEXT) | instid1(VALU_DEP_1)
	v_lshlrev_b64_e64 v[16:17], v16, -1
	v_bfi_b32 v45, v17, 0, 0
	s_delay_alu instid0(VALU_DEP_2) | instskip(SKIP_1) | instid1(VALU_DEP_2)
	v_bfi_b32 v44, v16, 0, v48
	v_lshrrev_b64 v[16:17], v43, v[48:49]
	v_cmp_eq_u64_e64 s10, v[44:45], v[80:81]
	s_delay_alu instid0(VALU_DEP_2)
	v_mov_b64_e32 v[80:81], v[16:17]
	s_and_saveexec_b32 s41, s10
; %bb.1187:                             ;   in Loop: Header=BB2_1131 Depth=2
	v_bfe_u32 v48, v16, 20, 1
	s_delay_alu instid0(VALU_DEP_1) | instskip(NEXT) | instid1(VALU_DEP_1)
	v_add_nc_u64_e32 v[80:81], v[16:17], v[48:49]
	v_add_nc_u64_e32 v[80:81], -1, v[80:81]
; %bb.1188:                             ;   in Loop: Header=BB2_1131 Depth=2
	s_or_b32 exec_lo, exec_lo, s41
	v_add_nc_u32_e32 v17, 0xffffff81, v96
	v_lshrrev_b32_e32 v48, 23, v16
	s_mov_b32 s10, exec_lo
	s_delay_alu instid0(VALU_DEP_2) | instskip(NEXT) | instid1(VALU_DEP_1)
	v_cndmask_b32_e64 v17, v17, 0xffffff82, vcc_lo
	v_add3_u32 v81, v43, v17, v48
	v_and_b32_e32 v17, 0xfffff, v80
                                        ; implicit-def: $vgpr80
	s_delay_alu instid0(VALU_DEP_1) | instskip(NEXT) | instid1(VALU_DEP_1)
	v_dual_add_nc_u32 v96, 6, v81 :: v_dual_add_nc_u32 v48, v17, v16
                                        ; implicit-def: $vgpr16_vgpr17
	v_cmpx_ne_u32_e32 0, v96
	s_xor_b32 s10, exec_lo, s10
; %bb.1189:                             ;   in Loop: Header=BB2_1131 Depth=2
	s_delay_alu instid0(VALU_DEP_2) | instskip(SKIP_1) | instid1(VALU_DEP_1)
	v_cmp_lt_u64_e32 vcc_lo, 0xffffff, v[48:49]
	v_add_nc_u32_e32 v16, 7, v81
	v_cndmask_b32_e32 v80, v96, v16, vcc_lo
	v_cndmask_b32_e64 v16, 0, 1, vcc_lo
	s_delay_alu instid0(VALU_DEP_1)
	v_lshrrev_b64 v[16:17], v16, v[48:49]
; %bb.1190:                             ;   in Loop: Header=BB2_1131 Depth=2
	s_and_not1_saveexec_b32 s10, s10
; %bb.1191:                             ;   in Loop: Header=BB2_1131 Depth=2
	v_mov_b64_e32 v[16:17], v[48:49]
	v_bfe_u32 v80, v48, 23, 1
; %bb.1192:                             ;   in Loop: Header=BB2_1131 Depth=2
	s_or_b32 exec_lo, exec_lo, s10
	s_delay_alu instid0(VALU_DEP_2) | instskip(NEXT) | instid1(VALU_DEP_2)
	v_lshrrev_b64 v[16:17], 20, v[16:17]
	v_cmp_gt_i32_e32 vcc_lo, 16, v80
	v_cmp_ne_u32_e64 s10, 0, v80
                                        ; implicit-def: $vgpr96
	s_delay_alu instid0(VALU_DEP_3) | instskip(NEXT) | instid1(VALU_DEP_1)
	v_dual_cndmask_b32 v17, 0, v17 :: v_dual_cndmask_b32 v16, 7, v16
	v_cmp_ne_u64_e32 vcc_lo, 0, v[16:17]
	s_or_b32 s10, s10, vcc_lo
	s_delay_alu instid0(SALU_CYCLE_1) | instskip(NEXT) | instid1(SALU_CYCLE_1)
	s_and_saveexec_b32 s41, s10
	s_xor_b32 s10, exec_lo, s41
; %bb.1193:                             ;   in Loop: Header=BB2_1131 Depth=2
	v_min_i32_e32 v17, 15, v80
	s_delay_alu instid0(VALU_DEP_1) | instskip(NEXT) | instid1(VALU_DEP_1)
	v_lshl_or_b32 v17, v17, 3, v42
                                        ; implicit-def: $vgpr42
	v_and_or_b32 v96, v16, 7, v17
; %bb.1194:                             ;   in Loop: Header=BB2_1131 Depth=2
	s_and_not1_saveexec_b32 s10, s10
; %bb.1195:                             ;   in Loop: Header=BB2_1131 Depth=2
	v_mov_b32_e32 v96, v42
; %bb.1196:                             ;   in Loop: Header=BB2_1131 Depth=2
	s_or_b32 exec_lo, exec_lo, s10
.LBB2_1197:                             ;   in Loop: Header=BB2_1131 Depth=2
	s_delay_alu instid0(SALU_CYCLE_1)
	s_or_b32 exec_lo, exec_lo, s40
                                        ; implicit-def: $vgpr42
.LBB2_1198:                             ;   in Loop: Header=BB2_1131 Depth=2
	s_and_not1_saveexec_b32 s10, s29
; %bb.1199:                             ;   in Loop: Header=BB2_1131 Depth=2
	v_or_b32_e32 v96, 0x7e, v42
; %bb.1200:                             ;   in Loop: Header=BB2_1131 Depth=2
	s_or_b32 exec_lo, exec_lo, s10
                                        ; implicit-def: $vgpr17
.LBB2_1201:                             ;   in Loop: Header=BB2_1131 Depth=2
	s_and_not1_saveexec_b32 s10, s28
; %bb.1202:                             ;   in Loop: Header=BB2_1131 Depth=2
	v_or_b32_e32 v96, 0x7f, v17
; %bb.1203:                             ;   in Loop: Header=BB2_1131 Depth=2
	s_or_b32 exec_lo, exec_lo, s10
	v_and_b32_e32 v48, 0xff, v41
	v_dual_mov_b32 v16, 0 :: v_dual_mov_b32 v17, 0
	s_mov_b32 s10, exec_lo
	s_delay_alu instid0(VALU_DEP_2)
	v_cmpx_ne_u16_e32 0, v48
	s_cbranch_execz .LBB2_1211
; %bb.1204:                             ;   in Loop: Header=BB2_1131 Depth=2
	v_bfrev_b32_e32 v17, 1
	s_mov_b32 s28, exec_lo
	v_cmpx_ne_u16_e32 0x80, v48
	s_cbranch_execz .LBB2_1210
; %bb.1205:                             ;   in Loop: Header=BB2_1131 Depth=2
	v_and_b32_e32 v80, 0x7f, v41
	v_mov_b32_e32 v17, 0x7f800001
	s_mov_b32 s29, exec_lo
	s_delay_alu instid0(VALU_DEP_2)
	v_cmpx_ne_u32_e32 0x7f, v80
	s_cbranch_execz .LBB2_1209
; %bb.1206:                             ;   in Loop: Header=BB2_1131 Depth=2
	v_and_b32_e32 v48, 7, v48
	v_lshrrev_b32_e32 v17, 3, v80
	s_mov_b32 s40, exec_lo
	v_cmpx_gt_u32_e32 8, v80
; %bb.1207:                             ;   in Loop: Header=BB2_1131 Depth=2
	s_delay_alu instid0(VALU_DEP_3) | instskip(NEXT) | instid1(VALU_DEP_1)
	v_clz_i32_u32_e32 v17, v48
	v_min_u32_e32 v17, 32, v17
	s_delay_alu instid0(VALU_DEP_1) | instskip(NEXT) | instid1(VALU_DEP_1)
	v_subrev_nc_u32_e32 v80, 28, v17
	v_lshlrev_b64_e32 v[80:81], v80, v[48:49]
	s_delay_alu instid0(VALU_DEP_1)
	v_dual_sub_nc_u32 v17, 29, v17 :: v_dual_bitop2_b32 v48, 7, v80 bitop3:0x40
; %bb.1208:                             ;   in Loop: Header=BB2_1131 Depth=2
	s_or_b32 exec_lo, exec_lo, s40
	s_delay_alu instid0(VALU_DEP_1) | instskip(NEXT) | instid1(VALU_DEP_2)
	v_dual_lshlrev_b32 v80, 24, v41 :: v_dual_lshlrev_b32 v48, 20, v48
	v_lshl_add_u32 v17, v17, 23, 0x3c000000
	s_delay_alu instid0(VALU_DEP_2) | instskip(NEXT) | instid1(VALU_DEP_1)
	v_and_b32_e32 v80, 0x80000000, v80
	v_or3_b32 v17, v48, v80, v17
.LBB2_1209:                             ;   in Loop: Header=BB2_1131 Depth=2
	s_or_b32 exec_lo, exec_lo, s29
.LBB2_1210:                             ;   in Loop: Header=BB2_1131 Depth=2
	s_delay_alu instid0(SALU_CYCLE_1)
	s_or_b32 exec_lo, exec_lo, s28
.LBB2_1211:                             ;   in Loop: Header=BB2_1131 Depth=2
	s_delay_alu instid0(SALU_CYCLE_1) | instskip(SKIP_3) | instid1(VALU_DEP_1)
	s_or_b32 exec_lo, exec_lo, s10
	s_wait_loadcnt_dscnt 0x505
	v_and_b32_e32 v48, 0xff, v99
	s_mov_b32 s10, exec_lo
	v_cmpx_ne_u16_e32 0, v48
	s_cbranch_execz .LBB2_1219
; %bb.1212:                             ;   in Loop: Header=BB2_1131 Depth=2
	v_bfrev_b32_e32 v16, 1
	s_mov_b32 s28, exec_lo
	v_cmpx_ne_u16_e32 0x80, v48
	s_cbranch_execz .LBB2_1218
; %bb.1213:                             ;   in Loop: Header=BB2_1131 Depth=2
	v_and_b32_e32 v80, 0x7f, v99
	v_mov_b32_e32 v16, 0x7f800001
	s_mov_b32 s29, exec_lo
	s_delay_alu instid0(VALU_DEP_2)
	v_cmpx_ne_u32_e32 0x7f, v80
	s_cbranch_execz .LBB2_1217
; %bb.1214:                             ;   in Loop: Header=BB2_1131 Depth=2
	v_and_b32_e32 v48, 7, v48
	v_lshrrev_b32_e32 v16, 3, v80
	s_mov_b32 s40, exec_lo
	v_cmpx_gt_u32_e32 8, v80
; %bb.1215:                             ;   in Loop: Header=BB2_1131 Depth=2
	s_delay_alu instid0(VALU_DEP_3) | instskip(NEXT) | instid1(VALU_DEP_1)
	v_clz_i32_u32_e32 v16, v48
	v_min_u32_e32 v16, 32, v16
	s_delay_alu instid0(VALU_DEP_1) | instskip(SKIP_1) | instid1(VALU_DEP_2)
	v_subrev_nc_u32_e32 v80, 28, v16
	v_sub_nc_u32_e32 v16, 29, v16
	v_lshlrev_b64_e32 v[80:81], v80, v[48:49]
	s_delay_alu instid0(VALU_DEP_1)
	v_and_b32_e32 v48, 7, v80
; %bb.1216:                             ;   in Loop: Header=BB2_1131 Depth=2
	s_or_b32 exec_lo, exec_lo, s40
	s_delay_alu instid0(VALU_DEP_1) | instskip(SKIP_1) | instid1(VALU_DEP_2)
	v_dual_lshlrev_b32 v80, 24, v99 :: v_dual_lshlrev_b32 v48, 20, v48
	v_lshl_add_u32 v16, v16, 23, 0x3c000000
	v_and_b32_e32 v80, 0x80000000, v80
	s_delay_alu instid0(VALU_DEP_1)
	v_or3_b32 v16, v48, v80, v16
.LBB2_1217:                             ;   in Loop: Header=BB2_1131 Depth=2
	s_or_b32 exec_lo, exec_lo, s29
.LBB2_1218:                             ;   in Loop: Header=BB2_1131 Depth=2
	s_delay_alu instid0(SALU_CYCLE_1)
	s_or_b32 exec_lo, exec_lo, s28
.LBB2_1219:                             ;   in Loop: Header=BB2_1131 Depth=2
	s_delay_alu instid0(SALU_CYCLE_1) | instskip(NEXT) | instid1(VALU_DEP_1)
	s_or_b32 exec_lo, exec_lo, s10
	v_mul_f32_e32 v16, v17, v16
                                        ; implicit-def: $vgpr99
	s_mov_b32 s10, exec_lo
	s_delay_alu instid0(VALU_DEP_1) | instskip(SKIP_1) | instid1(VALU_DEP_2)
	v_and_b32_e32 v48, 0x7f800000, v16
	v_lshrrev_b32_e32 v17, 24, v16
	v_cmpx_ne_u64_e32 0x7f800000, v[48:49]
	s_xor_b32 s28, exec_lo, s10
	s_cbranch_execz .LBB2_1237
; %bb.1220:                             ;   in Loop: Header=BB2_1131 Depth=2
	v_and_b32_e32 v48, 0x7fffffff, v16
	v_and_b32_e32 v41, 0x80, v17
                                        ; implicit-def: $vgpr99
	s_mov_b32 s10, exec_lo
	s_delay_alu instid0(VALU_DEP_2)
	v_cmpx_gt_u64_e32 0x43e00001, v[48:49]
	s_xor_b32 s29, exec_lo, s10
	s_cbranch_execz .LBB2_1234
; %bb.1221:                             ;   in Loop: Header=BB2_1131 Depth=2
	v_mov_b32_e32 v99, 0
	s_mov_b32 s40, exec_lo
	v_cmpx_ne_u32_e32 0, v16
	s_cbranch_execz .LBB2_1233
; %bb.1222:                             ;   in Loop: Header=BB2_1131 Depth=2
	v_bfe_u32 v99, v16, 23, 8
	v_and_b32_e32 v48, 0x7fffff, v16
	s_delay_alu instid0(VALU_DEP_2) | instskip(NEXT) | instid1(VALU_DEP_2)
	v_cmp_gt_u32_e32 vcc_lo, 0x7a, v99
	v_or_b32_e32 v80, 0x800000, v48
	v_sub_nc_u32_e32 v17, 0x79, v99
	s_delay_alu instid0(VALU_DEP_1) | instskip(SKIP_1) | instid1(VALU_DEP_2)
	v_cndmask_b32_e32 v17, 0, v17, vcc_lo
	v_cmp_eq_u32_e32 vcc_lo, 0, v99
	v_cndmask_b32_e64 v42, v17, 0x78, vcc_lo
	s_delay_alu instid0(VALU_DEP_1) | instskip(SKIP_1) | instid1(VALU_DEP_2)
	v_dual_cndmask_b32 v48, v80, v48, vcc_lo :: v_dual_add_nc_u32 v16, 20, v42
	v_add_nc_u32_e32 v81, 19, v42
	v_lshlrev_b64_e64 v[16:17], v16, -1
	s_delay_alu instid0(VALU_DEP_2) | instskip(NEXT) | instid1(VALU_DEP_2)
	v_lshlrev_b64_e64 v[80:81], v81, 1
	v_bfi_b32 v45, v17, 0, 0
	s_delay_alu instid0(VALU_DEP_3) | instskip(SKIP_1) | instid1(VALU_DEP_2)
	v_bfi_b32 v44, v16, 0, v48
	v_lshrrev_b64 v[16:17], v42, v[48:49]
	v_cmp_eq_u64_e64 s10, v[44:45], v[80:81]
	s_delay_alu instid0(VALU_DEP_2)
	v_mov_b64_e32 v[80:81], v[16:17]
	s_and_saveexec_b32 s41, s10
; %bb.1223:                             ;   in Loop: Header=BB2_1131 Depth=2
	v_bfe_u32 v48, v16, 20, 1
	s_delay_alu instid0(VALU_DEP_1) | instskip(NEXT) | instid1(VALU_DEP_1)
	v_add_nc_u64_e32 v[80:81], v[16:17], v[48:49]
	v_add_nc_u64_e32 v[80:81], -1, v[80:81]
; %bb.1224:                             ;   in Loop: Header=BB2_1131 Depth=2
	s_or_b32 exec_lo, exec_lo, s41
	v_add_nc_u32_e32 v17, 0xffffff81, v99
	v_lshrrev_b32_e32 v48, 23, v16
	s_mov_b32 s10, exec_lo
	s_delay_alu instid0(VALU_DEP_2) | instskip(NEXT) | instid1(VALU_DEP_1)
	v_cndmask_b32_e64 v17, v17, 0xffffff82, vcc_lo
	v_add3_u32 v81, v42, v17, v48
	v_and_b32_e32 v17, 0xfffff, v80
                                        ; implicit-def: $vgpr80
	s_delay_alu instid0(VALU_DEP_1) | instskip(NEXT) | instid1(VALU_DEP_1)
	v_dual_add_nc_u32 v99, 6, v81 :: v_dual_add_nc_u32 v48, v17, v16
                                        ; implicit-def: $vgpr16_vgpr17
	v_cmpx_ne_u32_e32 0, v99
	s_xor_b32 s10, exec_lo, s10
; %bb.1225:                             ;   in Loop: Header=BB2_1131 Depth=2
	s_delay_alu instid0(VALU_DEP_2) | instskip(SKIP_1) | instid1(VALU_DEP_1)
	v_cmp_lt_u64_e32 vcc_lo, 0xffffff, v[48:49]
	v_add_nc_u32_e32 v16, 7, v81
	v_cndmask_b32_e32 v80, v99, v16, vcc_lo
	v_cndmask_b32_e64 v16, 0, 1, vcc_lo
	s_delay_alu instid0(VALU_DEP_1)
	v_lshrrev_b64 v[16:17], v16, v[48:49]
; %bb.1226:                             ;   in Loop: Header=BB2_1131 Depth=2
	s_and_not1_saveexec_b32 s10, s10
; %bb.1227:                             ;   in Loop: Header=BB2_1131 Depth=2
	v_mov_b64_e32 v[16:17], v[48:49]
	v_bfe_u32 v80, v48, 23, 1
; %bb.1228:                             ;   in Loop: Header=BB2_1131 Depth=2
	s_or_b32 exec_lo, exec_lo, s10
	s_delay_alu instid0(VALU_DEP_2) | instskip(NEXT) | instid1(VALU_DEP_2)
	v_lshrrev_b64 v[16:17], 20, v[16:17]
	v_cmp_gt_i32_e32 vcc_lo, 16, v80
	v_cmp_ne_u32_e64 s10, 0, v80
                                        ; implicit-def: $vgpr99
	s_delay_alu instid0(VALU_DEP_3) | instskip(NEXT) | instid1(VALU_DEP_1)
	v_dual_cndmask_b32 v17, 0, v17 :: v_dual_cndmask_b32 v16, 7, v16
	v_cmp_ne_u64_e32 vcc_lo, 0, v[16:17]
	s_or_b32 s10, s10, vcc_lo
	s_delay_alu instid0(SALU_CYCLE_1) | instskip(NEXT) | instid1(SALU_CYCLE_1)
	s_and_saveexec_b32 s41, s10
	s_xor_b32 s10, exec_lo, s41
; %bb.1229:                             ;   in Loop: Header=BB2_1131 Depth=2
	v_min_i32_e32 v17, 15, v80
	s_delay_alu instid0(VALU_DEP_1) | instskip(NEXT) | instid1(VALU_DEP_1)
	v_lshl_or_b32 v17, v17, 3, v41
                                        ; implicit-def: $vgpr41
	v_and_or_b32 v99, v16, 7, v17
; %bb.1230:                             ;   in Loop: Header=BB2_1131 Depth=2
	s_and_not1_saveexec_b32 s10, s10
; %bb.1231:                             ;   in Loop: Header=BB2_1131 Depth=2
	v_mov_b32_e32 v99, v41
; %bb.1232:                             ;   in Loop: Header=BB2_1131 Depth=2
	s_or_b32 exec_lo, exec_lo, s10
.LBB2_1233:                             ;   in Loop: Header=BB2_1131 Depth=2
	s_delay_alu instid0(SALU_CYCLE_1)
	s_or_b32 exec_lo, exec_lo, s40
                                        ; implicit-def: $vgpr41
.LBB2_1234:                             ;   in Loop: Header=BB2_1131 Depth=2
	s_and_not1_saveexec_b32 s10, s29
; %bb.1235:                             ;   in Loop: Header=BB2_1131 Depth=2
	v_or_b32_e32 v99, 0x7e, v41
; %bb.1236:                             ;   in Loop: Header=BB2_1131 Depth=2
	s_or_b32 exec_lo, exec_lo, s10
                                        ; implicit-def: $vgpr17
.LBB2_1237:                             ;   in Loop: Header=BB2_1131 Depth=2
	s_and_not1_saveexec_b32 s10, s28
; %bb.1238:                             ;   in Loop: Header=BB2_1131 Depth=2
	v_or_b32_e32 v99, 0x7f, v17
; %bb.1239:                             ;   in Loop: Header=BB2_1131 Depth=2
	s_or_b32 exec_lo, exec_lo, s10
	v_and_b32_e32 v48, 0xff, v40
	v_dual_mov_b32 v16, 0 :: v_dual_mov_b32 v17, 0
	s_mov_b32 s10, exec_lo
	s_delay_alu instid0(VALU_DEP_2)
	v_cmpx_ne_u16_e32 0, v48
	s_cbranch_execz .LBB2_1247
; %bb.1240:                             ;   in Loop: Header=BB2_1131 Depth=2
	v_bfrev_b32_e32 v17, 1
	s_mov_b32 s28, exec_lo
	v_cmpx_ne_u16_e32 0x80, v48
	s_cbranch_execz .LBB2_1246
; %bb.1241:                             ;   in Loop: Header=BB2_1131 Depth=2
	v_and_b32_e32 v80, 0x7f, v40
	v_mov_b32_e32 v17, 0x7f800001
	s_mov_b32 s29, exec_lo
	s_delay_alu instid0(VALU_DEP_2)
	v_cmpx_ne_u32_e32 0x7f, v80
	s_cbranch_execz .LBB2_1245
; %bb.1242:                             ;   in Loop: Header=BB2_1131 Depth=2
	v_and_b32_e32 v48, 7, v48
	v_lshrrev_b32_e32 v17, 3, v80
	s_mov_b32 s40, exec_lo
	v_cmpx_gt_u32_e32 8, v80
; %bb.1243:                             ;   in Loop: Header=BB2_1131 Depth=2
	s_delay_alu instid0(VALU_DEP_3) | instskip(NEXT) | instid1(VALU_DEP_1)
	v_clz_i32_u32_e32 v17, v48
	v_min_u32_e32 v17, 32, v17
	s_delay_alu instid0(VALU_DEP_1) | instskip(NEXT) | instid1(VALU_DEP_1)
	v_subrev_nc_u32_e32 v80, 28, v17
	v_lshlrev_b64_e32 v[80:81], v80, v[48:49]
	s_delay_alu instid0(VALU_DEP_1)
	v_dual_sub_nc_u32 v17, 29, v17 :: v_dual_bitop2_b32 v48, 7, v80 bitop3:0x40
; %bb.1244:                             ;   in Loop: Header=BB2_1131 Depth=2
	s_or_b32 exec_lo, exec_lo, s40
	v_lshlrev_b32_e32 v80, 24, v40
	s_delay_alu instid0(VALU_DEP_2) | instskip(NEXT) | instid1(VALU_DEP_3)
	v_lshlrev_b32_e32 v48, 20, v48
	v_lshl_add_u32 v17, v17, 23, 0x3c000000
	s_delay_alu instid0(VALU_DEP_3) | instskip(NEXT) | instid1(VALU_DEP_1)
	v_and_b32_e32 v80, 0x80000000, v80
	v_or3_b32 v17, v48, v80, v17
.LBB2_1245:                             ;   in Loop: Header=BB2_1131 Depth=2
	s_or_b32 exec_lo, exec_lo, s29
.LBB2_1246:                             ;   in Loop: Header=BB2_1131 Depth=2
	s_delay_alu instid0(SALU_CYCLE_1)
	s_or_b32 exec_lo, exec_lo, s28
.LBB2_1247:                             ;   in Loop: Header=BB2_1131 Depth=2
	s_delay_alu instid0(SALU_CYCLE_1) | instskip(SKIP_3) | instid1(VALU_DEP_1)
	s_or_b32 exec_lo, exec_lo, s10
	s_wait_loadcnt_dscnt 0x404
	v_and_b32_e32 v48, 0xff, v102
	s_mov_b32 s10, exec_lo
	v_cmpx_ne_u16_e32 0, v48
	s_cbranch_execz .LBB2_1255
; %bb.1248:                             ;   in Loop: Header=BB2_1131 Depth=2
	v_bfrev_b32_e32 v16, 1
	s_mov_b32 s28, exec_lo
	v_cmpx_ne_u16_e32 0x80, v48
	s_cbranch_execz .LBB2_1254
; %bb.1249:                             ;   in Loop: Header=BB2_1131 Depth=2
	v_and_b32_e32 v80, 0x7f, v102
	v_mov_b32_e32 v16, 0x7f800001
	s_mov_b32 s29, exec_lo
	s_delay_alu instid0(VALU_DEP_2)
	v_cmpx_ne_u32_e32 0x7f, v80
	s_cbranch_execz .LBB2_1253
; %bb.1250:                             ;   in Loop: Header=BB2_1131 Depth=2
	v_and_b32_e32 v48, 7, v48
	v_lshrrev_b32_e32 v16, 3, v80
	s_mov_b32 s40, exec_lo
	v_cmpx_gt_u32_e32 8, v80
; %bb.1251:                             ;   in Loop: Header=BB2_1131 Depth=2
	s_delay_alu instid0(VALU_DEP_3) | instskip(NEXT) | instid1(VALU_DEP_1)
	v_clz_i32_u32_e32 v16, v48
	v_min_u32_e32 v16, 32, v16
	s_delay_alu instid0(VALU_DEP_1) | instskip(SKIP_1) | instid1(VALU_DEP_2)
	v_subrev_nc_u32_e32 v80, 28, v16
	v_sub_nc_u32_e32 v16, 29, v16
	v_lshlrev_b64_e32 v[80:81], v80, v[48:49]
	s_delay_alu instid0(VALU_DEP_1)
	v_and_b32_e32 v48, 7, v80
; %bb.1252:                             ;   in Loop: Header=BB2_1131 Depth=2
	s_or_b32 exec_lo, exec_lo, s40
	s_delay_alu instid0(VALU_DEP_1) | instskip(SKIP_1) | instid1(VALU_DEP_2)
	v_dual_lshlrev_b32 v80, 24, v102 :: v_dual_lshlrev_b32 v48, 20, v48
	v_lshl_add_u32 v16, v16, 23, 0x3c000000
	v_and_b32_e32 v80, 0x80000000, v80
	s_delay_alu instid0(VALU_DEP_1)
	v_or3_b32 v16, v48, v80, v16
.LBB2_1253:                             ;   in Loop: Header=BB2_1131 Depth=2
	s_or_b32 exec_lo, exec_lo, s29
.LBB2_1254:                             ;   in Loop: Header=BB2_1131 Depth=2
	s_delay_alu instid0(SALU_CYCLE_1)
	s_or_b32 exec_lo, exec_lo, s28
.LBB2_1255:                             ;   in Loop: Header=BB2_1131 Depth=2
	s_delay_alu instid0(SALU_CYCLE_1) | instskip(NEXT) | instid1(VALU_DEP_1)
	s_or_b32 exec_lo, exec_lo, s10
	v_mul_f32_e32 v16, v17, v16
                                        ; implicit-def: $vgpr102
	s_mov_b32 s10, exec_lo
	s_delay_alu instid0(VALU_DEP_1) | instskip(SKIP_1) | instid1(VALU_DEP_2)
	v_and_b32_e32 v48, 0x7f800000, v16
	v_lshrrev_b32_e32 v17, 24, v16
	v_cmpx_ne_u64_e32 0x7f800000, v[48:49]
	s_xor_b32 s28, exec_lo, s10
	s_cbranch_execz .LBB2_1273
; %bb.1256:                             ;   in Loop: Header=BB2_1131 Depth=2
	v_and_b32_e32 v48, 0x7fffffff, v16
	v_and_b32_e32 v40, 0x80, v17
                                        ; implicit-def: $vgpr102
	s_mov_b32 s10, exec_lo
	s_delay_alu instid0(VALU_DEP_2)
	v_cmpx_gt_u64_e32 0x43e00001, v[48:49]
	s_xor_b32 s29, exec_lo, s10
	s_cbranch_execz .LBB2_1270
; %bb.1257:                             ;   in Loop: Header=BB2_1131 Depth=2
	v_mov_b32_e32 v102, 0
	s_mov_b32 s40, exec_lo
	v_cmpx_ne_u32_e32 0, v16
	s_cbranch_execz .LBB2_1269
; %bb.1258:                             ;   in Loop: Header=BB2_1131 Depth=2
	v_bfe_u32 v102, v16, 23, 8
	v_and_b32_e32 v48, 0x7fffff, v16
	s_delay_alu instid0(VALU_DEP_2) | instskip(NEXT) | instid1(VALU_DEP_2)
	v_cmp_gt_u32_e32 vcc_lo, 0x7a, v102
	v_or_b32_e32 v80, 0x800000, v48
	v_sub_nc_u32_e32 v17, 0x79, v102
	s_delay_alu instid0(VALU_DEP_1) | instskip(SKIP_1) | instid1(VALU_DEP_2)
	v_cndmask_b32_e32 v17, 0, v17, vcc_lo
	v_cmp_eq_u32_e32 vcc_lo, 0, v102
	v_cndmask_b32_e64 v41, v17, 0x78, vcc_lo
	s_delay_alu instid0(VALU_DEP_1) | instskip(SKIP_1) | instid1(VALU_DEP_2)
	v_dual_cndmask_b32 v48, v80, v48, vcc_lo :: v_dual_add_nc_u32 v16, 20, v41
	v_add_nc_u32_e32 v81, 19, v41
	v_lshlrev_b64_e64 v[16:17], v16, -1
	s_delay_alu instid0(VALU_DEP_2) | instskip(NEXT) | instid1(VALU_DEP_2)
	v_lshlrev_b64_e64 v[80:81], v81, 1
	v_bfi_b32 v43, v17, 0, 0
	s_delay_alu instid0(VALU_DEP_3) | instskip(SKIP_1) | instid1(VALU_DEP_2)
	v_bfi_b32 v42, v16, 0, v48
	v_lshrrev_b64 v[16:17], v41, v[48:49]
	v_cmp_eq_u64_e64 s10, v[42:43], v[80:81]
	s_delay_alu instid0(VALU_DEP_2)
	v_mov_b64_e32 v[80:81], v[16:17]
	s_and_saveexec_b32 s41, s10
; %bb.1259:                             ;   in Loop: Header=BB2_1131 Depth=2
	v_bfe_u32 v48, v16, 20, 1
	s_delay_alu instid0(VALU_DEP_1) | instskip(NEXT) | instid1(VALU_DEP_1)
	v_add_nc_u64_e32 v[80:81], v[16:17], v[48:49]
	v_add_nc_u64_e32 v[80:81], -1, v[80:81]
; %bb.1260:                             ;   in Loop: Header=BB2_1131 Depth=2
	s_or_b32 exec_lo, exec_lo, s41
	v_add_nc_u32_e32 v17, 0xffffff81, v102
	v_lshrrev_b32_e32 v48, 23, v16
	s_mov_b32 s10, exec_lo
	s_delay_alu instid0(VALU_DEP_2) | instskip(NEXT) | instid1(VALU_DEP_1)
	v_cndmask_b32_e64 v17, v17, 0xffffff82, vcc_lo
	v_add3_u32 v81, v41, v17, v48
	v_and_b32_e32 v17, 0xfffff, v80
                                        ; implicit-def: $vgpr80
	s_delay_alu instid0(VALU_DEP_1) | instskip(NEXT) | instid1(VALU_DEP_1)
	v_dual_add_nc_u32 v102, 6, v81 :: v_dual_add_nc_u32 v48, v17, v16
                                        ; implicit-def: $vgpr16_vgpr17
	v_cmpx_ne_u32_e32 0, v102
	s_xor_b32 s10, exec_lo, s10
; %bb.1261:                             ;   in Loop: Header=BB2_1131 Depth=2
	s_delay_alu instid0(VALU_DEP_2) | instskip(SKIP_1) | instid1(VALU_DEP_1)
	v_cmp_lt_u64_e32 vcc_lo, 0xffffff, v[48:49]
	v_add_nc_u32_e32 v16, 7, v81
	v_cndmask_b32_e32 v80, v102, v16, vcc_lo
	v_cndmask_b32_e64 v16, 0, 1, vcc_lo
	s_delay_alu instid0(VALU_DEP_1)
	v_lshrrev_b64 v[16:17], v16, v[48:49]
; %bb.1262:                             ;   in Loop: Header=BB2_1131 Depth=2
	s_and_not1_saveexec_b32 s10, s10
; %bb.1263:                             ;   in Loop: Header=BB2_1131 Depth=2
	v_mov_b64_e32 v[16:17], v[48:49]
	v_bfe_u32 v80, v48, 23, 1
; %bb.1264:                             ;   in Loop: Header=BB2_1131 Depth=2
	s_or_b32 exec_lo, exec_lo, s10
	s_delay_alu instid0(VALU_DEP_2) | instskip(NEXT) | instid1(VALU_DEP_2)
	v_lshrrev_b64 v[16:17], 20, v[16:17]
	v_cmp_gt_i32_e32 vcc_lo, 16, v80
	v_cmp_ne_u32_e64 s10, 0, v80
                                        ; implicit-def: $vgpr102
	s_delay_alu instid0(VALU_DEP_3) | instskip(NEXT) | instid1(VALU_DEP_1)
	v_dual_cndmask_b32 v17, 0, v17 :: v_dual_cndmask_b32 v16, 7, v16
	v_cmp_ne_u64_e32 vcc_lo, 0, v[16:17]
	s_or_b32 s10, s10, vcc_lo
	s_delay_alu instid0(SALU_CYCLE_1) | instskip(NEXT) | instid1(SALU_CYCLE_1)
	s_and_saveexec_b32 s41, s10
	s_xor_b32 s10, exec_lo, s41
; %bb.1265:                             ;   in Loop: Header=BB2_1131 Depth=2
	v_min_i32_e32 v17, 15, v80
	s_delay_alu instid0(VALU_DEP_1) | instskip(NEXT) | instid1(VALU_DEP_1)
	v_lshl_or_b32 v17, v17, 3, v40
                                        ; implicit-def: $vgpr40
	v_and_or_b32 v102, v16, 7, v17
; %bb.1266:                             ;   in Loop: Header=BB2_1131 Depth=2
	s_and_not1_saveexec_b32 s10, s10
; %bb.1267:                             ;   in Loop: Header=BB2_1131 Depth=2
	v_mov_b32_e32 v102, v40
; %bb.1268:                             ;   in Loop: Header=BB2_1131 Depth=2
	s_or_b32 exec_lo, exec_lo, s10
.LBB2_1269:                             ;   in Loop: Header=BB2_1131 Depth=2
	s_delay_alu instid0(SALU_CYCLE_1)
	s_or_b32 exec_lo, exec_lo, s40
                                        ; implicit-def: $vgpr40
.LBB2_1270:                             ;   in Loop: Header=BB2_1131 Depth=2
	s_and_not1_saveexec_b32 s10, s29
; %bb.1271:                             ;   in Loop: Header=BB2_1131 Depth=2
	v_or_b32_e32 v102, 0x7e, v40
; %bb.1272:                             ;   in Loop: Header=BB2_1131 Depth=2
	s_or_b32 exec_lo, exec_lo, s10
                                        ; implicit-def: $vgpr17
.LBB2_1273:                             ;   in Loop: Header=BB2_1131 Depth=2
	s_and_not1_saveexec_b32 s10, s28
; %bb.1274:                             ;   in Loop: Header=BB2_1131 Depth=2
	v_or_b32_e32 v102, 0x7f, v17
; %bb.1275:                             ;   in Loop: Header=BB2_1131 Depth=2
	s_or_b32 exec_lo, exec_lo, s10
	v_and_b32_e32 v48, 0xff, v103
	v_dual_mov_b32 v16, 0 :: v_dual_mov_b32 v17, 0
	s_mov_b32 s10, exec_lo
	s_delay_alu instid0(VALU_DEP_2)
	v_cmpx_ne_u16_e32 0, v48
	s_cbranch_execz .LBB2_1283
; %bb.1276:                             ;   in Loop: Header=BB2_1131 Depth=2
	v_bfrev_b32_e32 v17, 1
	s_mov_b32 s28, exec_lo
	v_cmpx_ne_u16_e32 0x80, v48
	s_cbranch_execz .LBB2_1282
; %bb.1277:                             ;   in Loop: Header=BB2_1131 Depth=2
	v_and_b32_e32 v80, 0x7f, v103
	v_mov_b32_e32 v17, 0x7f800001
	s_mov_b32 s29, exec_lo
	s_delay_alu instid0(VALU_DEP_2)
	v_cmpx_ne_u32_e32 0x7f, v80
	s_cbranch_execz .LBB2_1281
; %bb.1278:                             ;   in Loop: Header=BB2_1131 Depth=2
	v_and_b32_e32 v48, 7, v48
	v_lshrrev_b32_e32 v17, 3, v80
	s_mov_b32 s40, exec_lo
	v_cmpx_gt_u32_e32 8, v80
; %bb.1279:                             ;   in Loop: Header=BB2_1131 Depth=2
	s_delay_alu instid0(VALU_DEP_3) | instskip(NEXT) | instid1(VALU_DEP_1)
	v_clz_i32_u32_e32 v17, v48
	v_min_u32_e32 v17, 32, v17
	s_delay_alu instid0(VALU_DEP_1) | instskip(NEXT) | instid1(VALU_DEP_1)
	v_subrev_nc_u32_e32 v80, 28, v17
	v_lshlrev_b64_e32 v[80:81], v80, v[48:49]
	s_delay_alu instid0(VALU_DEP_1)
	v_dual_sub_nc_u32 v17, 29, v17 :: v_dual_bitop2_b32 v48, 7, v80 bitop3:0x40
; %bb.1280:                             ;   in Loop: Header=BB2_1131 Depth=2
	s_or_b32 exec_lo, exec_lo, s40
	s_delay_alu instid0(VALU_DEP_1) | instskip(NEXT) | instid1(VALU_DEP_2)
	v_dual_lshlrev_b32 v80, 24, v103 :: v_dual_lshlrev_b32 v48, 20, v48
	v_lshl_add_u32 v17, v17, 23, 0x3c000000
	s_delay_alu instid0(VALU_DEP_2) | instskip(NEXT) | instid1(VALU_DEP_1)
	v_and_b32_e32 v80, 0x80000000, v80
	v_or3_b32 v17, v48, v80, v17
.LBB2_1281:                             ;   in Loop: Header=BB2_1131 Depth=2
	s_or_b32 exec_lo, exec_lo, s29
.LBB2_1282:                             ;   in Loop: Header=BB2_1131 Depth=2
	s_delay_alu instid0(SALU_CYCLE_1)
	s_or_b32 exec_lo, exec_lo, s28
.LBB2_1283:                             ;   in Loop: Header=BB2_1131 Depth=2
	s_delay_alu instid0(SALU_CYCLE_1) | instskip(SKIP_3) | instid1(VALU_DEP_1)
	s_or_b32 exec_lo, exec_lo, s10
	s_wait_loadcnt_dscnt 0x303
	v_and_b32_e32 v48, 0xff, v101
	s_mov_b32 s10, exec_lo
	v_cmpx_ne_u16_e32 0, v48
	s_cbranch_execz .LBB2_1291
; %bb.1284:                             ;   in Loop: Header=BB2_1131 Depth=2
	v_bfrev_b32_e32 v16, 1
	s_mov_b32 s28, exec_lo
	v_cmpx_ne_u16_e32 0x80, v48
	s_cbranch_execz .LBB2_1290
; %bb.1285:                             ;   in Loop: Header=BB2_1131 Depth=2
	v_and_b32_e32 v80, 0x7f, v101
	v_mov_b32_e32 v16, 0x7f800001
	s_mov_b32 s29, exec_lo
	s_delay_alu instid0(VALU_DEP_2)
	v_cmpx_ne_u32_e32 0x7f, v80
	s_cbranch_execz .LBB2_1289
; %bb.1286:                             ;   in Loop: Header=BB2_1131 Depth=2
	v_and_b32_e32 v48, 7, v48
	v_lshrrev_b32_e32 v16, 3, v80
	s_mov_b32 s40, exec_lo
	v_cmpx_gt_u32_e32 8, v80
; %bb.1287:                             ;   in Loop: Header=BB2_1131 Depth=2
	s_delay_alu instid0(VALU_DEP_3) | instskip(NEXT) | instid1(VALU_DEP_1)
	v_clz_i32_u32_e32 v16, v48
	v_min_u32_e32 v16, 32, v16
	s_delay_alu instid0(VALU_DEP_1) | instskip(SKIP_1) | instid1(VALU_DEP_2)
	v_subrev_nc_u32_e32 v80, 28, v16
	v_sub_nc_u32_e32 v16, 29, v16
	v_lshlrev_b64_e32 v[80:81], v80, v[48:49]
	s_delay_alu instid0(VALU_DEP_1)
	v_and_b32_e32 v48, 7, v80
; %bb.1288:                             ;   in Loop: Header=BB2_1131 Depth=2
	s_or_b32 exec_lo, exec_lo, s40
	s_delay_alu instid0(VALU_DEP_1) | instskip(SKIP_1) | instid1(VALU_DEP_2)
	v_dual_lshlrev_b32 v80, 24, v101 :: v_dual_lshlrev_b32 v48, 20, v48
	v_lshl_add_u32 v16, v16, 23, 0x3c000000
	v_and_b32_e32 v80, 0x80000000, v80
	s_delay_alu instid0(VALU_DEP_1)
	v_or3_b32 v16, v48, v80, v16
.LBB2_1289:                             ;   in Loop: Header=BB2_1131 Depth=2
	s_or_b32 exec_lo, exec_lo, s29
.LBB2_1290:                             ;   in Loop: Header=BB2_1131 Depth=2
	s_delay_alu instid0(SALU_CYCLE_1)
	s_or_b32 exec_lo, exec_lo, s28
.LBB2_1291:                             ;   in Loop: Header=BB2_1131 Depth=2
	s_delay_alu instid0(SALU_CYCLE_1) | instskip(NEXT) | instid1(VALU_DEP_1)
	s_or_b32 exec_lo, exec_lo, s10
	v_mul_f32_e32 v16, v17, v16
                                        ; implicit-def: $vgpr101
	s_mov_b32 s10, exec_lo
	s_delay_alu instid0(VALU_DEP_1) | instskip(SKIP_1) | instid1(VALU_DEP_2)
	v_and_b32_e32 v48, 0x7f800000, v16
	v_lshrrev_b32_e32 v17, 24, v16
	v_cmpx_ne_u64_e32 0x7f800000, v[48:49]
	s_xor_b32 s28, exec_lo, s10
	s_cbranch_execz .LBB2_1309
; %bb.1292:                             ;   in Loop: Header=BB2_1131 Depth=2
	v_and_b32_e32 v48, 0x7fffffff, v16
	v_and_b32_e32 v103, 0x80, v17
                                        ; implicit-def: $vgpr101
	s_mov_b32 s10, exec_lo
	s_delay_alu instid0(VALU_DEP_2)
	v_cmpx_gt_u64_e32 0x43e00001, v[48:49]
	s_xor_b32 s29, exec_lo, s10
	s_cbranch_execz .LBB2_1306
; %bb.1293:                             ;   in Loop: Header=BB2_1131 Depth=2
	v_mov_b32_e32 v101, 0
	s_mov_b32 s40, exec_lo
	v_cmpx_ne_u32_e32 0, v16
	s_cbranch_execz .LBB2_1305
; %bb.1294:                             ;   in Loop: Header=BB2_1131 Depth=2
	v_bfe_u32 v101, v16, 23, 8
	v_and_b32_e32 v48, 0x7fffff, v16
	s_delay_alu instid0(VALU_DEP_2) | instskip(NEXT) | instid1(VALU_DEP_2)
	v_cmp_gt_u32_e32 vcc_lo, 0x7a, v101
	v_or_b32_e32 v80, 0x800000, v48
	v_sub_nc_u32_e32 v17, 0x79, v101
	s_delay_alu instid0(VALU_DEP_1) | instskip(SKIP_1) | instid1(VALU_DEP_2)
	v_cndmask_b32_e32 v17, 0, v17, vcc_lo
	v_cmp_eq_u32_e32 vcc_lo, 0, v101
	v_cndmask_b32_e64 v40, v17, 0x78, vcc_lo
	v_cndmask_b32_e32 v48, v80, v48, vcc_lo
	s_delay_alu instid0(VALU_DEP_2) | instskip(NEXT) | instid1(VALU_DEP_1)
	v_dual_add_nc_u32 v16, 20, v40 :: v_dual_add_nc_u32 v81, 19, v40
	v_lshlrev_b64_e64 v[16:17], v16, -1
	s_delay_alu instid0(VALU_DEP_2) | instskip(NEXT) | instid1(VALU_DEP_2)
	v_lshlrev_b64_e64 v[80:81], v81, 1
	v_bfi_b32 v43, v17, 0, 0
	s_delay_alu instid0(VALU_DEP_3) | instskip(SKIP_1) | instid1(VALU_DEP_2)
	v_bfi_b32 v42, v16, 0, v48
	v_lshrrev_b64 v[16:17], v40, v[48:49]
	v_cmp_eq_u64_e64 s10, v[42:43], v[80:81]
	s_delay_alu instid0(VALU_DEP_2)
	v_mov_b64_e32 v[80:81], v[16:17]
	s_and_saveexec_b32 s41, s10
; %bb.1295:                             ;   in Loop: Header=BB2_1131 Depth=2
	v_bfe_u32 v48, v16, 20, 1
	s_delay_alu instid0(VALU_DEP_1) | instskip(NEXT) | instid1(VALU_DEP_1)
	v_add_nc_u64_e32 v[80:81], v[16:17], v[48:49]
	v_add_nc_u64_e32 v[80:81], -1, v[80:81]
; %bb.1296:                             ;   in Loop: Header=BB2_1131 Depth=2
	s_or_b32 exec_lo, exec_lo, s41
	v_add_nc_u32_e32 v17, 0xffffff81, v101
	v_lshrrev_b32_e32 v48, 23, v16
	s_mov_b32 s10, exec_lo
	s_delay_alu instid0(VALU_DEP_2) | instskip(NEXT) | instid1(VALU_DEP_1)
	v_cndmask_b32_e64 v17, v17, 0xffffff82, vcc_lo
	v_add3_u32 v81, v40, v17, v48
	v_and_b32_e32 v17, 0xfffff, v80
                                        ; implicit-def: $vgpr80
	s_delay_alu instid0(VALU_DEP_1) | instskip(NEXT) | instid1(VALU_DEP_1)
	v_dual_add_nc_u32 v101, 6, v81 :: v_dual_add_nc_u32 v48, v17, v16
                                        ; implicit-def: $vgpr16_vgpr17
	v_cmpx_ne_u32_e32 0, v101
	s_xor_b32 s10, exec_lo, s10
; %bb.1297:                             ;   in Loop: Header=BB2_1131 Depth=2
	s_delay_alu instid0(VALU_DEP_2) | instskip(SKIP_1) | instid1(VALU_DEP_1)
	v_cmp_lt_u64_e32 vcc_lo, 0xffffff, v[48:49]
	v_add_nc_u32_e32 v16, 7, v81
	v_cndmask_b32_e32 v80, v101, v16, vcc_lo
	v_cndmask_b32_e64 v16, 0, 1, vcc_lo
	s_delay_alu instid0(VALU_DEP_1)
	v_lshrrev_b64 v[16:17], v16, v[48:49]
; %bb.1298:                             ;   in Loop: Header=BB2_1131 Depth=2
	s_and_not1_saveexec_b32 s10, s10
; %bb.1299:                             ;   in Loop: Header=BB2_1131 Depth=2
	v_mov_b64_e32 v[16:17], v[48:49]
	v_bfe_u32 v80, v48, 23, 1
; %bb.1300:                             ;   in Loop: Header=BB2_1131 Depth=2
	s_or_b32 exec_lo, exec_lo, s10
	s_delay_alu instid0(VALU_DEP_2) | instskip(NEXT) | instid1(VALU_DEP_2)
	v_lshrrev_b64 v[16:17], 20, v[16:17]
	v_cmp_gt_i32_e32 vcc_lo, 16, v80
	v_cmp_ne_u32_e64 s10, 0, v80
                                        ; implicit-def: $vgpr101
	s_delay_alu instid0(VALU_DEP_3) | instskip(NEXT) | instid1(VALU_DEP_1)
	v_dual_cndmask_b32 v17, 0, v17 :: v_dual_cndmask_b32 v16, 7, v16
	v_cmp_ne_u64_e32 vcc_lo, 0, v[16:17]
	s_or_b32 s10, s10, vcc_lo
	s_delay_alu instid0(SALU_CYCLE_1) | instskip(NEXT) | instid1(SALU_CYCLE_1)
	s_and_saveexec_b32 s41, s10
	s_xor_b32 s10, exec_lo, s41
; %bb.1301:                             ;   in Loop: Header=BB2_1131 Depth=2
	v_min_i32_e32 v17, 15, v80
	s_delay_alu instid0(VALU_DEP_1) | instskip(NEXT) | instid1(VALU_DEP_1)
	v_lshl_or_b32 v17, v17, 3, v103
                                        ; implicit-def: $vgpr103
	v_and_or_b32 v101, v16, 7, v17
; %bb.1302:                             ;   in Loop: Header=BB2_1131 Depth=2
	s_and_not1_saveexec_b32 s10, s10
; %bb.1303:                             ;   in Loop: Header=BB2_1131 Depth=2
	v_mov_b32_e32 v101, v103
; %bb.1304:                             ;   in Loop: Header=BB2_1131 Depth=2
	s_or_b32 exec_lo, exec_lo, s10
.LBB2_1305:                             ;   in Loop: Header=BB2_1131 Depth=2
	s_delay_alu instid0(SALU_CYCLE_1)
	s_or_b32 exec_lo, exec_lo, s40
                                        ; implicit-def: $vgpr103
.LBB2_1306:                             ;   in Loop: Header=BB2_1131 Depth=2
	s_and_not1_saveexec_b32 s10, s29
; %bb.1307:                             ;   in Loop: Header=BB2_1131 Depth=2
	v_or_b32_e32 v101, 0x7e, v103
; %bb.1308:                             ;   in Loop: Header=BB2_1131 Depth=2
	s_or_b32 exec_lo, exec_lo, s10
                                        ; implicit-def: $vgpr17
.LBB2_1309:                             ;   in Loop: Header=BB2_1131 Depth=2
	s_and_not1_saveexec_b32 s10, s28
; %bb.1310:                             ;   in Loop: Header=BB2_1131 Depth=2
	v_or_b32_e32 v101, 0x7f, v17
; %bb.1311:                             ;   in Loop: Header=BB2_1131 Depth=2
	s_or_b32 exec_lo, exec_lo, s10
	v_and_b32_e32 v48, 0xff, v100
	v_dual_mov_b32 v16, 0 :: v_dual_mov_b32 v17, 0
	s_mov_b32 s10, exec_lo
	s_delay_alu instid0(VALU_DEP_2)
	v_cmpx_ne_u16_e32 0, v48
	s_cbranch_execz .LBB2_1319
; %bb.1312:                             ;   in Loop: Header=BB2_1131 Depth=2
	v_bfrev_b32_e32 v17, 1
	s_mov_b32 s28, exec_lo
	v_cmpx_ne_u16_e32 0x80, v48
	s_cbranch_execz .LBB2_1318
; %bb.1313:                             ;   in Loop: Header=BB2_1131 Depth=2
	v_and_b32_e32 v80, 0x7f, v100
	v_mov_b32_e32 v17, 0x7f800001
	s_mov_b32 s29, exec_lo
	s_delay_alu instid0(VALU_DEP_2)
	v_cmpx_ne_u32_e32 0x7f, v80
	s_cbranch_execz .LBB2_1317
; %bb.1314:                             ;   in Loop: Header=BB2_1131 Depth=2
	v_and_b32_e32 v48, 7, v48
	v_lshrrev_b32_e32 v17, 3, v80
	s_mov_b32 s40, exec_lo
	v_cmpx_gt_u32_e32 8, v80
; %bb.1315:                             ;   in Loop: Header=BB2_1131 Depth=2
	s_delay_alu instid0(VALU_DEP_3) | instskip(NEXT) | instid1(VALU_DEP_1)
	v_clz_i32_u32_e32 v17, v48
	v_min_u32_e32 v17, 32, v17
	s_delay_alu instid0(VALU_DEP_1) | instskip(NEXT) | instid1(VALU_DEP_1)
	v_subrev_nc_u32_e32 v80, 28, v17
	v_lshlrev_b64_e32 v[80:81], v80, v[48:49]
	s_delay_alu instid0(VALU_DEP_1)
	v_dual_sub_nc_u32 v17, 29, v17 :: v_dual_bitop2_b32 v48, 7, v80 bitop3:0x40
; %bb.1316:                             ;   in Loop: Header=BB2_1131 Depth=2
	s_or_b32 exec_lo, exec_lo, s40
	v_lshlrev_b32_e32 v80, 24, v100
	s_delay_alu instid0(VALU_DEP_2) | instskip(NEXT) | instid1(VALU_DEP_3)
	v_lshlrev_b32_e32 v48, 20, v48
	v_lshl_add_u32 v17, v17, 23, 0x3c000000
	s_delay_alu instid0(VALU_DEP_3) | instskip(NEXT) | instid1(VALU_DEP_1)
	v_and_b32_e32 v80, 0x80000000, v80
	v_or3_b32 v17, v48, v80, v17
.LBB2_1317:                             ;   in Loop: Header=BB2_1131 Depth=2
	s_or_b32 exec_lo, exec_lo, s29
.LBB2_1318:                             ;   in Loop: Header=BB2_1131 Depth=2
	s_delay_alu instid0(SALU_CYCLE_1)
	s_or_b32 exec_lo, exec_lo, s28
.LBB2_1319:                             ;   in Loop: Header=BB2_1131 Depth=2
	s_delay_alu instid0(SALU_CYCLE_1) | instskip(SKIP_3) | instid1(VALU_DEP_1)
	s_or_b32 exec_lo, exec_lo, s10
	s_wait_loadcnt_dscnt 0x202
	v_and_b32_e32 v48, 0xff, v98
	s_mov_b32 s10, exec_lo
	v_cmpx_ne_u16_e32 0, v48
	s_cbranch_execz .LBB2_1327
; %bb.1320:                             ;   in Loop: Header=BB2_1131 Depth=2
	v_bfrev_b32_e32 v16, 1
	s_mov_b32 s28, exec_lo
	v_cmpx_ne_u16_e32 0x80, v48
	s_cbranch_execz .LBB2_1326
; %bb.1321:                             ;   in Loop: Header=BB2_1131 Depth=2
	v_and_b32_e32 v80, 0x7f, v98
	v_mov_b32_e32 v16, 0x7f800001
	s_mov_b32 s29, exec_lo
	s_delay_alu instid0(VALU_DEP_2)
	v_cmpx_ne_u32_e32 0x7f, v80
	s_cbranch_execz .LBB2_1325
; %bb.1322:                             ;   in Loop: Header=BB2_1131 Depth=2
	v_and_b32_e32 v48, 7, v48
	v_lshrrev_b32_e32 v16, 3, v80
	s_mov_b32 s40, exec_lo
	v_cmpx_gt_u32_e32 8, v80
; %bb.1323:                             ;   in Loop: Header=BB2_1131 Depth=2
	s_delay_alu instid0(VALU_DEP_3) | instskip(NEXT) | instid1(VALU_DEP_1)
	v_clz_i32_u32_e32 v16, v48
	v_min_u32_e32 v16, 32, v16
	s_delay_alu instid0(VALU_DEP_1) | instskip(SKIP_1) | instid1(VALU_DEP_2)
	v_subrev_nc_u32_e32 v80, 28, v16
	v_sub_nc_u32_e32 v16, 29, v16
	v_lshlrev_b64_e32 v[80:81], v80, v[48:49]
	s_delay_alu instid0(VALU_DEP_1)
	v_and_b32_e32 v48, 7, v80
; %bb.1324:                             ;   in Loop: Header=BB2_1131 Depth=2
	s_or_b32 exec_lo, exec_lo, s40
	s_delay_alu instid0(VALU_DEP_1) | instskip(SKIP_1) | instid1(VALU_DEP_2)
	v_dual_lshlrev_b32 v80, 24, v98 :: v_dual_lshlrev_b32 v48, 20, v48
	v_lshl_add_u32 v16, v16, 23, 0x3c000000
	v_and_b32_e32 v80, 0x80000000, v80
	s_delay_alu instid0(VALU_DEP_1)
	v_or3_b32 v16, v48, v80, v16
.LBB2_1325:                             ;   in Loop: Header=BB2_1131 Depth=2
	s_or_b32 exec_lo, exec_lo, s29
.LBB2_1326:                             ;   in Loop: Header=BB2_1131 Depth=2
	s_delay_alu instid0(SALU_CYCLE_1)
	s_or_b32 exec_lo, exec_lo, s28
.LBB2_1327:                             ;   in Loop: Header=BB2_1131 Depth=2
	s_delay_alu instid0(SALU_CYCLE_1) | instskip(NEXT) | instid1(VALU_DEP_1)
	s_or_b32 exec_lo, exec_lo, s10
	v_mul_f32_e32 v16, v17, v16
                                        ; implicit-def: $vgpr98
	s_mov_b32 s10, exec_lo
	s_delay_alu instid0(VALU_DEP_1) | instskip(SKIP_1) | instid1(VALU_DEP_2)
	v_and_b32_e32 v48, 0x7f800000, v16
	v_lshrrev_b32_e32 v17, 24, v16
	v_cmpx_ne_u64_e32 0x7f800000, v[48:49]
	s_xor_b32 s28, exec_lo, s10
	s_cbranch_execz .LBB2_1345
; %bb.1328:                             ;   in Loop: Header=BB2_1131 Depth=2
	v_and_b32_e32 v48, 0x7fffffff, v16
	v_and_b32_e32 v100, 0x80, v17
                                        ; implicit-def: $vgpr98
	s_mov_b32 s10, exec_lo
	s_delay_alu instid0(VALU_DEP_2)
	v_cmpx_gt_u64_e32 0x43e00001, v[48:49]
	s_xor_b32 s29, exec_lo, s10
	s_cbranch_execz .LBB2_1342
; %bb.1329:                             ;   in Loop: Header=BB2_1131 Depth=2
	v_mov_b32_e32 v98, 0
	s_mov_b32 s40, exec_lo
	v_cmpx_ne_u32_e32 0, v16
	s_cbranch_execz .LBB2_1341
; %bb.1330:                             ;   in Loop: Header=BB2_1131 Depth=2
	v_bfe_u32 v98, v16, 23, 8
	v_and_b32_e32 v48, 0x7fffff, v16
	s_delay_alu instid0(VALU_DEP_2) | instskip(NEXT) | instid1(VALU_DEP_2)
	v_cmp_gt_u32_e32 vcc_lo, 0x7a, v98
	v_or_b32_e32 v80, 0x800000, v48
	v_sub_nc_u32_e32 v17, 0x79, v98
	s_delay_alu instid0(VALU_DEP_1) | instskip(SKIP_1) | instid1(VALU_DEP_2)
	v_cndmask_b32_e32 v17, 0, v17, vcc_lo
	v_cmp_eq_u32_e32 vcc_lo, 0, v98
	v_cndmask_b32_e64 v103, v17, 0x78, vcc_lo
	s_delay_alu instid0(VALU_DEP_1) | instskip(SKIP_1) | instid1(VALU_DEP_2)
	v_dual_cndmask_b32 v48, v80, v48, vcc_lo :: v_dual_add_nc_u32 v16, 20, v103
	v_add_nc_u32_e32 v81, 19, v103
	v_lshlrev_b64_e64 v[16:17], v16, -1
	s_delay_alu instid0(VALU_DEP_2) | instskip(NEXT) | instid1(VALU_DEP_2)
	v_lshlrev_b64_e64 v[80:81], v81, 1
	v_bfi_b32 v41, v17, 0, 0
	s_delay_alu instid0(VALU_DEP_3) | instskip(SKIP_1) | instid1(VALU_DEP_2)
	v_bfi_b32 v40, v16, 0, v48
	v_lshrrev_b64 v[16:17], v103, v[48:49]
	v_cmp_eq_u64_e64 s10, v[40:41], v[80:81]
	s_delay_alu instid0(VALU_DEP_2)
	v_mov_b64_e32 v[80:81], v[16:17]
	s_and_saveexec_b32 s41, s10
; %bb.1331:                             ;   in Loop: Header=BB2_1131 Depth=2
	v_bfe_u32 v48, v16, 20, 1
	s_delay_alu instid0(VALU_DEP_1) | instskip(NEXT) | instid1(VALU_DEP_1)
	v_add_nc_u64_e32 v[80:81], v[16:17], v[48:49]
	v_add_nc_u64_e32 v[80:81], -1, v[80:81]
; %bb.1332:                             ;   in Loop: Header=BB2_1131 Depth=2
	s_or_b32 exec_lo, exec_lo, s41
	v_add_nc_u32_e32 v17, 0xffffff81, v98
	v_lshrrev_b32_e32 v48, 23, v16
	s_mov_b32 s10, exec_lo
	s_delay_alu instid0(VALU_DEP_2) | instskip(NEXT) | instid1(VALU_DEP_1)
	v_cndmask_b32_e64 v17, v17, 0xffffff82, vcc_lo
	v_add3_u32 v81, v103, v17, v48
	v_and_b32_e32 v17, 0xfffff, v80
                                        ; implicit-def: $vgpr80
	s_delay_alu instid0(VALU_DEP_1) | instskip(NEXT) | instid1(VALU_DEP_1)
	v_dual_add_nc_u32 v98, 6, v81 :: v_dual_add_nc_u32 v48, v17, v16
                                        ; implicit-def: $vgpr16_vgpr17
	v_cmpx_ne_u32_e32 0, v98
	s_xor_b32 s10, exec_lo, s10
; %bb.1333:                             ;   in Loop: Header=BB2_1131 Depth=2
	s_delay_alu instid0(VALU_DEP_2) | instskip(SKIP_1) | instid1(VALU_DEP_1)
	v_cmp_lt_u64_e32 vcc_lo, 0xffffff, v[48:49]
	v_add_nc_u32_e32 v16, 7, v81
	v_cndmask_b32_e32 v80, v98, v16, vcc_lo
	v_cndmask_b32_e64 v16, 0, 1, vcc_lo
	s_delay_alu instid0(VALU_DEP_1)
	v_lshrrev_b64 v[16:17], v16, v[48:49]
; %bb.1334:                             ;   in Loop: Header=BB2_1131 Depth=2
	s_and_not1_saveexec_b32 s10, s10
; %bb.1335:                             ;   in Loop: Header=BB2_1131 Depth=2
	v_mov_b64_e32 v[16:17], v[48:49]
	v_bfe_u32 v80, v48, 23, 1
; %bb.1336:                             ;   in Loop: Header=BB2_1131 Depth=2
	s_or_b32 exec_lo, exec_lo, s10
	s_delay_alu instid0(VALU_DEP_2) | instskip(NEXT) | instid1(VALU_DEP_2)
	v_lshrrev_b64 v[16:17], 20, v[16:17]
	v_cmp_gt_i32_e32 vcc_lo, 16, v80
	v_cmp_ne_u32_e64 s10, 0, v80
                                        ; implicit-def: $vgpr98
	s_delay_alu instid0(VALU_DEP_3) | instskip(NEXT) | instid1(VALU_DEP_1)
	v_dual_cndmask_b32 v17, 0, v17 :: v_dual_cndmask_b32 v16, 7, v16
	v_cmp_ne_u64_e32 vcc_lo, 0, v[16:17]
	s_or_b32 s10, s10, vcc_lo
	s_delay_alu instid0(SALU_CYCLE_1) | instskip(NEXT) | instid1(SALU_CYCLE_1)
	s_and_saveexec_b32 s41, s10
	s_xor_b32 s10, exec_lo, s41
; %bb.1337:                             ;   in Loop: Header=BB2_1131 Depth=2
	v_min_i32_e32 v17, 15, v80
	s_delay_alu instid0(VALU_DEP_1) | instskip(NEXT) | instid1(VALU_DEP_1)
	v_lshl_or_b32 v17, v17, 3, v100
                                        ; implicit-def: $vgpr100
	v_and_or_b32 v98, v16, 7, v17
; %bb.1338:                             ;   in Loop: Header=BB2_1131 Depth=2
	s_and_not1_saveexec_b32 s10, s10
; %bb.1339:                             ;   in Loop: Header=BB2_1131 Depth=2
	v_mov_b32_e32 v98, v100
; %bb.1340:                             ;   in Loop: Header=BB2_1131 Depth=2
	s_or_b32 exec_lo, exec_lo, s10
.LBB2_1341:                             ;   in Loop: Header=BB2_1131 Depth=2
	s_delay_alu instid0(SALU_CYCLE_1)
	s_or_b32 exec_lo, exec_lo, s40
                                        ; implicit-def: $vgpr100
.LBB2_1342:                             ;   in Loop: Header=BB2_1131 Depth=2
	s_and_not1_saveexec_b32 s10, s29
; %bb.1343:                             ;   in Loop: Header=BB2_1131 Depth=2
	v_or_b32_e32 v98, 0x7e, v100
; %bb.1344:                             ;   in Loop: Header=BB2_1131 Depth=2
	s_or_b32 exec_lo, exec_lo, s10
                                        ; implicit-def: $vgpr17
.LBB2_1345:                             ;   in Loop: Header=BB2_1131 Depth=2
	s_and_not1_saveexec_b32 s10, s28
; %bb.1346:                             ;   in Loop: Header=BB2_1131 Depth=2
	v_or_b32_e32 v98, 0x7f, v17
; %bb.1347:                             ;   in Loop: Header=BB2_1131 Depth=2
	s_or_b32 exec_lo, exec_lo, s10
	v_and_b32_e32 v48, 0xff, v97
	v_dual_mov_b32 v16, 0 :: v_dual_mov_b32 v17, 0
	s_mov_b32 s10, exec_lo
	s_delay_alu instid0(VALU_DEP_2)
	v_cmpx_ne_u16_e32 0, v48
	s_cbranch_execz .LBB2_1355
; %bb.1348:                             ;   in Loop: Header=BB2_1131 Depth=2
	v_bfrev_b32_e32 v17, 1
	s_mov_b32 s28, exec_lo
	v_cmpx_ne_u16_e32 0x80, v48
	s_cbranch_execz .LBB2_1354
; %bb.1349:                             ;   in Loop: Header=BB2_1131 Depth=2
	v_and_b32_e32 v80, 0x7f, v97
	v_mov_b32_e32 v17, 0x7f800001
	s_mov_b32 s29, exec_lo
	s_delay_alu instid0(VALU_DEP_2)
	v_cmpx_ne_u32_e32 0x7f, v80
	s_cbranch_execz .LBB2_1353
; %bb.1350:                             ;   in Loop: Header=BB2_1131 Depth=2
	v_and_b32_e32 v48, 7, v48
	v_lshrrev_b32_e32 v17, 3, v80
	s_mov_b32 s40, exec_lo
	v_cmpx_gt_u32_e32 8, v80
; %bb.1351:                             ;   in Loop: Header=BB2_1131 Depth=2
	s_delay_alu instid0(VALU_DEP_3) | instskip(NEXT) | instid1(VALU_DEP_1)
	v_clz_i32_u32_e32 v17, v48
	v_min_u32_e32 v17, 32, v17
	s_delay_alu instid0(VALU_DEP_1) | instskip(NEXT) | instid1(VALU_DEP_1)
	v_subrev_nc_u32_e32 v80, 28, v17
	v_lshlrev_b64_e32 v[80:81], v80, v[48:49]
	s_delay_alu instid0(VALU_DEP_1)
	v_dual_sub_nc_u32 v17, 29, v17 :: v_dual_bitop2_b32 v48, 7, v80 bitop3:0x40
; %bb.1352:                             ;   in Loop: Header=BB2_1131 Depth=2
	s_or_b32 exec_lo, exec_lo, s40
	s_delay_alu instid0(VALU_DEP_1) | instskip(NEXT) | instid1(VALU_DEP_2)
	v_dual_lshlrev_b32 v80, 24, v97 :: v_dual_lshlrev_b32 v48, 20, v48
	v_lshl_add_u32 v17, v17, 23, 0x3c000000
	s_delay_alu instid0(VALU_DEP_2) | instskip(NEXT) | instid1(VALU_DEP_1)
	v_and_b32_e32 v80, 0x80000000, v80
	v_or3_b32 v17, v48, v80, v17
.LBB2_1353:                             ;   in Loop: Header=BB2_1131 Depth=2
	s_or_b32 exec_lo, exec_lo, s29
.LBB2_1354:                             ;   in Loop: Header=BB2_1131 Depth=2
	s_delay_alu instid0(SALU_CYCLE_1)
	s_or_b32 exec_lo, exec_lo, s28
.LBB2_1355:                             ;   in Loop: Header=BB2_1131 Depth=2
	s_delay_alu instid0(SALU_CYCLE_1) | instskip(SKIP_3) | instid1(VALU_DEP_1)
	s_or_b32 exec_lo, exec_lo, s10
	s_wait_loadcnt_dscnt 0x101
	v_and_b32_e32 v48, 0xff, v87
	s_mov_b32 s10, exec_lo
	v_cmpx_ne_u16_e32 0, v48
	s_cbranch_execz .LBB2_1363
; %bb.1356:                             ;   in Loop: Header=BB2_1131 Depth=2
	v_bfrev_b32_e32 v16, 1
	s_mov_b32 s28, exec_lo
	v_cmpx_ne_u16_e32 0x80, v48
	s_cbranch_execz .LBB2_1362
; %bb.1357:                             ;   in Loop: Header=BB2_1131 Depth=2
	v_and_b32_e32 v80, 0x7f, v87
	v_mov_b32_e32 v16, 0x7f800001
	s_mov_b32 s29, exec_lo
	s_delay_alu instid0(VALU_DEP_2)
	v_cmpx_ne_u32_e32 0x7f, v80
	s_cbranch_execz .LBB2_1361
; %bb.1358:                             ;   in Loop: Header=BB2_1131 Depth=2
	v_and_b32_e32 v48, 7, v48
	v_lshrrev_b32_e32 v16, 3, v80
	s_mov_b32 s40, exec_lo
	v_cmpx_gt_u32_e32 8, v80
; %bb.1359:                             ;   in Loop: Header=BB2_1131 Depth=2
	s_delay_alu instid0(VALU_DEP_3) | instskip(NEXT) | instid1(VALU_DEP_1)
	v_clz_i32_u32_e32 v16, v48
	v_min_u32_e32 v16, 32, v16
	s_delay_alu instid0(VALU_DEP_1) | instskip(SKIP_1) | instid1(VALU_DEP_2)
	v_subrev_nc_u32_e32 v80, 28, v16
	v_sub_nc_u32_e32 v16, 29, v16
	v_lshlrev_b64_e32 v[80:81], v80, v[48:49]
	s_delay_alu instid0(VALU_DEP_1)
	v_and_b32_e32 v48, 7, v80
; %bb.1360:                             ;   in Loop: Header=BB2_1131 Depth=2
	s_or_b32 exec_lo, exec_lo, s40
	s_delay_alu instid0(VALU_DEP_1) | instskip(SKIP_1) | instid1(VALU_DEP_2)
	v_dual_lshlrev_b32 v80, 24, v87 :: v_dual_lshlrev_b32 v48, 20, v48
	v_lshl_add_u32 v16, v16, 23, 0x3c000000
	v_and_b32_e32 v80, 0x80000000, v80
	s_delay_alu instid0(VALU_DEP_1)
	v_or3_b32 v16, v48, v80, v16
.LBB2_1361:                             ;   in Loop: Header=BB2_1131 Depth=2
	s_or_b32 exec_lo, exec_lo, s29
.LBB2_1362:                             ;   in Loop: Header=BB2_1131 Depth=2
	s_delay_alu instid0(SALU_CYCLE_1)
	s_or_b32 exec_lo, exec_lo, s28
.LBB2_1363:                             ;   in Loop: Header=BB2_1131 Depth=2
	s_delay_alu instid0(SALU_CYCLE_1) | instskip(NEXT) | instid1(VALU_DEP_1)
	s_or_b32 exec_lo, exec_lo, s10
	v_mul_f32_e32 v16, v17, v16
                                        ; implicit-def: $vgpr87
	s_mov_b32 s10, exec_lo
	s_delay_alu instid0(VALU_DEP_1) | instskip(SKIP_1) | instid1(VALU_DEP_2)
	v_and_b32_e32 v48, 0x7f800000, v16
	v_lshrrev_b32_e32 v17, 24, v16
	v_cmpx_ne_u64_e32 0x7f800000, v[48:49]
	s_xor_b32 s28, exec_lo, s10
	s_cbranch_execz .LBB2_1381
; %bb.1364:                             ;   in Loop: Header=BB2_1131 Depth=2
	v_and_b32_e32 v48, 0x7fffffff, v16
	v_and_b32_e32 v97, 0x80, v17
                                        ; implicit-def: $vgpr87
	s_mov_b32 s10, exec_lo
	s_delay_alu instid0(VALU_DEP_2)
	v_cmpx_gt_u64_e32 0x43e00001, v[48:49]
	s_xor_b32 s29, exec_lo, s10
	s_cbranch_execz .LBB2_1378
; %bb.1365:                             ;   in Loop: Header=BB2_1131 Depth=2
	v_mov_b32_e32 v87, 0
	s_mov_b32 s40, exec_lo
	v_cmpx_ne_u32_e32 0, v16
	s_cbranch_execz .LBB2_1377
; %bb.1366:                             ;   in Loop: Header=BB2_1131 Depth=2
	v_bfe_u32 v87, v16, 23, 8
	v_and_b32_e32 v48, 0x7fffff, v16
	s_delay_alu instid0(VALU_DEP_2) | instskip(NEXT) | instid1(VALU_DEP_2)
	v_cmp_gt_u32_e32 vcc_lo, 0x7a, v87
	v_or_b32_e32 v80, 0x800000, v48
	v_sub_nc_u32_e32 v17, 0x79, v87
	s_delay_alu instid0(VALU_DEP_1) | instskip(SKIP_1) | instid1(VALU_DEP_2)
	v_cndmask_b32_e32 v17, 0, v17, vcc_lo
	v_cmp_eq_u32_e32 vcc_lo, 0, v87
	v_cndmask_b32_e64 v100, v17, 0x78, vcc_lo
	v_cndmask_b32_e32 v48, v80, v48, vcc_lo
	s_delay_alu instid0(VALU_DEP_2) | instskip(NEXT) | instid1(VALU_DEP_1)
	v_dual_add_nc_u32 v16, 20, v100 :: v_dual_add_nc_u32 v81, 19, v100
	v_lshlrev_b64_e64 v[16:17], v16, -1
	s_delay_alu instid0(VALU_DEP_2) | instskip(NEXT) | instid1(VALU_DEP_2)
	v_lshlrev_b64_e64 v[80:81], v81, 1
	v_bfi_b32 v41, v17, 0, 0
	s_delay_alu instid0(VALU_DEP_3) | instskip(SKIP_1) | instid1(VALU_DEP_2)
	v_bfi_b32 v40, v16, 0, v48
	v_lshrrev_b64 v[16:17], v100, v[48:49]
	v_cmp_eq_u64_e64 s10, v[40:41], v[80:81]
	s_delay_alu instid0(VALU_DEP_2)
	v_mov_b64_e32 v[80:81], v[16:17]
	s_and_saveexec_b32 s41, s10
; %bb.1367:                             ;   in Loop: Header=BB2_1131 Depth=2
	v_bfe_u32 v48, v16, 20, 1
	s_delay_alu instid0(VALU_DEP_1) | instskip(NEXT) | instid1(VALU_DEP_1)
	v_add_nc_u64_e32 v[80:81], v[16:17], v[48:49]
	v_add_nc_u64_e32 v[80:81], -1, v[80:81]
; %bb.1368:                             ;   in Loop: Header=BB2_1131 Depth=2
	s_or_b32 exec_lo, exec_lo, s41
	v_add_nc_u32_e32 v17, 0xffffff81, v87
	v_lshrrev_b32_e32 v48, 23, v16
	s_mov_b32 s10, exec_lo
	s_delay_alu instid0(VALU_DEP_2) | instskip(NEXT) | instid1(VALU_DEP_1)
	v_cndmask_b32_e64 v17, v17, 0xffffff82, vcc_lo
	v_add3_u32 v81, v100, v17, v48
	v_and_b32_e32 v17, 0xfffff, v80
                                        ; implicit-def: $vgpr80
	s_delay_alu instid0(VALU_DEP_1) | instskip(NEXT) | instid1(VALU_DEP_1)
	v_dual_add_nc_u32 v87, 6, v81 :: v_dual_add_nc_u32 v48, v17, v16
                                        ; implicit-def: $vgpr16_vgpr17
	v_cmpx_ne_u32_e32 0, v87
	s_xor_b32 s10, exec_lo, s10
; %bb.1369:                             ;   in Loop: Header=BB2_1131 Depth=2
	s_delay_alu instid0(VALU_DEP_2) | instskip(SKIP_1) | instid1(VALU_DEP_1)
	v_cmp_lt_u64_e32 vcc_lo, 0xffffff, v[48:49]
	v_add_nc_u32_e32 v16, 7, v81
	v_cndmask_b32_e32 v80, v87, v16, vcc_lo
	v_cndmask_b32_e64 v16, 0, 1, vcc_lo
	s_delay_alu instid0(VALU_DEP_1)
	v_lshrrev_b64 v[16:17], v16, v[48:49]
; %bb.1370:                             ;   in Loop: Header=BB2_1131 Depth=2
	s_and_not1_saveexec_b32 s10, s10
; %bb.1371:                             ;   in Loop: Header=BB2_1131 Depth=2
	v_mov_b64_e32 v[16:17], v[48:49]
	v_bfe_u32 v80, v48, 23, 1
; %bb.1372:                             ;   in Loop: Header=BB2_1131 Depth=2
	s_or_b32 exec_lo, exec_lo, s10
	s_delay_alu instid0(VALU_DEP_2) | instskip(NEXT) | instid1(VALU_DEP_2)
	v_lshrrev_b64 v[16:17], 20, v[16:17]
	v_cmp_gt_i32_e32 vcc_lo, 16, v80
	v_cmp_ne_u32_e64 s10, 0, v80
                                        ; implicit-def: $vgpr87
	s_delay_alu instid0(VALU_DEP_3) | instskip(NEXT) | instid1(VALU_DEP_1)
	v_dual_cndmask_b32 v17, 0, v17 :: v_dual_cndmask_b32 v16, 7, v16
	v_cmp_ne_u64_e32 vcc_lo, 0, v[16:17]
	s_or_b32 s10, s10, vcc_lo
	s_delay_alu instid0(SALU_CYCLE_1) | instskip(NEXT) | instid1(SALU_CYCLE_1)
	s_and_saveexec_b32 s41, s10
	s_xor_b32 s10, exec_lo, s41
; %bb.1373:                             ;   in Loop: Header=BB2_1131 Depth=2
	v_min_i32_e32 v17, 15, v80
	s_delay_alu instid0(VALU_DEP_1) | instskip(NEXT) | instid1(VALU_DEP_1)
	v_lshl_or_b32 v17, v17, 3, v97
                                        ; implicit-def: $vgpr97
	v_and_or_b32 v87, v16, 7, v17
; %bb.1374:                             ;   in Loop: Header=BB2_1131 Depth=2
	s_and_not1_saveexec_b32 s10, s10
; %bb.1375:                             ;   in Loop: Header=BB2_1131 Depth=2
	v_mov_b32_e32 v87, v97
; %bb.1376:                             ;   in Loop: Header=BB2_1131 Depth=2
	s_or_b32 exec_lo, exec_lo, s10
.LBB2_1377:                             ;   in Loop: Header=BB2_1131 Depth=2
	s_delay_alu instid0(SALU_CYCLE_1)
	s_or_b32 exec_lo, exec_lo, s40
                                        ; implicit-def: $vgpr97
.LBB2_1378:                             ;   in Loop: Header=BB2_1131 Depth=2
	s_and_not1_saveexec_b32 s10, s29
; %bb.1379:                             ;   in Loop: Header=BB2_1131 Depth=2
	v_or_b32_e32 v87, 0x7e, v97
; %bb.1380:                             ;   in Loop: Header=BB2_1131 Depth=2
	s_or_b32 exec_lo, exec_lo, s10
                                        ; implicit-def: $vgpr17
.LBB2_1381:                             ;   in Loop: Header=BB2_1131 Depth=2
	s_and_not1_saveexec_b32 s10, s28
; %bb.1382:                             ;   in Loop: Header=BB2_1131 Depth=2
	v_or_b32_e32 v87, 0x7f, v17
; %bb.1383:                             ;   in Loop: Header=BB2_1131 Depth=2
	s_or_b32 exec_lo, exec_lo, s10
	v_and_b32_e32 v48, 0xff, v86
	v_dual_mov_b32 v16, 0 :: v_dual_mov_b32 v17, 0
	s_mov_b32 s10, exec_lo
	s_delay_alu instid0(VALU_DEP_2)
	v_cmpx_ne_u16_e32 0, v48
	s_cbranch_execz .LBB2_1391
; %bb.1384:                             ;   in Loop: Header=BB2_1131 Depth=2
	v_bfrev_b32_e32 v17, 1
	s_mov_b32 s28, exec_lo
	v_cmpx_ne_u16_e32 0x80, v48
	s_cbranch_execz .LBB2_1390
; %bb.1385:                             ;   in Loop: Header=BB2_1131 Depth=2
	v_and_b32_e32 v80, 0x7f, v86
	v_mov_b32_e32 v17, 0x7f800001
	s_mov_b32 s29, exec_lo
	s_delay_alu instid0(VALU_DEP_2)
	v_cmpx_ne_u32_e32 0x7f, v80
	s_cbranch_execz .LBB2_1389
; %bb.1386:                             ;   in Loop: Header=BB2_1131 Depth=2
	v_and_b32_e32 v48, 7, v48
	v_lshrrev_b32_e32 v17, 3, v80
	s_mov_b32 s40, exec_lo
	v_cmpx_gt_u32_e32 8, v80
; %bb.1387:                             ;   in Loop: Header=BB2_1131 Depth=2
	s_delay_alu instid0(VALU_DEP_3) | instskip(NEXT) | instid1(VALU_DEP_1)
	v_clz_i32_u32_e32 v17, v48
	v_min_u32_e32 v17, 32, v17
	s_delay_alu instid0(VALU_DEP_1) | instskip(NEXT) | instid1(VALU_DEP_1)
	v_subrev_nc_u32_e32 v80, 28, v17
	v_lshlrev_b64_e32 v[80:81], v80, v[48:49]
	s_delay_alu instid0(VALU_DEP_1)
	v_dual_sub_nc_u32 v17, 29, v17 :: v_dual_bitop2_b32 v48, 7, v80 bitop3:0x40
; %bb.1388:                             ;   in Loop: Header=BB2_1131 Depth=2
	s_or_b32 exec_lo, exec_lo, s40
	s_delay_alu instid0(VALU_DEP_1) | instskip(NEXT) | instid1(VALU_DEP_2)
	v_dual_lshlrev_b32 v80, 24, v86 :: v_dual_lshlrev_b32 v48, 20, v48
	v_lshl_add_u32 v17, v17, 23, 0x3c000000
	s_delay_alu instid0(VALU_DEP_2) | instskip(NEXT) | instid1(VALU_DEP_1)
	v_and_b32_e32 v80, 0x80000000, v80
	v_or3_b32 v17, v48, v80, v17
.LBB2_1389:                             ;   in Loop: Header=BB2_1131 Depth=2
	s_or_b32 exec_lo, exec_lo, s29
.LBB2_1390:                             ;   in Loop: Header=BB2_1131 Depth=2
	s_delay_alu instid0(SALU_CYCLE_1)
	s_or_b32 exec_lo, exec_lo, s28
.LBB2_1391:                             ;   in Loop: Header=BB2_1131 Depth=2
	s_delay_alu instid0(SALU_CYCLE_1) | instskip(SKIP_3) | instid1(VALU_DEP_1)
	s_or_b32 exec_lo, exec_lo, s10
	s_wait_loadcnt_dscnt 0x0
	v_and_b32_e32 v48, 0xff, v82
	s_mov_b32 s10, exec_lo
	v_cmpx_ne_u16_e32 0, v48
	s_cbranch_execz .LBB2_1399
; %bb.1392:                             ;   in Loop: Header=BB2_1131 Depth=2
	v_bfrev_b32_e32 v16, 1
	s_mov_b32 s28, exec_lo
	v_cmpx_ne_u16_e32 0x80, v48
	s_cbranch_execz .LBB2_1398
; %bb.1393:                             ;   in Loop: Header=BB2_1131 Depth=2
	v_and_b32_e32 v80, 0x7f, v82
	v_mov_b32_e32 v16, 0x7f800001
	s_mov_b32 s29, exec_lo
	s_delay_alu instid0(VALU_DEP_2)
	v_cmpx_ne_u32_e32 0x7f, v80
	s_cbranch_execz .LBB2_1397
; %bb.1394:                             ;   in Loop: Header=BB2_1131 Depth=2
	v_and_b32_e32 v48, 7, v48
	v_lshrrev_b32_e32 v16, 3, v80
	s_mov_b32 s40, exec_lo
	v_cmpx_gt_u32_e32 8, v80
; %bb.1395:                             ;   in Loop: Header=BB2_1131 Depth=2
	s_delay_alu instid0(VALU_DEP_3) | instskip(NEXT) | instid1(VALU_DEP_1)
	v_clz_i32_u32_e32 v16, v48
	v_min_u32_e32 v16, 32, v16
	s_delay_alu instid0(VALU_DEP_1) | instskip(SKIP_1) | instid1(VALU_DEP_2)
	v_subrev_nc_u32_e32 v80, 28, v16
	v_sub_nc_u32_e32 v16, 29, v16
	v_lshlrev_b64_e32 v[80:81], v80, v[48:49]
	s_delay_alu instid0(VALU_DEP_1)
	v_and_b32_e32 v48, 7, v80
; %bb.1396:                             ;   in Loop: Header=BB2_1131 Depth=2
	s_or_b32 exec_lo, exec_lo, s40
	s_delay_alu instid0(VALU_DEP_1) | instskip(SKIP_1) | instid1(VALU_DEP_2)
	v_dual_lshlrev_b32 v80, 24, v82 :: v_dual_lshlrev_b32 v48, 20, v48
	v_lshl_add_u32 v16, v16, 23, 0x3c000000
	v_and_b32_e32 v80, 0x80000000, v80
	s_delay_alu instid0(VALU_DEP_1)
	v_or3_b32 v16, v48, v80, v16
.LBB2_1397:                             ;   in Loop: Header=BB2_1131 Depth=2
	s_or_b32 exec_lo, exec_lo, s29
.LBB2_1398:                             ;   in Loop: Header=BB2_1131 Depth=2
	s_delay_alu instid0(SALU_CYCLE_1)
	s_or_b32 exec_lo, exec_lo, s28
.LBB2_1399:                             ;   in Loop: Header=BB2_1131 Depth=2
	s_delay_alu instid0(SALU_CYCLE_1) | instskip(NEXT) | instid1(VALU_DEP_1)
	s_or_b32 exec_lo, exec_lo, s10
	v_mul_f32_e32 v16, v17, v16
                                        ; implicit-def: $vgpr17
	s_mov_b32 s10, exec_lo
	s_delay_alu instid0(VALU_DEP_1) | instskip(SKIP_1) | instid1(VALU_DEP_2)
	v_and_b32_e32 v48, 0x7f800000, v16
	v_lshrrev_b32_e32 v80, 24, v16
	v_cmpx_ne_u64_e32 0x7f800000, v[48:49]
	s_xor_b32 s28, exec_lo, s10
	s_cbranch_execz .LBB2_1417
; %bb.1400:                             ;   in Loop: Header=BB2_1131 Depth=2
	v_and_b32_e32 v48, 0x7fffffff, v16
	v_and_b32_e32 v82, 0x80, v80
                                        ; implicit-def: $vgpr17
	s_mov_b32 s10, exec_lo
	s_delay_alu instid0(VALU_DEP_2)
	v_cmpx_gt_u64_e32 0x43e00001, v[48:49]
	s_xor_b32 s29, exec_lo, s10
	s_cbranch_execz .LBB2_1414
; %bb.1401:                             ;   in Loop: Header=BB2_1131 Depth=2
	v_mov_b32_e32 v17, 0
	s_mov_b32 s40, exec_lo
	v_cmpx_ne_u32_e32 0, v16
	s_cbranch_execz .LBB2_1413
; %bb.1402:                             ;   in Loop: Header=BB2_1131 Depth=2
	v_bfe_u32 v86, v16, 23, 8
	v_and_b32_e32 v48, 0x7fffff, v16
	s_delay_alu instid0(VALU_DEP_2) | instskip(NEXT) | instid1(VALU_DEP_2)
	v_cmp_gt_u32_e32 vcc_lo, 0x7a, v86
	v_or_b32_e32 v80, 0x800000, v48
	v_sub_nc_u32_e32 v17, 0x79, v86
	s_delay_alu instid0(VALU_DEP_1) | instskip(SKIP_1) | instid1(VALU_DEP_2)
	v_cndmask_b32_e32 v17, 0, v17, vcc_lo
	v_cmp_eq_u32_e32 vcc_lo, 0, v86
	v_cndmask_b32_e64 v97, v17, 0x78, vcc_lo
	s_delay_alu instid0(VALU_DEP_1) | instskip(SKIP_1) | instid1(VALU_DEP_2)
	v_dual_cndmask_b32 v48, v80, v48, vcc_lo :: v_dual_add_nc_u32 v16, 20, v97
	v_add_nc_u32_e32 v81, 19, v97
	v_lshlrev_b64_e64 v[16:17], v16, -1
	s_delay_alu instid0(VALU_DEP_2) | instskip(NEXT) | instid1(VALU_DEP_2)
	v_lshlrev_b64_e64 v[80:81], v81, 1
	v_bfi_b32 v41, v17, 0, 0
	s_delay_alu instid0(VALU_DEP_3) | instskip(SKIP_1) | instid1(VALU_DEP_2)
	v_bfi_b32 v40, v16, 0, v48
	v_lshrrev_b64 v[16:17], v97, v[48:49]
	v_cmp_eq_u64_e64 s10, v[40:41], v[80:81]
	s_delay_alu instid0(VALU_DEP_2)
	v_mov_b64_e32 v[80:81], v[16:17]
	s_and_saveexec_b32 s41, s10
; %bb.1403:                             ;   in Loop: Header=BB2_1131 Depth=2
	v_bfe_u32 v48, v16, 20, 1
	s_delay_alu instid0(VALU_DEP_1) | instskip(NEXT) | instid1(VALU_DEP_1)
	v_add_nc_u64_e32 v[80:81], v[16:17], v[48:49]
	v_add_nc_u64_e32 v[80:81], -1, v[80:81]
; %bb.1404:                             ;   in Loop: Header=BB2_1131 Depth=2
	s_or_b32 exec_lo, exec_lo, s41
	v_add_nc_u32_e32 v17, 0xffffff81, v86
	v_lshrrev_b32_e32 v48, 23, v16
	s_mov_b32 s10, exec_lo
	s_delay_alu instid0(VALU_DEP_2) | instskip(NEXT) | instid1(VALU_DEP_1)
	v_cndmask_b32_e64 v17, v17, 0xffffff82, vcc_lo
	v_add3_u32 v81, v97, v17, v48
	v_and_b32_e32 v17, 0xfffff, v80
                                        ; implicit-def: $vgpr80
	s_delay_alu instid0(VALU_DEP_1) | instskip(NEXT) | instid1(VALU_DEP_1)
	v_dual_add_nc_u32 v86, 6, v81 :: v_dual_add_nc_u32 v48, v17, v16
                                        ; implicit-def: $vgpr16_vgpr17
	v_cmpx_ne_u32_e32 0, v86
	s_xor_b32 s10, exec_lo, s10
; %bb.1405:                             ;   in Loop: Header=BB2_1131 Depth=2
	s_delay_alu instid0(VALU_DEP_2) | instskip(SKIP_1) | instid1(VALU_DEP_1)
	v_cmp_lt_u64_e32 vcc_lo, 0xffffff, v[48:49]
	v_add_nc_u32_e32 v16, 7, v81
	v_cndmask_b32_e32 v80, v86, v16, vcc_lo
	v_cndmask_b32_e64 v16, 0, 1, vcc_lo
	s_delay_alu instid0(VALU_DEP_1)
	v_lshrrev_b64 v[16:17], v16, v[48:49]
; %bb.1406:                             ;   in Loop: Header=BB2_1131 Depth=2
	s_and_not1_saveexec_b32 s10, s10
; %bb.1407:                             ;   in Loop: Header=BB2_1131 Depth=2
	v_mov_b64_e32 v[16:17], v[48:49]
	v_bfe_u32 v80, v48, 23, 1
; %bb.1408:                             ;   in Loop: Header=BB2_1131 Depth=2
	s_or_b32 exec_lo, exec_lo, s10
	s_delay_alu instid0(VALU_DEP_2) | instskip(NEXT) | instid1(VALU_DEP_2)
	v_lshrrev_b64 v[16:17], 20, v[16:17]
	v_cmp_gt_i32_e32 vcc_lo, 16, v80
	v_cmp_ne_u32_e64 s10, 0, v80
	s_delay_alu instid0(VALU_DEP_3) | instskip(NEXT) | instid1(VALU_DEP_1)
	v_dual_cndmask_b32 v17, 0, v17 :: v_dual_cndmask_b32 v16, 7, v16
	v_cmp_ne_u64_e32 vcc_lo, 0, v[16:17]
                                        ; implicit-def: $vgpr17
	s_or_b32 s10, s10, vcc_lo
	s_delay_alu instid0(SALU_CYCLE_1) | instskip(NEXT) | instid1(SALU_CYCLE_1)
	s_and_saveexec_b32 s41, s10
	s_xor_b32 s10, exec_lo, s41
; %bb.1409:                             ;   in Loop: Header=BB2_1131 Depth=2
	v_min_i32_e32 v17, 15, v80
	s_delay_alu instid0(VALU_DEP_1) | instskip(NEXT) | instid1(VALU_DEP_1)
	v_lshl_or_b32 v17, v17, 3, v82
                                        ; implicit-def: $vgpr82
	v_and_or_b32 v17, v16, 7, v17
; %bb.1410:                             ;   in Loop: Header=BB2_1131 Depth=2
	s_and_not1_saveexec_b32 s10, s10
; %bb.1411:                             ;   in Loop: Header=BB2_1131 Depth=2
	v_mov_b32_e32 v17, v82
; %bb.1412:                             ;   in Loop: Header=BB2_1131 Depth=2
	s_or_b32 exec_lo, exec_lo, s10
.LBB2_1413:                             ;   in Loop: Header=BB2_1131 Depth=2
	s_delay_alu instid0(SALU_CYCLE_1)
	s_or_b32 exec_lo, exec_lo, s40
                                        ; implicit-def: $vgpr82
.LBB2_1414:                             ;   in Loop: Header=BB2_1131 Depth=2
	s_and_not1_saveexec_b32 s10, s29
; %bb.1415:                             ;   in Loop: Header=BB2_1131 Depth=2
	v_or_b32_e32 v17, 0x7e, v82
; %bb.1416:                             ;   in Loop: Header=BB2_1131 Depth=2
	s_or_b32 exec_lo, exec_lo, s10
                                        ; implicit-def: $vgpr80
.LBB2_1417:                             ;   in Loop: Header=BB2_1131 Depth=2
	s_and_not1_saveexec_b32 s10, s28
	s_cbranch_execz .LBB2_1130
; %bb.1418:                             ;   in Loop: Header=BB2_1131 Depth=2
	v_or_b32_e32 v17, 0x7f, v80
	s_branch .LBB2_1130
.LBB2_1419:                             ;   in Loop: Header=BB2_49 Depth=1
	s_or_b32 exec_lo, exec_lo, s27
.LBB2_1420:                             ;   in Loop: Header=BB2_49 Depth=1
	s_delay_alu instid0(SALU_CYCLE_1) | instskip(SKIP_1) | instid1(VALU_DEP_1)
	s_or_b32 exec_lo, exec_lo, s12
	v_and_b32_e32 v10, 0x3fffff00, v119
	v_cmp_ne_u32_e32 vcc_lo, v119, v10
	s_and_b32 exec_lo, exec_lo, vcc_lo
	s_cbranch_execz .LBB2_1460
; %bb.1421:                             ;   in Loop: Header=BB2_49 Depth=1
	v_dual_lshlrev_b32 v11, 5, v84 :: v_dual_lshlrev_b32 v12, 5, v85
	s_delay_alu instid0(VALU_DEP_1) | instskip(NEXT) | instid1(VALU_DEP_1)
	v_sub_nc_u32_e32 v11, v30, v11
	v_sub_nc_u32_e32 v11, v11, v12
	v_and_b32_e32 v12, 0xff, v119
	s_delay_alu instid0(VALU_DEP_1) | instskip(NEXT) | instid1(VALU_DEP_1)
	v_sub_nc_u32_e32 v30, v12, v11
	v_cmp_lt_i32_e32 vcc_lo, 0, v30
	s_and_b32 exec_lo, exec_lo, vcc_lo
	s_cbranch_execz .LBB2_1460
; %bb.1422:                             ;   in Loop: Header=BB2_49 Depth=1
	s_trap 2
	ds_load_b128 v[12:15], v0
	ds_load_b64 v[16:17], v0
	v_add3_u32 v80, v10, v71, v11
	s_mov_b32 s12, 0
	s_delay_alu instid0(VALU_DEP_1) | instskip(SKIP_1) | instid1(VALU_DEP_1)
	v_ashrrev_i32_e32 v81, 31, v80
	s_wait_dscnt 0x1
	v_add_nc_u64_e32 v[10:11], v[12:13], v[80:81]
	v_add_nc_u64_e32 v[12:13], v[14:15], v[80:81]
	s_wait_dscnt 0x0
	v_add_nc_u64_e32 v[14:15], v[16:17], v[80:81]
	s_branch .LBB2_1424
.LBB2_1423:                             ;   in Loop: Header=BB2_1424 Depth=2
	s_or_b32 exec_lo, exec_lo, s10
	v_sub_nc_u32_e32 v30, v30, v64
	flat_store_b8 v[14:15], v17 th:TH_STORE_NT
	v_add_nc_u64_e32 v[10:11], v[10:11], v[64:65]
	v_add_nc_u64_e32 v[12:13], v[12:13], v[64:65]
	s_wait_xcnt 0x0
	v_add_nc_u64_e32 v[14:15], v[14:15], v[64:65]
	v_cmp_gt_i32_e32 vcc_lo, 1, v30
	s_or_b32 s12, vcc_lo, s12
	s_delay_alu instid0(SALU_CYCLE_1)
	s_and_not1_b32 exec_lo, exec_lo, s12
	s_cbranch_execz .LBB2_1460
.LBB2_1424:                             ;   Parent Loop BB2_49 Depth=1
                                        ; =>  This Inner Loop Header: Depth=2
	flat_load_u8 v80, v[10:11] th:TH_LOAD_NT
	flat_load_u8 v16, v[12:13] th:TH_LOAD_NT
	v_dual_mov_b32 v17, 0 :: v_dual_mov_b32 v71, 0
	s_mov_b32 s10, exec_lo
	s_wait_loadcnt_dscnt 0x101
	s_wait_xcnt 0x0
	v_cmpx_ne_u16_e32 0, v80
	s_cbranch_execz .LBB2_1432
; %bb.1425:                             ;   in Loop: Header=BB2_1424 Depth=2
	v_bfrev_b32_e32 v71, 1
	s_mov_b32 s27, exec_lo
	v_cmpx_ne_u16_e32 0x80, v80
	s_cbranch_execz .LBB2_1431
; %bb.1426:                             ;   in Loop: Header=BB2_1424 Depth=2
	v_and_b32_e32 v48, 0xffff, v80
	v_mov_b32_e32 v71, 0x7f800001
	s_mov_b32 s28, exec_lo
	s_delay_alu instid0(VALU_DEP_2) | instskip(NEXT) | instid1(VALU_DEP_1)
	v_and_b32_e32 v81, 0x7f, v48
	v_cmpx_ne_u32_e32 0x7f, v81
	s_cbranch_execz .LBB2_1430
; %bb.1427:                             ;   in Loop: Header=BB2_1424 Depth=2
	v_dual_lshrrev_b32 v71, 3, v81 :: v_dual_bitop2_b32 v48, 7, v48 bitop3:0x40
	s_mov_b32 s29, exec_lo
	v_cmpx_gt_u32_e32 8, v81
; %bb.1428:                             ;   in Loop: Header=BB2_1424 Depth=2
	s_delay_alu instid0(VALU_DEP_2) | instskip(NEXT) | instid1(VALU_DEP_1)
	v_clz_i32_u32_e32 v71, v48
	v_min_u32_e32 v71, 32, v71
	s_delay_alu instid0(VALU_DEP_1) | instskip(NEXT) | instid1(VALU_DEP_1)
	v_subrev_nc_u32_e32 v81, 28, v71
	v_lshlrev_b64_e32 v[82:83], v81, v[48:49]
	s_delay_alu instid0(VALU_DEP_1)
	v_dual_sub_nc_u32 v71, 29, v71 :: v_dual_bitop2_b32 v48, 7, v82 bitop3:0x40
; %bb.1429:                             ;   in Loop: Header=BB2_1424 Depth=2
	s_or_b32 exec_lo, exec_lo, s29
	v_lshlrev_b32_e32 v80, 24, v80
	s_delay_alu instid0(VALU_DEP_2) | instskip(NEXT) | instid1(VALU_DEP_3)
	v_lshlrev_b32_e32 v48, 20, v48
	v_lshl_add_u32 v71, v71, 23, 0x3c000000
	s_delay_alu instid0(VALU_DEP_3) | instskip(NEXT) | instid1(VALU_DEP_1)
	v_and_b32_e32 v80, 0x80000000, v80
	v_or3_b32 v71, v48, v80, v71
.LBB2_1430:                             ;   in Loop: Header=BB2_1424 Depth=2
	s_or_b32 exec_lo, exec_lo, s28
.LBB2_1431:                             ;   in Loop: Header=BB2_1424 Depth=2
	s_delay_alu instid0(SALU_CYCLE_1)
	s_or_b32 exec_lo, exec_lo, s27
.LBB2_1432:                             ;   in Loop: Header=BB2_1424 Depth=2
	s_delay_alu instid0(SALU_CYCLE_1) | instskip(SKIP_3) | instid1(VALU_DEP_1)
	s_or_b32 exec_lo, exec_lo, s10
	s_wait_loadcnt_dscnt 0x0
	v_and_b32_e32 v48, 0xff, v16
	s_mov_b32 s10, exec_lo
	v_cmpx_ne_u16_e32 0, v48
	s_cbranch_execz .LBB2_1440
; %bb.1433:                             ;   in Loop: Header=BB2_1424 Depth=2
	v_bfrev_b32_e32 v17, 1
	s_mov_b32 s27, exec_lo
	v_cmpx_ne_u16_e32 0x80, v48
	s_cbranch_execz .LBB2_1439
; %bb.1434:                             ;   in Loop: Header=BB2_1424 Depth=2
	v_and_b32_e32 v80, 0x7f, v16
	v_mov_b32_e32 v17, 0x7f800001
	s_mov_b32 s28, exec_lo
	s_delay_alu instid0(VALU_DEP_2)
	v_cmpx_ne_u32_e32 0x7f, v80
	s_cbranch_execz .LBB2_1438
; %bb.1435:                             ;   in Loop: Header=BB2_1424 Depth=2
	v_and_b32_e32 v48, 7, v48
	v_lshrrev_b32_e32 v17, 3, v80
	s_mov_b32 s29, exec_lo
	v_cmpx_gt_u32_e32 8, v80
; %bb.1436:                             ;   in Loop: Header=BB2_1424 Depth=2
	s_delay_alu instid0(VALU_DEP_3) | instskip(NEXT) | instid1(VALU_DEP_1)
	v_clz_i32_u32_e32 v17, v48
	v_min_u32_e32 v17, 32, v17
	s_delay_alu instid0(VALU_DEP_1) | instskip(NEXT) | instid1(VALU_DEP_1)
	v_subrev_nc_u32_e32 v80, 28, v17
	v_lshlrev_b64_e32 v[80:81], v80, v[48:49]
	s_delay_alu instid0(VALU_DEP_1)
	v_dual_sub_nc_u32 v17, 29, v17 :: v_dual_bitop2_b32 v48, 7, v80 bitop3:0x40
; %bb.1437:                             ;   in Loop: Header=BB2_1424 Depth=2
	s_or_b32 exec_lo, exec_lo, s29
	v_lshlrev_b32_e32 v16, 24, v16
	s_delay_alu instid0(VALU_DEP_2) | instskip(NEXT) | instid1(VALU_DEP_3)
	v_lshlrev_b32_e32 v48, 20, v48
	v_lshl_add_u32 v17, v17, 23, 0x3c000000
	s_delay_alu instid0(VALU_DEP_3) | instskip(NEXT) | instid1(VALU_DEP_1)
	v_and_b32_e32 v16, 0x80000000, v16
	v_or3_b32 v17, v48, v16, v17
.LBB2_1438:                             ;   in Loop: Header=BB2_1424 Depth=2
	s_or_b32 exec_lo, exec_lo, s28
.LBB2_1439:                             ;   in Loop: Header=BB2_1424 Depth=2
	s_delay_alu instid0(SALU_CYCLE_1)
	s_or_b32 exec_lo, exec_lo, s27
.LBB2_1440:                             ;   in Loop: Header=BB2_1424 Depth=2
	s_delay_alu instid0(SALU_CYCLE_1) | instskip(NEXT) | instid1(VALU_DEP_1)
	s_or_b32 exec_lo, exec_lo, s10
	v_mul_f32_e32 v16, v71, v17
                                        ; implicit-def: $vgpr17
	s_mov_b32 s10, exec_lo
	s_delay_alu instid0(VALU_DEP_1) | instskip(SKIP_1) | instid1(VALU_DEP_2)
	v_and_b32_e32 v48, 0x7f800000, v16
	v_lshrrev_b32_e32 v71, 24, v16
	v_cmpx_ne_u64_e32 0x7f800000, v[48:49]
	s_xor_b32 s27, exec_lo, s10
	s_cbranch_execz .LBB2_1458
; %bb.1441:                             ;   in Loop: Header=BB2_1424 Depth=2
	v_and_b32_e32 v48, 0x7fffffff, v16
	v_and_b32_e32 v71, 0x80, v71
                                        ; implicit-def: $vgpr17
	s_mov_b32 s10, exec_lo
	s_delay_alu instid0(VALU_DEP_2)
	v_cmpx_gt_u64_e32 0x43e00001, v[48:49]
	s_xor_b32 s28, exec_lo, s10
	s_cbranch_execz .LBB2_1455
; %bb.1442:                             ;   in Loop: Header=BB2_1424 Depth=2
	v_mov_b32_e32 v17, 0
	s_mov_b32 s29, exec_lo
	v_cmpx_ne_u32_e32 0, v16
	s_cbranch_execz .LBB2_1454
; %bb.1443:                             ;   in Loop: Header=BB2_1424 Depth=2
	v_bfe_u32 v82, v16, 23, 8
	v_and_b32_e32 v48, 0x7fffff, v16
	s_delay_alu instid0(VALU_DEP_2) | instskip(NEXT) | instid1(VALU_DEP_2)
	v_cmp_gt_u32_e32 vcc_lo, 0x7a, v82
	v_or_b32_e32 v80, 0x800000, v48
	v_sub_nc_u32_e32 v17, 0x79, v82
	s_delay_alu instid0(VALU_DEP_1) | instskip(SKIP_1) | instid1(VALU_DEP_2)
	v_cndmask_b32_e32 v17, 0, v17, vcc_lo
	v_cmp_eq_u32_e32 vcc_lo, 0, v82
	v_cndmask_b32_e64 v83, v17, 0x78, vcc_lo
	s_delay_alu instid0(VALU_DEP_1) | instskip(SKIP_1) | instid1(VALU_DEP_2)
	v_dual_cndmask_b32 v48, v80, v48, vcc_lo :: v_dual_add_nc_u32 v16, 20, v83
	v_add_nc_u32_e32 v81, 19, v83
	v_lshlrev_b64_e64 v[16:17], v16, -1
	s_delay_alu instid0(VALU_DEP_2) | instskip(NEXT) | instid1(VALU_DEP_2)
	v_lshlrev_b64_e64 v[80:81], v81, 1
	v_bfi_b32 v85, v17, 0, 0
	s_delay_alu instid0(VALU_DEP_3) | instskip(SKIP_1) | instid1(VALU_DEP_2)
	v_bfi_b32 v84, v16, 0, v48
	v_lshrrev_b64 v[16:17], v83, v[48:49]
	v_cmp_eq_u64_e64 s10, v[84:85], v[80:81]
	s_delay_alu instid0(VALU_DEP_2)
	v_mov_b64_e32 v[80:81], v[16:17]
	s_and_saveexec_b32 s40, s10
; %bb.1444:                             ;   in Loop: Header=BB2_1424 Depth=2
	v_bfe_u32 v48, v16, 20, 1
	s_delay_alu instid0(VALU_DEP_1) | instskip(NEXT) | instid1(VALU_DEP_1)
	v_add_nc_u64_e32 v[80:81], v[16:17], v[48:49]
	v_add_nc_u64_e32 v[80:81], -1, v[80:81]
; %bb.1445:                             ;   in Loop: Header=BB2_1424 Depth=2
	s_or_b32 exec_lo, exec_lo, s40
	v_add_nc_u32_e32 v17, 0xffffff81, v82
	v_lshrrev_b32_e32 v48, 23, v16
	s_mov_b32 s10, exec_lo
	s_delay_alu instid0(VALU_DEP_2) | instskip(NEXT) | instid1(VALU_DEP_1)
	v_cndmask_b32_e64 v17, v17, 0xffffff82, vcc_lo
	v_add3_u32 v81, v83, v17, v48
	v_and_b32_e32 v17, 0xfffff, v80
                                        ; implicit-def: $vgpr80
	s_delay_alu instid0(VALU_DEP_1) | instskip(NEXT) | instid1(VALU_DEP_1)
	v_dual_add_nc_u32 v82, 6, v81 :: v_dual_add_nc_u32 v48, v17, v16
                                        ; implicit-def: $vgpr16_vgpr17
	v_cmpx_ne_u32_e32 0, v82
	s_xor_b32 s10, exec_lo, s10
; %bb.1446:                             ;   in Loop: Header=BB2_1424 Depth=2
	s_delay_alu instid0(VALU_DEP_2) | instskip(SKIP_1) | instid1(VALU_DEP_1)
	v_cmp_lt_u64_e32 vcc_lo, 0xffffff, v[48:49]
	v_add_nc_u32_e32 v16, 7, v81
	v_cndmask_b32_e32 v80, v82, v16, vcc_lo
	v_cndmask_b32_e64 v16, 0, 1, vcc_lo
	s_delay_alu instid0(VALU_DEP_1)
	v_lshrrev_b64 v[16:17], v16, v[48:49]
; %bb.1447:                             ;   in Loop: Header=BB2_1424 Depth=2
	s_and_not1_saveexec_b32 s10, s10
; %bb.1448:                             ;   in Loop: Header=BB2_1424 Depth=2
	v_mov_b64_e32 v[16:17], v[48:49]
	v_bfe_u32 v80, v48, 23, 1
; %bb.1449:                             ;   in Loop: Header=BB2_1424 Depth=2
	s_or_b32 exec_lo, exec_lo, s10
	s_delay_alu instid0(VALU_DEP_2) | instskip(NEXT) | instid1(VALU_DEP_2)
	v_lshrrev_b64 v[16:17], 20, v[16:17]
	v_cmp_gt_i32_e32 vcc_lo, 16, v80
	v_cmp_ne_u32_e64 s10, 0, v80
	s_delay_alu instid0(VALU_DEP_3) | instskip(NEXT) | instid1(VALU_DEP_1)
	v_dual_cndmask_b32 v17, 0, v17 :: v_dual_cndmask_b32 v16, 7, v16
	v_cmp_ne_u64_e32 vcc_lo, 0, v[16:17]
                                        ; implicit-def: $vgpr17
	s_or_b32 s10, s10, vcc_lo
	s_delay_alu instid0(SALU_CYCLE_1) | instskip(NEXT) | instid1(SALU_CYCLE_1)
	s_and_saveexec_b32 s40, s10
	s_xor_b32 s10, exec_lo, s40
; %bb.1450:                             ;   in Loop: Header=BB2_1424 Depth=2
	v_min_i32_e32 v17, 15, v80
	s_delay_alu instid0(VALU_DEP_1) | instskip(NEXT) | instid1(VALU_DEP_1)
	v_lshl_or_b32 v17, v17, 3, v71
                                        ; implicit-def: $vgpr71
	v_and_or_b32 v17, v16, 7, v17
; %bb.1451:                             ;   in Loop: Header=BB2_1424 Depth=2
	s_and_not1_saveexec_b32 s10, s10
; %bb.1452:                             ;   in Loop: Header=BB2_1424 Depth=2
	v_mov_b32_e32 v17, v71
; %bb.1453:                             ;   in Loop: Header=BB2_1424 Depth=2
	s_or_b32 exec_lo, exec_lo, s10
.LBB2_1454:                             ;   in Loop: Header=BB2_1424 Depth=2
	s_delay_alu instid0(SALU_CYCLE_1)
	s_or_b32 exec_lo, exec_lo, s29
                                        ; implicit-def: $vgpr71
.LBB2_1455:                             ;   in Loop: Header=BB2_1424 Depth=2
	s_and_not1_saveexec_b32 s10, s28
; %bb.1456:                             ;   in Loop: Header=BB2_1424 Depth=2
	v_or_b32_e32 v17, 0x7e, v71
; %bb.1457:                             ;   in Loop: Header=BB2_1424 Depth=2
	s_or_b32 exec_lo, exec_lo, s10
                                        ; implicit-def: $vgpr71
.LBB2_1458:                             ;   in Loop: Header=BB2_1424 Depth=2
	s_and_not1_saveexec_b32 s10, s27
	s_cbranch_execz .LBB2_1423
; %bb.1459:                             ;   in Loop: Header=BB2_1424 Depth=2
	v_or_b32_e32 v17, 0x7f, v71
	s_branch .LBB2_1423
.LBB2_1460:                             ;   in Loop: Header=BB2_49 Depth=1
	s_or_b32 exec_lo, exec_lo, s11
	v_cmp_ne_u32_e64 s10, 0, v69
	s_and_saveexec_b32 s11, s2
	s_cbranch_execz .LBB2_1479
.LBB2_1461:                             ;   in Loop: Header=BB2_49 Depth=1
	s_and_saveexec_b32 s12, s3
	s_delay_alu instid0(SALU_CYCLE_1)
	s_xor_b32 s12, exec_lo, s12
	s_cbranch_execz .LBB2_1476
; %bb.1462:                             ;   in Loop: Header=BB2_49 Depth=1
	s_and_saveexec_b32 s27, s4
	s_cbranch_execz .LBB2_1475
; %bb.1463:                             ;   in Loop: Header=BB2_49 Depth=1
	s_mov_b32 s29, exec_lo
	s_mov_b32 s28, exec_lo
	v_mbcnt_lo_u32_b32 v10, s29, 0
	global_wb scope:SCOPE_DEV
	s_wait_storecnt 0x0
	s_wait_loadcnt_dscnt 0x0
	global_inv scope:SCOPE_DEV
	v_cmpx_eq_u32_e32 0, v10
	s_cbranch_execz .LBB2_1465
; %bb.1464:                             ;   in Loop: Header=BB2_49 Depth=1
	s_bcnt1_i32_b32 s29, s29
	s_delay_alu instid0(SALU_CYCLE_1)
	v_mov_b32_e32 v48, s29
	s_wait_loadcnt 0x0
	ds_add_u64 v0, v[48:49]
	s_trap 2
.LBB2_1465:                             ;   in Loop: Header=BB2_49 Depth=1
	s_or_b32 exec_lo, exec_lo, s28
	s_trap 2
	ds_load_b64 v[10:11], v0
	s_wait_dscnt 0x0
	v_add_nc_u64_e32 v[32:33], v[32:33], v[38:39]
	s_mov_b32 s28, exec_lo
	s_delay_alu instid0(VALU_DEP_1)
	v_cmpx_lt_u64_e64 v[10:11], v[32:33]
	s_cbranch_execz .LBB2_1474
; %bb.1466:                             ;   in Loop: Header=BB2_49 Depth=1
	s_mov_b32 s29, 0
	s_mov_b32 s42, 0
                                        ; implicit-def: $sgpr40
                                        ; implicit-def: $sgpr41
	s_branch .LBB2_1468
.LBB2_1467:                             ;   in Loop: Header=BB2_1468 Depth=2
	s_or_b32 exec_lo, exec_lo, s44
	s_delay_alu instid0(SALU_CYCLE_1) | instskip(NEXT) | instid1(SALU_CYCLE_1)
	s_and_b32 s43, exec_lo, s45
	s_or_b32 s29, s43, s29
	s_and_not1_b32 s40, s40, exec_lo
	s_and_b32 s43, s41, exec_lo
	s_delay_alu instid0(SALU_CYCLE_1)
	s_or_b32 s40, s40, s43
	s_and_not1_b32 exec_lo, exec_lo, s29
	s_cbranch_execz .LBB2_1472
.LBB2_1468:                             ;   Parent Loop BB2_49 Depth=1
                                        ; =>  This Inner Loop Header: Depth=2
	s_add_co_i32 s42, s42, 1
	s_delay_alu instid0(SALU_CYCLE_1) | instskip(SKIP_1) | instid1(SALU_CYCLE_1)
	s_cmp_lg_u32 s42, 0x2710
	s_cselect_b32 s43, -1, 0
	s_and_b32 vcc_lo, exec_lo, s43
	s_cbranch_vccz .LBB2_1470
; %bb.1469:                             ;   in Loop: Header=BB2_1468 Depth=2
	s_mov_b32 s45, -1
	s_or_b32 s41, s41, exec_lo
	s_and_saveexec_b32 s44, s43
	s_cbranch_execz .LBB2_1467
	s_branch .LBB2_1471
.LBB2_1470:                             ;   in Loop: Header=BB2_1468 Depth=2
	s_trap 2
	ds_load_b64 v[10:11], v0
	s_and_not1_b32 s43, s43, exec_lo
	s_mov_b32 s42, 0
	s_wait_loadcnt_dscnt 0x0
	flat_load_b32 v10, v[10:11] scope:SCOPE_SYS
	s_wait_loadcnt_dscnt 0x0
	global_inv scope:SCOPE_SYS
	v_cmp_eq_u32_e32 vcc_lo, 0, v10
	s_and_b32 s44, vcc_lo, exec_lo
	s_delay_alu instid0(SALU_CYCLE_1)
	s_or_b32 s43, s43, s44
	s_mov_b32 s45, -1
	s_or_b32 s41, s41, exec_lo
	s_and_saveexec_b32 s44, s43
	s_cbranch_execz .LBB2_1467
.LBB2_1471:                             ;   in Loop: Header=BB2_1468 Depth=2
	s_sleep 1
	s_trap 2
	ds_load_b64 v[10:11], v0
	s_wait_dscnt 0x0
	s_and_not1_b32 s41, s41, exec_lo
	v_cmp_ge_u64_e32 vcc_lo, v[10:11], v[32:33]
	s_or_not1_b32 s45, vcc_lo, exec_lo
	s_branch .LBB2_1467
.LBB2_1472:                             ;   in Loop: Header=BB2_49 Depth=1
	s_or_b32 exec_lo, exec_lo, s29
	s_and_saveexec_b32 s29, s40
	s_delay_alu instid0(SALU_CYCLE_1)
	s_xor_b32 s29, exec_lo, s29
	s_cbranch_execz .LBB2_1474
; %bb.1473:                             ;   in Loop: Header=BB2_49 Depth=1
	ds_store_b32 v0, v116
	s_trap 2
.LBB2_1474:                             ;   in Loop: Header=BB2_49 Depth=1
	s_or_b32 exec_lo, exec_lo, s28
	;;#ASMSTART
	s_wakeup
	;;#ASMEND
.LBB2_1475:                             ;   in Loop: Header=BB2_49 Depth=1
	s_or_b32 exec_lo, exec_lo, s27
.LBB2_1476:                             ;   in Loop: Header=BB2_49 Depth=1
	s_and_not1_saveexec_b32 s12, s12
	s_cbranch_execz .LBB2_1478
; %bb.1477:                             ;   in Loop: Header=BB2_49 Depth=1
	global_wb scope:SCOPE_DEV
	s_wait_storecnt 0x0
	s_wait_loadcnt_dscnt 0x0
	global_inv scope:SCOPE_DEV
	s_barrier_signal -1
	s_barrier_wait -1
.LBB2_1478:                             ;   in Loop: Header=BB2_49 Depth=1
	s_or_b32 exec_lo, exec_lo, s12
.LBB2_1479:                             ;   in Loop: Header=BB2_49 Depth=1
	s_delay_alu instid0(SALU_CYCLE_1) | instskip(SKIP_1) | instid1(VALU_DEP_1)
	s_or_b32 exec_lo, exec_lo, s11
	v_and_b32_e32 v10, 16, v112
	v_cmp_ne_u32_e32 vcc_lo, 0, v10
	s_and_b32 s11, vcc_lo, s10
	s_delay_alu instid0(SALU_CYCLE_1)
	s_and_saveexec_b32 s10, s11
	s_cbranch_execz .LBB2_1481
; %bb.1480:                             ;   in Loop: Header=BB2_49 Depth=1
	global_wb scope:SCOPE_SYS
	s_wait_storecnt 0x0
	s_wait_loadcnt_dscnt 0x0
	global_inv scope:SCOPE_SYS
.LBB2_1481:                             ;   in Loop: Header=BB2_49 Depth=1
	s_or_b32 exec_lo, exec_lo, s10
	v_cmp_ne_u32_e32 vcc_lo, 0, v10
	s_xor_b32 s10, s7, -1
	s_delay_alu instid0(SALU_CYCLE_1) | instskip(NEXT) | instid1(SALU_CYCLE_1)
	s_and_b32 s11, vcc_lo, s10
	s_and_saveexec_b32 s10, s11
	s_cbranch_execz .LBB2_1483
; %bb.1482:                             ;   in Loop: Header=BB2_49 Depth=1
	global_wb scope:SCOPE_SYS
	s_wait_storecnt 0x0
	s_wait_loadcnt_dscnt 0x0
	flat_store_b32 v[36:37], v116 scope:SCOPE_SYS
.LBB2_1483:                             ;   in Loop: Header=BB2_49 Depth=1
	s_wait_xcnt 0x0
	s_or_b32 exec_lo, exec_lo, s10
	v_and_b32_e32 v10, 48, v112
	s_mov_b32 s10, exec_lo
	s_delay_alu instid0(VALU_DEP_1)
	v_cmpx_ne_u32_e32 0, v10
	s_cbranch_execz .LBB2_1485
; %bb.1484:                             ;   in Loop: Header=BB2_49 Depth=1
	v_add_nc_u64_e32 v[8:9], 1, v[8:9]
	global_wb scope:SCOPE_SYS
	s_wait_storecnt 0x0
	s_wait_loadcnt_dscnt 0x0
	flat_store_b64 v[22:23], v[8:9] scope:SCOPE_SYS
.LBB2_1485:                             ;   in Loop: Header=BB2_49 Depth=1
	s_wait_xcnt 0x0
	s_or_b32 exec_lo, exec_lo, s10
	v_mov_b32_e32 v10, v70
.LBB2_1486:                             ;   in Loop: Header=BB2_49 Depth=1
	s_or_b32 exec_lo, exec_lo, s26
	s_and_saveexec_b32 s11, s25
	s_cbranch_execz .LBB2_48
; %bb.1487:                             ;   in Loop: Header=BB2_49 Depth=1
	s_delay_alu instid0(VALU_DEP_1) | instskip(SKIP_1) | instid1(VALU_DEP_1)
	v_dual_sub_nc_u32 v10, v68, v10 :: v_dual_bitop2_b32 v11, 12, v112 bitop3:0x40
	s_mov_b32 s12, exec_lo
	v_min_i32_e32 v10, v70, v10
	s_delay_alu instid0(VALU_DEP_2)
	v_cmpx_ne_u32_e32 0, v11
	s_cbranch_execz .LBB2_1513
; %bb.1488:                             ;   in Loop: Header=BB2_49 Depth=1
	v_and_b32_e32 v48, 8, v112
	v_add_nc_u64_e32 v[12:13], 1, v[8:9]
	s_mov_b32 s25, exec_lo
	s_wait_loadcnt 0x0
	s_delay_alu instid0(VALU_DEP_2) | instskip(NEXT) | instid1(VALU_DEP_1)
	v_add_nc_u64_e32 v[14:15], v[28:29], v[48:49]
	v_cmpx_lt_u64_e64 v[14:15], v[12:13]
	s_cbranch_execz .LBB2_1500
; %bb.1489:                             ;   in Loop: Header=BB2_49 Depth=1
	v_and_b32_e32 v9, 64, v112
	s_mov_b32 s26, 0
	s_mov_b32 s40, 0
                                        ; implicit-def: $sgpr27
                                        ; implicit-def: $sgpr28
                                        ; implicit-def: $sgpr29
	s_delay_alu instid0(VALU_DEP_1)
	v_cmp_eq_u32_e32 vcc_lo, 0, v9
	s_branch .LBB2_1493
.LBB2_1490:                             ;   in Loop: Header=BB2_1493 Depth=2
	s_wait_loadcnt_dscnt 0x0
	v_add_nc_u64_e32 v[14:15], v[28:29], v[48:49]
	s_or_b32 s43, s43, exec_lo
	s_delay_alu instid0(VALU_DEP_1)
	v_cmp_ge_u64_e64 s10, v[14:15], v[12:13]
	s_or_not1_b32 s42, s10, exec_lo
.LBB2_1491:                             ;   in Loop: Header=BB2_1493 Depth=2
	s_or_b32 exec_lo, exec_lo, s45
	s_delay_alu instid0(SALU_CYCLE_1)
	s_and_not1_b32 s10, s29, exec_lo
	s_and_b32 s29, s43, exec_lo
	s_and_not1_b32 s28, s28, exec_lo
	s_and_b32 s42, s42, exec_lo
	s_or_b32 s29, s10, s29
	s_or_b32 s28, s28, s42
.LBB2_1492:                             ;   in Loop: Header=BB2_1493 Depth=2
	s_or_b32 exec_lo, exec_lo, s41
	s_delay_alu instid0(SALU_CYCLE_1) | instskip(NEXT) | instid1(SALU_CYCLE_1)
	s_and_b32 s10, exec_lo, s28
	s_or_b32 s26, s10, s26
	s_and_not1_b32 s10, s27, exec_lo
	s_and_b32 s27, s29, exec_lo
	s_delay_alu instid0(SALU_CYCLE_1)
	s_or_b32 s27, s10, s27
	s_and_not1_b32 exec_lo, exec_lo, s26
	s_cbranch_execz .LBB2_1497
.LBB2_1493:                             ;   Parent Loop BB2_49 Depth=1
                                        ; =>  This Inner Loop Header: Depth=2
	s_sleep 1
	s_wait_loadcnt_dscnt 0x0
	flat_load_b64 v[28:29], v[22:23] scope:SCOPE_SYS
	s_or_b32 s29, s29, exec_lo
	s_or_b32 s28, s28, exec_lo
                                        ; implicit-def: $vgpr9
	s_wait_xcnt 0x0
	s_and_saveexec_b32 s41, vcc_lo
	s_cbranch_execz .LBB2_1492
; %bb.1494:                             ;   in Loop: Header=BB2_1493 Depth=2
	s_cmp_lt_i32 s40, 0x270f
	s_mov_b32 s42, -1
	s_cselect_b32 s44, -1, 0
	s_cmp_gt_i32 s40, 0x270e
	s_cbranch_scc0 .LBB2_1496
; %bb.1495:                             ;   in Loop: Header=BB2_1493 Depth=2
	s_trap 2
	ds_load_b64 v[14:15], v0
	s_and_not1_b32 s40, s44, exec_lo
	s_mov_b32 s43, 0
	s_wait_storecnt 0x0
	s_wait_loadcnt_dscnt 0x0
	flat_load_b32 v9, v[14:15] scope:SCOPE_SYS
	s_wait_loadcnt_dscnt 0x0
	global_inv scope:SCOPE_SYS
	v_cmp_eq_u32_e64 s10, 0, v9
	s_and_b32 s10, s10, exec_lo
	s_delay_alu instid0(SALU_CYCLE_1)
	s_or_b32 s44, s40, s10
	s_mov_b32 s40, 0
	s_and_saveexec_b32 s45, s44
	s_cbranch_execz .LBB2_1491
	s_branch .LBB2_1490
.LBB2_1496:                             ;   in Loop: Header=BB2_1493 Depth=2
	s_add_co_i32 s40, s40, 1
	s_mov_b32 s43, -1
                                        ; implicit-def: $vgpr9
	s_and_saveexec_b32 s45, s44
	s_cbranch_execz .LBB2_1491
	s_branch .LBB2_1490
.LBB2_1497:                             ;   in Loop: Header=BB2_49 Depth=1
	s_or_b32 exec_lo, exec_lo, s26
	s_xor_b32 s10, s27, -1
	s_delay_alu instid0(SALU_CYCLE_1) | instskip(NEXT) | instid1(SALU_CYCLE_1)
	s_and_saveexec_b32 s26, s10
	s_xor_b32 s10, exec_lo, s26
	s_cbranch_execz .LBB2_1499
; %bb.1498:                             ;   in Loop: Header=BB2_49 Depth=1
	v_or_b32_e32 v112, 64, v112
	s_wait_storecnt 0x0
	s_wait_loadcnt_dscnt 0x0
	ds_store_b32 v0, v9
	s_trap 2
.LBB2_1499:                             ;   in Loop: Header=BB2_49 Depth=1
	s_or_b32 exec_lo, exec_lo, s10
.LBB2_1500:                             ;   in Loop: Header=BB2_49 Depth=1
	s_delay_alu instid0(SALU_CYCLE_1) | instskip(SKIP_2) | instid1(VALU_DEP_1)
	s_or_b32 exec_lo, exec_lo, s25
	v_and_b32_e32 v9, 0x108, v112
	;;#ASMSTART
	s_wakeup
	;;#ASMEND
	v_cmp_ne_u32_e32 vcc_lo, 0x108, v9
	v_and_b32_e32 v8, 7, v8
	s_and_saveexec_b32 s10, vcc_lo
	s_delay_alu instid0(SALU_CYCLE_1)
	s_xor_b32 s10, exec_lo, s10
; %bb.1501:                             ;   in Loop: Header=BB2_49 Depth=1
	v_mov_b32_e32 v9, v49
; %bb.1502:                             ;   in Loop: Header=BB2_49 Depth=1
	s_and_not1_saveexec_b32 s10, s10
	s_cbranch_execz .LBB2_1504
; %bb.1503:                             ;   in Loop: Header=BB2_49 Depth=1
	v_mad_nc_u64_u32 v[14:15], v8, 24, v[6:7]
	v_dual_ashrrev_i32 v11, 31, v10 :: v_dual_mov_b32 v9, v49
	flat_store_b64 v[14:15], v[10:11] offset:8
.LBB2_1504:                             ;   in Loop: Header=BB2_49 Depth=1
	s_wait_xcnt 0x0
	s_or_b32 exec_lo, exec_lo, s10
	v_and_b32_e32 v11, 0x100, v112
	s_mov_b32 s10, -1
	s_mov_b32 s25, exec_lo
                                        ; implicit-def: $vgpr14_vgpr15
	s_delay_alu instid0(VALU_DEP_1)
	v_cmpx_ne_u32_e32 0, v11
	s_cbranch_execz .LBB2_1508
; %bb.1505:                             ;   in Loop: Header=BB2_49 Depth=1
	v_mad_nc_u64_u32 v[16:17], v8, 24, v[6:7]
	s_mov_b32 s26, exec_lo
                                        ; implicit-def: $vgpr14_vgpr15
	s_delay_alu instid0(VALU_DEP_1)
	v_mad_u32 v17, v9, 24, v17
	flat_load_b32 v11, v[16:17]
	s_wait_loadcnt_dscnt 0x0
	v_cmp_ne_u32_e32 vcc_lo, 1, v11
	s_wait_xcnt 0x0
	v_cmpx_eq_u32_e32 1, v11
	s_cbranch_execz .LBB2_1507
; %bb.1506:                             ;   in Loop: Header=BB2_49 Depth=1
	flat_load_b32 v14, v[16:17] offset:4 scope:SCOPE_SYS
	s_wait_loadcnt_dscnt 0x0
	v_ashrrev_i32_e32 v15, 31, v14
.LBB2_1507:                             ;   in Loop: Header=BB2_49 Depth=1
	s_wait_xcnt 0x0
	s_or_b32 exec_lo, exec_lo, s26
	s_delay_alu instid0(SALU_CYCLE_1)
	s_or_not1_b32 s10, vcc_lo, exec_lo
.LBB2_1508:                             ;   in Loop: Header=BB2_49 Depth=1
	s_or_b32 exec_lo, exec_lo, s25
	s_and_saveexec_b32 s25, s10
; %bb.1509:                             ;   in Loop: Header=BB2_49 Depth=1
	v_mul_u64_e32 v[14:15], v[8:9], v[24:25]
; %bb.1510:                             ;   in Loop: Header=BB2_49 Depth=1
	s_or_b32 exec_lo, exec_lo, s25
	v_cmp_eq_u32_e32 vcc_lo, 0, v48
	s_delay_alu instid0(VALU_DEP_2) | instskip(SKIP_3) | instid1(VALU_DEP_1)
	v_add_nc_u64_e32 v[8:9], v[26:27], v[14:15]
	v_and_b32_e32 v16, 0x2000, v112
	s_mov_b32 s10, exec_lo
	v_cndmask_b32_e32 v11, 0xc8, v117, vcc_lo
	v_add_nc_u32_e32 v11, v0, v11
	ds_store_b64 v11, v[8:9] offset:584
	v_cmpx_ne_u32_e32 0, v16
	s_cbranch_execz .LBB2_1512
; %bb.1511:                             ;   in Loop: Header=BB2_49 Depth=1
	ds_load_b64 v[8:9], v0 offset:872
	s_wait_dscnt 0x0
	v_add_nc_u64_e32 v[8:9], 1, v[8:9]
	ds_store_b64 v0, v[8:9] offset:872
.LBB2_1512:                             ;   in Loop: Header=BB2_49 Depth=1
	s_or_b32 exec_lo, exec_lo, s10
	v_mov_b64_e32 v[8:9], v[12:13]
.LBB2_1513:                             ;   in Loop: Header=BB2_49 Depth=1
	s_or_b32 exec_lo, exec_lo, s12
	s_and_saveexec_b32 s10, s2
	s_cbranch_execz .LBB2_1532
; %bb.1514:                             ;   in Loop: Header=BB2_49 Depth=1
	s_and_saveexec_b32 s12, s3
	s_delay_alu instid0(SALU_CYCLE_1)
	s_xor_b32 s12, exec_lo, s12
	s_cbranch_execz .LBB2_1529
; %bb.1515:                             ;   in Loop: Header=BB2_49 Depth=1
	s_and_saveexec_b32 s25, s4
	s_cbranch_execz .LBB2_1528
; %bb.1516:                             ;   in Loop: Header=BB2_49 Depth=1
	s_mov_b32 s27, exec_lo
	s_mov_b32 s26, exec_lo
	v_mbcnt_lo_u32_b32 v11, s27, 0
	global_wb scope:SCOPE_DEV
	s_wait_storecnt 0x0
	s_wait_loadcnt_dscnt 0x0
	global_inv scope:SCOPE_DEV
	v_cmpx_eq_u32_e32 0, v11
	s_cbranch_execz .LBB2_1518
; %bb.1517:                             ;   in Loop: Header=BB2_49 Depth=1
	s_bcnt1_i32_b32 s27, s27
	s_delay_alu instid0(SALU_CYCLE_1)
	v_mov_b32_e32 v48, s27
	s_wait_loadcnt 0x0
	ds_add_u64 v0, v[48:49]
	s_trap 2
.LBB2_1518:                             ;   in Loop: Header=BB2_49 Depth=1
	s_or_b32 exec_lo, exec_lo, s26
	s_trap 2
	ds_load_b64 v[12:13], v0
	s_wait_dscnt 0x0
	v_add_nc_u64_e32 v[32:33], v[32:33], v[38:39]
	s_mov_b32 s26, exec_lo
	s_delay_alu instid0(VALU_DEP_1)
	v_cmpx_lt_u64_e64 v[12:13], v[32:33]
	s_cbranch_execz .LBB2_1527
; %bb.1519:                             ;   in Loop: Header=BB2_49 Depth=1
	s_mov_b32 s27, 0
	s_mov_b32 s40, 0
                                        ; implicit-def: $sgpr28
                                        ; implicit-def: $sgpr29
	s_branch .LBB2_1521
.LBB2_1520:                             ;   in Loop: Header=BB2_1521 Depth=2
	s_or_b32 exec_lo, exec_lo, s42
	s_delay_alu instid0(SALU_CYCLE_1) | instskip(NEXT) | instid1(SALU_CYCLE_1)
	s_and_b32 s41, exec_lo, s43
	s_or_b32 s27, s41, s27
	s_and_not1_b32 s28, s28, exec_lo
	s_and_b32 s41, s29, exec_lo
	s_delay_alu instid0(SALU_CYCLE_1)
	s_or_b32 s28, s28, s41
	s_and_not1_b32 exec_lo, exec_lo, s27
	s_cbranch_execz .LBB2_1525
.LBB2_1521:                             ;   Parent Loop BB2_49 Depth=1
                                        ; =>  This Inner Loop Header: Depth=2
	s_add_co_i32 s40, s40, 1
	s_delay_alu instid0(SALU_CYCLE_1) | instskip(SKIP_1) | instid1(SALU_CYCLE_1)
	s_cmp_lg_u32 s40, 0x2710
	s_cselect_b32 s41, -1, 0
	s_and_b32 vcc_lo, exec_lo, s41
	s_cbranch_vccz .LBB2_1523
; %bb.1522:                             ;   in Loop: Header=BB2_1521 Depth=2
	s_mov_b32 s43, -1
	s_or_b32 s29, s29, exec_lo
	s_and_saveexec_b32 s42, s41
	s_cbranch_execz .LBB2_1520
	s_branch .LBB2_1524
.LBB2_1523:                             ;   in Loop: Header=BB2_1521 Depth=2
	s_trap 2
	ds_load_b64 v[12:13], v0
	s_and_not1_b32 s41, s41, exec_lo
	s_mov_b32 s40, 0
	s_wait_loadcnt_dscnt 0x0
	flat_load_b32 v11, v[12:13] scope:SCOPE_SYS
	s_wait_loadcnt_dscnt 0x0
	global_inv scope:SCOPE_SYS
	v_cmp_eq_u32_e32 vcc_lo, 0, v11
	s_and_b32 s42, vcc_lo, exec_lo
	s_delay_alu instid0(SALU_CYCLE_1)
	s_or_b32 s41, s41, s42
	s_mov_b32 s43, -1
	s_or_b32 s29, s29, exec_lo
	s_and_saveexec_b32 s42, s41
	s_cbranch_execz .LBB2_1520
.LBB2_1524:                             ;   in Loop: Header=BB2_1521 Depth=2
	s_sleep 1
	s_trap 2
	ds_load_b64 v[12:13], v0
	s_wait_dscnt 0x0
	s_and_not1_b32 s29, s29, exec_lo
	v_cmp_ge_u64_e32 vcc_lo, v[12:13], v[32:33]
	s_or_not1_b32 s43, vcc_lo, exec_lo
	s_branch .LBB2_1520
.LBB2_1525:                             ;   in Loop: Header=BB2_49 Depth=1
	s_or_b32 exec_lo, exec_lo, s27
	s_and_saveexec_b32 s27, s28
	s_delay_alu instid0(SALU_CYCLE_1)
	s_xor_b32 s27, exec_lo, s27
	s_cbranch_execz .LBB2_1527
; %bb.1526:                             ;   in Loop: Header=BB2_49 Depth=1
	ds_store_b32 v0, v116
	s_trap 2
.LBB2_1527:                             ;   in Loop: Header=BB2_49 Depth=1
	s_or_b32 exec_lo, exec_lo, s26
	;;#ASMSTART
	s_wakeup
	;;#ASMEND
.LBB2_1528:                             ;   in Loop: Header=BB2_49 Depth=1
	s_or_b32 exec_lo, exec_lo, s25
.LBB2_1529:                             ;   in Loop: Header=BB2_49 Depth=1
	s_and_not1_saveexec_b32 s12, s12
	s_cbranch_execz .LBB2_1531
; %bb.1530:                             ;   in Loop: Header=BB2_49 Depth=1
	global_wb scope:SCOPE_DEV
	s_wait_storecnt 0x0
	s_wait_loadcnt_dscnt 0x0
	global_inv scope:SCOPE_DEV
	s_barrier_signal -1
	s_barrier_wait -1
.LBB2_1531:                             ;   in Loop: Header=BB2_49 Depth=1
	s_or_b32 exec_lo, exec_lo, s12
.LBB2_1532:                             ;   in Loop: Header=BB2_49 Depth=1
	s_delay_alu instid0(SALU_CYCLE_1)
	s_or_b32 exec_lo, exec_lo, s10
	s_trap 2
	ds_load_b32 v11, v0
	v_cmp_lt_i32_e32 vcc_lo, 0, v10
	s_wait_dscnt 0x0
	v_readfirstlane_b32 s10, v11
	v_and_b32_e32 v11, 16, v112
	s_cmp_eq_u32 s10, 0
	s_delay_alu instid0(VALU_DEP_1) | instskip(SKIP_1) | instid1(SALU_CYCLE_1)
	v_cmp_ne_u32_e64 s10, 0, v11
	s_cselect_b32 s12, -1, 0
	s_and_b32 s12, vcc_lo, s12
	s_delay_alu instid0(SALU_CYCLE_1) | instskip(NEXT) | instid1(SALU_CYCLE_1)
	s_and_b32 s12, s10, s12
	s_and_saveexec_b32 s10, s12
	s_cbranch_execz .LBB2_1534
; %bb.1533:                             ;   in Loop: Header=BB2_49 Depth=1
	global_wb scope:SCOPE_SYS
	s_wait_loadcnt 0x0
	s_wait_storecnt 0x0
	global_inv scope:SCOPE_SYS
.LBB2_1534:                             ;   in Loop: Header=BB2_49 Depth=1
	s_or_b32 exec_lo, exec_lo, s10
	v_cmp_ne_u32_e32 vcc_lo, 0, v11
	s_xor_b32 s10, s7, -1
	s_delay_alu instid0(SALU_CYCLE_1) | instskip(NEXT) | instid1(SALU_CYCLE_1)
	s_and_b32 s12, vcc_lo, s10
	s_and_saveexec_b32 s10, s12
	s_cbranch_execz .LBB2_1536
; %bb.1535:                             ;   in Loop: Header=BB2_49 Depth=1
	global_wb scope:SCOPE_SYS
	s_wait_loadcnt 0x0
	s_wait_storecnt 0x0
	flat_store_b32 v[36:37], v116 scope:SCOPE_SYS
.LBB2_1536:                             ;   in Loop: Header=BB2_49 Depth=1
	s_wait_xcnt 0x0
	s_or_b32 exec_lo, exec_lo, s10
	v_and_b32_e32 v10, 48, v112
	s_mov_b32 s10, exec_lo
	s_delay_alu instid0(VALU_DEP_1)
	v_cmpx_ne_u32_e32 0, v10
	s_cbranch_execz .LBB2_47
; %bb.1537:                             ;   in Loop: Header=BB2_49 Depth=1
	v_add_nc_u64_e32 v[8:9], 1, v[8:9]
	global_wb scope:SCOPE_SYS
	s_wait_storecnt 0x0
	s_wait_loadcnt_dscnt 0x0
	flat_store_b64 v[22:23], v[8:9] scope:SCOPE_SYS
	s_branch .LBB2_47
.LBB2_1538:
	s_or_b32 exec_lo, exec_lo, s22
.LBB2_1539:
	s_delay_alu instid0(SALU_CYCLE_1)
	s_or_b32 exec_lo, exec_lo, s21
                                        ; implicit-def: $vgpr18_vgpr19
                                        ; implicit-def: $vgpr4_vgpr5
                                        ; implicit-def: $vgpr24
                                        ; implicit-def: $vgpr28_vgpr29
                                        ; implicit-def: $vgpr26_vgpr27
                                        ; implicit-def: $vgpr22_vgpr23
                                        ; implicit-def: $vgpr0
                                        ; implicit-def: $vgpr15
                                        ; implicit-def: $vgpr34_vgpr35
.LBB2_1540:
	s_and_not1_saveexec_b32 s16, s13
	s_cbranch_execz .LBB2_3024
; %bb.1541:
	s_wait_dscnt 0x0
	v_mov_b64_e32 v[32:33], 0
	s_mov_b32 s17, exec_lo
	v_cmpx_ne_u64_e32 0, v[4:5]
	s_cbranch_execz .LBB2_3023
; %bb.1542:
	v_dual_ashrrev_i32 v10, 31, v0 :: v_dual_bitop2_b32 v11, 31, v31 bitop3:0x40
	v_dual_ashrrev_i32 v25, 31, v24 :: v_dual_mov_b32 v39, 0
	s_delay_alu instid0(VALU_DEP_2)
	v_dual_lshlrev_b32 v48, 4, v0 :: v_dual_lshrrev_b32 v10, 27, v10
	s_ashr_i32 s4, s19, 31
	v_cmp_eq_u32_e32 vcc_lo, 32, v1
	s_lshr_b32 s4, s4, 24
	v_mov_b64_e32 v[64:65], 0
	v_dual_add_nc_u32 v10, v0, v10 :: v_dual_lshrrev_b32 v36, 5, v1
	v_mov_b32_e32 v37, v39
	v_mov_b64_e32 v[32:33], 0
	v_cmp_ge_i32_e64 s1, v0, v1
	s_delay_alu instid0(VALU_DEP_4)
	v_and_b32_e32 v12, 0xffffffe0, v10
	v_ashrrev_i32_e32 v10, 5, v10
	v_cmp_ne_u32_e64 s2, 32, v1
	v_cmp_ne_u32_e64 s3, v1, v113
	s_add_co_i32 s7, s19, s4
	v_dual_mov_b32 v51, v39 :: v_dual_sub_nc_u32 v100, v0, v12
	v_cmp_eq_u32_e64 s4, 0, v11
	v_dual_ashrrev_i32 v49, 31, v48 :: v_dual_sub_nc_u32 v101, 0, v10
	v_dual_lshlrev_b32 v50, 9, v36 :: v_dual_lshlrev_b32 v52, 8, v36
	s_delay_alu instid0(VALU_DEP_4)
	v_cmp_le_i32_e64 s5, v100, v15
	v_cmp_gt_i32_e64 s6, 1, v100
	v_dual_mov_b32 v53, v39 :: v_dual_mov_b32 v55, v39
	v_and_b32_e32 v54, 0x1fe0, v1
	v_mov_b32_e32 v102, 1
	v_bfrev_b32_e32 v103, 1
	s_mov_b64 s[12:13], 0xffffffffffffff
	s_mov_b64 s[14:15], 0x100000000000000
	s_ashr_i32 s22, s7, 8
	s_mov_b32 s21, 0
	s_xor_b32 s23, vcc_lo, -1
	s_trap 2
	s_branch .LBB2_1545
.LBB2_1543:                             ;   in Loop: Header=BB2_1545 Depth=1
	s_wait_xcnt 0x0
	s_or_b32 exec_lo, exec_lo, s7
.LBB2_1544:                             ;   in Loop: Header=BB2_1545 Depth=1
	s_delay_alu instid0(SALU_CYCLE_1) | instskip(SKIP_1) | instid1(VALU_DEP_1)
	s_or_b32 exec_lo, exec_lo, s10
	v_add_nc_u64_e32 v[64:65], v[64:65], v[34:35]
	v_cmp_ge_u64_e32 vcc_lo, v[64:65], v[4:5]
	s_or_b32 s21, vcc_lo, s21
	s_delay_alu instid0(SALU_CYCLE_1)
	s_and_not1_b32 exec_lo, exec_lo, s21
	s_cbranch_execz .LBB2_3022
.LBB2_1545:                             ; =>This Loop Header: Depth=1
                                        ;     Child Loop BB2_1554 Depth 2
                                        ;     Child Loop BB2_1578 Depth 2
	;; [unrolled: 1-line block ×10, first 2 shown]
	v_sub_nc_u64_e32 v[10:11], v[4:5], v[64:65]
	v_mov_b32_e32 v14, v39
	s_delay_alu instid0(VALU_DEP_2) | instskip(NEXT) | instid1(VALU_DEP_1)
	v_min_u64 v[66:67], v[34:35], v[10:11]
	v_add_nc_u32_e32 v10, 15, v66
	s_delay_alu instid0(VALU_DEP_2) | instskip(NEXT) | instid1(VALU_DEP_2)
	v_cmp_eq_u64_e32 vcc_lo, 0, v[66:67]
	v_and_b32_e32 v10, 0x7ffffff0, v10
	s_or_b32 s24, s1, vcc_lo
	s_delay_alu instid0(SALU_CYCLE_1) | instskip(NEXT) | instid1(VALU_DEP_1)
	s_xor_b32 s7, s24, -1
	v_max_i32_e32 v67, s22, v10
	s_and_saveexec_b32 s25, s7
	s_cbranch_execz .LBB2_2976
; %bb.1546:                             ;   in Loop: Header=BB2_1545 Depth=1
	s_and_saveexec_b32 s7, s0
	s_cbranch_execz .LBB2_1548
; %bb.1547:                             ;   in Loop: Header=BB2_1545 Depth=1
	s_trap 2
	ds_load_b64 v[14:15], v0
	ds_load_2addr_b64 v[10:13], v0 offset1:1
	v_add_nc_u64_e32 v[16:17], v[64:65], v[18:19]
	s_wait_dscnt 0x1
	s_delay_alu instid0(VALU_DEP_1) | instskip(SKIP_4) | instid1(VALU_DEP_4)
	v_add_nc_u64_e32 v[68:69], v[14:15], v[16:17]
	v_cmp_ne_u64_e32 vcc_lo, 0, v[14:15]
	s_wait_dscnt 0x0
	v_add_nc_u64_e32 v[10:11], v[10:11], v[16:17]
	v_add_nc_u64_e32 v[12:13], v[12:13], v[16:17]
	v_dual_cndmask_b32 v15, 0, v69 :: v_dual_cndmask_b32 v14, 0, v68
	ds_store_b64 v0, v[10:11]
	ds_store_b64 v0, v[12:13]
	;; [unrolled: 1-line block ×3, first 2 shown]
.LBB2_1548:                             ;   in Loop: Header=BB2_1545 Depth=1
	s_or_b32 exec_lo, exec_lo, s7
	v_and_b32_e32 v10, 4, v112
	s_mov_b32 s10, exec_lo
	s_delay_alu instid0(VALU_DEP_1)
	v_cmpx_ne_u32_e32 0, v10
	s_cbranch_execz .LBB2_1570
; %bb.1549:                             ;   in Loop: Header=BB2_1545 Depth=1
	v_add_nc_u64_e32 v[10:11], 1, v[8:9]
	s_mov_b32 s11, exec_lo
	s_wait_loadcnt 0x0
	s_delay_alu instid0(VALU_DEP_1)
	v_cmpx_lt_u64_e64 v[28:29], v[10:11]
	s_cbranch_execz .LBB2_1561
; %bb.1550:                             ;   in Loop: Header=BB2_1545 Depth=1
	v_and_b32_e32 v9, 64, v112
	s_mov_b32 s26, 0
	s_mov_b32 s40, 0
                                        ; implicit-def: $sgpr27
                                        ; implicit-def: $sgpr28
                                        ; implicit-def: $sgpr29
	s_delay_alu instid0(VALU_DEP_1)
	v_cmp_eq_u32_e32 vcc_lo, 0, v9
	s_branch .LBB2_1554
.LBB2_1551:                             ;   in Loop: Header=BB2_1554 Depth=2
	s_wait_loadcnt_dscnt 0x0
	v_cmp_ge_u64_e64 s7, v[28:29], v[10:11]
	s_or_b32 s43, s43, exec_lo
	s_or_not1_b32 s42, s7, exec_lo
.LBB2_1552:                             ;   in Loop: Header=BB2_1554 Depth=2
	s_or_b32 exec_lo, exec_lo, s45
	s_delay_alu instid0(SALU_CYCLE_1)
	s_and_not1_b32 s7, s29, exec_lo
	s_and_b32 s29, s43, exec_lo
	s_and_not1_b32 s28, s28, exec_lo
	s_and_b32 s42, s42, exec_lo
	s_or_b32 s29, s7, s29
	s_or_b32 s28, s28, s42
.LBB2_1553:                             ;   in Loop: Header=BB2_1554 Depth=2
	s_or_b32 exec_lo, exec_lo, s41
	s_delay_alu instid0(SALU_CYCLE_1) | instskip(NEXT) | instid1(SALU_CYCLE_1)
	s_and_b32 s7, exec_lo, s28
	s_or_b32 s26, s7, s26
	s_and_not1_b32 s7, s27, exec_lo
	s_and_b32 s27, s29, exec_lo
	s_delay_alu instid0(SALU_CYCLE_1)
	s_or_b32 s27, s7, s27
	s_and_not1_b32 exec_lo, exec_lo, s26
	s_cbranch_execz .LBB2_1558
.LBB2_1554:                             ;   Parent Loop BB2_1545 Depth=1
                                        ; =>  This Inner Loop Header: Depth=2
	s_sleep 1
	s_wait_loadcnt_dscnt 0x0
	flat_load_b64 v[28:29], v[22:23] scope:SCOPE_SYS
	s_or_b32 s29, s29, exec_lo
	s_or_b32 s28, s28, exec_lo
                                        ; implicit-def: $vgpr9
	s_wait_xcnt 0x0
	s_and_saveexec_b32 s41, vcc_lo
	s_cbranch_execz .LBB2_1553
; %bb.1555:                             ;   in Loop: Header=BB2_1554 Depth=2
	s_cmp_lt_i32 s40, 0x270f
	s_mov_b32 s42, -1
	s_cselect_b32 s44, -1, 0
	s_cmp_gt_i32 s40, 0x270e
	s_cbranch_scc0 .LBB2_1557
; %bb.1556:                             ;   in Loop: Header=BB2_1554 Depth=2
	s_trap 2
	ds_load_b64 v[12:13], v0
	s_and_not1_b32 s40, s44, exec_lo
	s_mov_b32 s43, 0
	s_wait_storecnt 0x0
	s_wait_loadcnt_dscnt 0x0
	flat_load_b32 v9, v[12:13] scope:SCOPE_SYS
	s_wait_loadcnt_dscnt 0x0
	global_inv scope:SCOPE_SYS
	v_cmp_eq_u32_e64 s7, 0, v9
	s_and_b32 s7, s7, exec_lo
	s_delay_alu instid0(SALU_CYCLE_1)
	s_or_b32 s44, s40, s7
	s_mov_b32 s40, 0
	s_and_saveexec_b32 s45, s44
	s_cbranch_execz .LBB2_1552
	s_branch .LBB2_1551
.LBB2_1557:                             ;   in Loop: Header=BB2_1554 Depth=2
	s_add_co_i32 s40, s40, 1
	s_mov_b32 s43, -1
                                        ; implicit-def: $vgpr9
	s_and_saveexec_b32 s45, s44
	s_cbranch_execz .LBB2_1552
	s_branch .LBB2_1551
.LBB2_1558:                             ;   in Loop: Header=BB2_1545 Depth=1
	s_or_b32 exec_lo, exec_lo, s26
	s_xor_b32 s7, s27, -1
	s_delay_alu instid0(SALU_CYCLE_1) | instskip(NEXT) | instid1(SALU_CYCLE_1)
	s_and_saveexec_b32 s26, s7
	s_xor_b32 s7, exec_lo, s26
	s_cbranch_execz .LBB2_1560
; %bb.1559:                             ;   in Loop: Header=BB2_1545 Depth=1
	v_or_b32_e32 v112, 64, v112
	s_wait_storecnt 0x0
	s_wait_loadcnt_dscnt 0x0
	ds_store_b32 v0, v9
	s_trap 2
.LBB2_1560:                             ;   in Loop: Header=BB2_1545 Depth=1
	s_or_b32 exec_lo, exec_lo, s7
.LBB2_1561:                             ;   in Loop: Header=BB2_1545 Depth=1
	s_delay_alu instid0(SALU_CYCLE_1) | instskip(SKIP_4) | instid1(VALU_DEP_2)
	s_or_b32 exec_lo, exec_lo, s11
	v_and_b32_e32 v9, 0x100, v112
	v_and_b32_e32 v38, 7, v8
	s_mov_b32 s7, -1
	;;#ASMSTART
	s_wakeup
	;;#ASMEND
	v_cmp_ne_u32_e32 vcc_lo, 0, v9
                                        ; implicit-def: $vgpr8_vgpr9
	s_and_saveexec_b32 s11, vcc_lo
	s_cbranch_execz .LBB2_1565
; %bb.1562:                             ;   in Loop: Header=BB2_1545 Depth=1
	v_mad_nc_u64_u32 v[12:13], v38, 24, v[6:7]
	flat_load_b32 v8, v[12:13]
	s_wait_loadcnt_dscnt 0x0
	v_cmp_eq_u32_e64 s7, 1, v8
	v_cmp_ne_u32_e32 vcc_lo, 1, v8
                                        ; implicit-def: $vgpr8_vgpr9
	s_wait_xcnt 0x0
	s_and_saveexec_b32 s26, s7
	s_cbranch_execz .LBB2_1564
; %bb.1563:                             ;   in Loop: Header=BB2_1545 Depth=1
	flat_load_b32 v8, v[12:13] offset:4 scope:SCOPE_SYS
	s_wait_loadcnt_dscnt 0x0
	v_ashrrev_i32_e32 v9, 31, v8
.LBB2_1564:                             ;   in Loop: Header=BB2_1545 Depth=1
	s_wait_xcnt 0x0
	s_or_b32 exec_lo, exec_lo, s26
	s_delay_alu instid0(SALU_CYCLE_1)
	s_or_not1_b32 s7, vcc_lo, exec_lo
.LBB2_1565:                             ;   in Loop: Header=BB2_1545 Depth=1
	s_or_b32 exec_lo, exec_lo, s11
	s_and_saveexec_b32 s11, s7
; %bb.1566:                             ;   in Loop: Header=BB2_1545 Depth=1
	v_mul_u64_e32 v[8:9], v[38:39], v[24:25]
; %bb.1567:                             ;   in Loop: Header=BB2_1545 Depth=1
	s_or_b32 exec_lo, exec_lo, s11
	s_delay_alu instid0(VALU_DEP_1)
	v_add_nc_u64_e32 v[8:9], v[26:27], v[8:9]
	v_and_b32_e32 v12, 0x2000, v112
	s_mov_b32 s7, exec_lo
	ds_store_b64 v0, v[8:9] offset:728
	v_cmpx_ne_u32_e32 0, v12
	s_cbranch_execz .LBB2_1569
; %bb.1568:                             ;   in Loop: Header=BB2_1545 Depth=1
	ds_load_b64 v[8:9], v0 offset:872
	s_wait_dscnt 0x0
	v_add_nc_u64_e32 v[8:9], 1, v[8:9]
	ds_store_b64 v0, v[8:9] offset:872
.LBB2_1569:                             ;   in Loop: Header=BB2_1545 Depth=1
	s_or_b32 exec_lo, exec_lo, s7
	v_mov_b64_e32 v[8:9], v[10:11]
.LBB2_1570:                             ;   in Loop: Header=BB2_1545 Depth=1
	s_or_b32 exec_lo, exec_lo, s10
	s_and_saveexec_b32 s7, s2
	s_cbranch_execz .LBB2_1589
; %bb.1571:                             ;   in Loop: Header=BB2_1545 Depth=1
	s_and_saveexec_b32 s10, s3
	s_delay_alu instid0(SALU_CYCLE_1)
	s_xor_b32 s10, exec_lo, s10
	s_cbranch_execz .LBB2_1586
; %bb.1572:                             ;   in Loop: Header=BB2_1545 Depth=1
	s_and_saveexec_b32 s11, s4
	s_cbranch_execz .LBB2_1585
; %bb.1573:                             ;   in Loop: Header=BB2_1545 Depth=1
	s_mov_b32 s27, exec_lo
	s_mov_b32 s26, exec_lo
	v_mbcnt_lo_u32_b32 v10, s27, 0
	global_wb scope:SCOPE_DEV
	s_wait_storecnt 0x0
	s_wait_loadcnt_dscnt 0x0
	global_inv scope:SCOPE_DEV
	v_cmpx_eq_u32_e32 0, v10
	s_cbranch_execz .LBB2_1575
; %bb.1574:                             ;   in Loop: Header=BB2_1545 Depth=1
	s_bcnt1_i32_b32 s27, s27
	s_delay_alu instid0(SALU_CYCLE_1)
	v_mov_b32_e32 v38, s27
	s_wait_loadcnt 0x0
	ds_add_u64 v0, v[38:39]
	s_trap 2
.LBB2_1575:                             ;   in Loop: Header=BB2_1545 Depth=1
	s_or_b32 exec_lo, exec_lo, s26
	s_trap 2
	ds_load_b64 v[10:11], v0
	s_wait_dscnt 0x0
	v_add_nc_u64_e32 v[32:33], v[32:33], v[36:37]
	s_mov_b32 s26, exec_lo
	s_delay_alu instid0(VALU_DEP_1)
	v_cmpx_lt_u64_e64 v[10:11], v[32:33]
	s_cbranch_execz .LBB2_1584
; %bb.1576:                             ;   in Loop: Header=BB2_1545 Depth=1
	s_mov_b32 s27, 0
	s_mov_b32 s40, 0
                                        ; implicit-def: $sgpr28
                                        ; implicit-def: $sgpr29
	s_branch .LBB2_1578
.LBB2_1577:                             ;   in Loop: Header=BB2_1578 Depth=2
	s_or_b32 exec_lo, exec_lo, s42
	s_delay_alu instid0(SALU_CYCLE_1) | instskip(NEXT) | instid1(SALU_CYCLE_1)
	s_and_b32 s41, exec_lo, s43
	s_or_b32 s27, s41, s27
	s_and_not1_b32 s28, s28, exec_lo
	s_and_b32 s41, s29, exec_lo
	s_delay_alu instid0(SALU_CYCLE_1)
	s_or_b32 s28, s28, s41
	s_and_not1_b32 exec_lo, exec_lo, s27
	s_cbranch_execz .LBB2_1582
.LBB2_1578:                             ;   Parent Loop BB2_1545 Depth=1
                                        ; =>  This Inner Loop Header: Depth=2
	s_add_co_i32 s40, s40, 1
	s_delay_alu instid0(SALU_CYCLE_1) | instskip(SKIP_1) | instid1(SALU_CYCLE_1)
	s_cmp_lg_u32 s40, 0x2710
	s_cselect_b32 s41, -1, 0
	s_and_b32 vcc_lo, exec_lo, s41
	s_cbranch_vccz .LBB2_1580
; %bb.1579:                             ;   in Loop: Header=BB2_1578 Depth=2
	s_mov_b32 s43, -1
	s_or_b32 s29, s29, exec_lo
	s_and_saveexec_b32 s42, s41
	s_cbranch_execz .LBB2_1577
	s_branch .LBB2_1581
.LBB2_1580:                             ;   in Loop: Header=BB2_1578 Depth=2
	s_trap 2
	ds_load_b64 v[10:11], v0
	s_and_not1_b32 s41, s41, exec_lo
	s_mov_b32 s40, 0
	s_wait_loadcnt_dscnt 0x0
	flat_load_b32 v10, v[10:11] scope:SCOPE_SYS
	s_wait_loadcnt_dscnt 0x0
	global_inv scope:SCOPE_SYS
	v_cmp_eq_u32_e32 vcc_lo, 0, v10
	s_and_b32 s42, vcc_lo, exec_lo
	s_delay_alu instid0(SALU_CYCLE_1)
	s_or_b32 s41, s41, s42
	s_mov_b32 s43, -1
	s_or_b32 s29, s29, exec_lo
	s_and_saveexec_b32 s42, s41
	s_cbranch_execz .LBB2_1577
.LBB2_1581:                             ;   in Loop: Header=BB2_1578 Depth=2
	s_sleep 1
	s_trap 2
	ds_load_b64 v[10:11], v0
	s_wait_dscnt 0x0
	s_and_not1_b32 s29, s29, exec_lo
	v_cmp_ge_u64_e32 vcc_lo, v[10:11], v[32:33]
	s_or_not1_b32 s43, vcc_lo, exec_lo
	s_branch .LBB2_1577
.LBB2_1582:                             ;   in Loop: Header=BB2_1545 Depth=1
	s_or_b32 exec_lo, exec_lo, s27
	s_and_saveexec_b32 s27, s28
	s_delay_alu instid0(SALU_CYCLE_1)
	s_xor_b32 s27, exec_lo, s27
	s_cbranch_execz .LBB2_1584
; %bb.1583:                             ;   in Loop: Header=BB2_1545 Depth=1
	ds_store_b32 v0, v102
	s_trap 2
.LBB2_1584:                             ;   in Loop: Header=BB2_1545 Depth=1
	s_or_b32 exec_lo, exec_lo, s26
	;;#ASMSTART
	s_wakeup
	;;#ASMEND
.LBB2_1585:                             ;   in Loop: Header=BB2_1545 Depth=1
	s_or_b32 exec_lo, exec_lo, s11
.LBB2_1586:                             ;   in Loop: Header=BB2_1545 Depth=1
	s_and_not1_saveexec_b32 s10, s10
	s_cbranch_execz .LBB2_1588
; %bb.1587:                             ;   in Loop: Header=BB2_1545 Depth=1
	global_wb scope:SCOPE_DEV
	s_wait_storecnt 0x0
	s_wait_loadcnt_dscnt 0x0
	global_inv scope:SCOPE_DEV
	s_barrier_signal -1
	s_barrier_wait -1
.LBB2_1588:                             ;   in Loop: Header=BB2_1545 Depth=1
	s_or_b32 exec_lo, exec_lo, s10
.LBB2_1589:                             ;   in Loop: Header=BB2_1545 Depth=1
	s_delay_alu instid0(SALU_CYCLE_1) | instskip(SKIP_3) | instid1(VALU_DEP_1)
	s_or_b32 exec_lo, exec_lo, s7
	s_trap 2
	ds_load_b32 v10, v0
	v_and_b32_e32 v11, 0x4000, v112
	v_cmp_ne_u32_e32 vcc_lo, 0, v11
	s_and_b32 s10, s23, vcc_lo
	s_delay_alu instid0(SALU_CYCLE_1)
	s_and_saveexec_b32 s7, s10
	s_cbranch_execz .LBB2_1608
; %bb.1590:                             ;   in Loop: Header=BB2_1545 Depth=1
	s_and_saveexec_b32 s10, s3
	s_delay_alu instid0(SALU_CYCLE_1)
	s_xor_b32 s10, exec_lo, s10
	s_cbranch_execz .LBB2_1605
; %bb.1591:                             ;   in Loop: Header=BB2_1545 Depth=1
	s_and_saveexec_b32 s11, s4
	s_cbranch_execz .LBB2_1604
; %bb.1592:                             ;   in Loop: Header=BB2_1545 Depth=1
	s_mov_b32 s27, exec_lo
	s_mov_b32 s26, exec_lo
	v_mbcnt_lo_u32_b32 v11, s27, 0
	global_wb scope:SCOPE_DEV
	s_wait_storecnt 0x0
	s_wait_loadcnt_dscnt 0x0
	global_inv scope:SCOPE_DEV
	v_cmpx_eq_u32_e32 0, v11
	s_cbranch_execz .LBB2_1594
; %bb.1593:                             ;   in Loop: Header=BB2_1545 Depth=1
	s_bcnt1_i32_b32 s27, s27
	s_delay_alu instid0(SALU_CYCLE_1)
	v_mov_b32_e32 v38, s27
	s_wait_loadcnt 0x0
	ds_add_u64 v0, v[38:39]
	s_trap 2
.LBB2_1594:                             ;   in Loop: Header=BB2_1545 Depth=1
	s_or_b32 exec_lo, exec_lo, s26
	s_trap 2
	ds_load_b64 v[12:13], v0
	s_wait_dscnt 0x0
	v_add_nc_u64_e32 v[32:33], v[32:33], v[36:37]
	s_mov_b32 s26, exec_lo
	s_delay_alu instid0(VALU_DEP_1)
	v_cmpx_lt_u64_e64 v[12:13], v[32:33]
	s_cbranch_execz .LBB2_1603
; %bb.1595:                             ;   in Loop: Header=BB2_1545 Depth=1
	s_mov_b32 s27, 0
	s_mov_b32 s40, 0
                                        ; implicit-def: $sgpr28
                                        ; implicit-def: $sgpr29
	s_branch .LBB2_1597
.LBB2_1596:                             ;   in Loop: Header=BB2_1597 Depth=2
	s_or_b32 exec_lo, exec_lo, s42
	s_delay_alu instid0(SALU_CYCLE_1) | instskip(NEXT) | instid1(SALU_CYCLE_1)
	s_and_b32 s41, exec_lo, s43
	s_or_b32 s27, s41, s27
	s_and_not1_b32 s28, s28, exec_lo
	s_and_b32 s41, s29, exec_lo
	s_delay_alu instid0(SALU_CYCLE_1)
	s_or_b32 s28, s28, s41
	s_and_not1_b32 exec_lo, exec_lo, s27
	s_cbranch_execz .LBB2_1601
.LBB2_1597:                             ;   Parent Loop BB2_1545 Depth=1
                                        ; =>  This Inner Loop Header: Depth=2
	s_add_co_i32 s40, s40, 1
	s_delay_alu instid0(SALU_CYCLE_1) | instskip(SKIP_1) | instid1(SALU_CYCLE_1)
	s_cmp_lg_u32 s40, 0x2710
	s_cselect_b32 s41, -1, 0
	s_and_b32 vcc_lo, exec_lo, s41
	s_cbranch_vccz .LBB2_1599
; %bb.1598:                             ;   in Loop: Header=BB2_1597 Depth=2
	s_mov_b32 s43, -1
	s_or_b32 s29, s29, exec_lo
	s_and_saveexec_b32 s42, s41
	s_cbranch_execz .LBB2_1596
	s_branch .LBB2_1600
.LBB2_1599:                             ;   in Loop: Header=BB2_1597 Depth=2
	s_trap 2
	ds_load_b64 v[12:13], v0
	s_and_not1_b32 s41, s41, exec_lo
	s_mov_b32 s40, 0
	s_wait_loadcnt_dscnt 0x0
	flat_load_b32 v11, v[12:13] scope:SCOPE_SYS
	s_wait_loadcnt_dscnt 0x0
	global_inv scope:SCOPE_SYS
	v_cmp_eq_u32_e32 vcc_lo, 0, v11
	s_and_b32 s42, vcc_lo, exec_lo
	s_delay_alu instid0(SALU_CYCLE_1)
	s_or_b32 s41, s41, s42
	s_mov_b32 s43, -1
	s_or_b32 s29, s29, exec_lo
	s_and_saveexec_b32 s42, s41
	s_cbranch_execz .LBB2_1596
.LBB2_1600:                             ;   in Loop: Header=BB2_1597 Depth=2
	s_sleep 1
	s_trap 2
	ds_load_b64 v[12:13], v0
	s_wait_dscnt 0x0
	s_and_not1_b32 s29, s29, exec_lo
	v_cmp_ge_u64_e32 vcc_lo, v[12:13], v[32:33]
	s_or_not1_b32 s43, vcc_lo, exec_lo
	s_branch .LBB2_1596
.LBB2_1601:                             ;   in Loop: Header=BB2_1545 Depth=1
	s_or_b32 exec_lo, exec_lo, s27
	s_and_saveexec_b32 s27, s28
	s_delay_alu instid0(SALU_CYCLE_1)
	s_xor_b32 s27, exec_lo, s27
	s_cbranch_execz .LBB2_1603
; %bb.1602:                             ;   in Loop: Header=BB2_1545 Depth=1
	ds_store_b32 v0, v102
	s_trap 2
.LBB2_1603:                             ;   in Loop: Header=BB2_1545 Depth=1
	s_or_b32 exec_lo, exec_lo, s26
	;;#ASMSTART
	s_wakeup
	;;#ASMEND
.LBB2_1604:                             ;   in Loop: Header=BB2_1545 Depth=1
	s_or_b32 exec_lo, exec_lo, s11
.LBB2_1605:                             ;   in Loop: Header=BB2_1545 Depth=1
	s_and_not1_saveexec_b32 s10, s10
	s_cbranch_execz .LBB2_1607
; %bb.1606:                             ;   in Loop: Header=BB2_1545 Depth=1
	global_wb scope:SCOPE_DEV
	s_wait_storecnt 0x0
	s_wait_loadcnt_dscnt 0x0
	global_inv scope:SCOPE_DEV
	s_barrier_signal -1
	s_barrier_wait -1
.LBB2_1607:                             ;   in Loop: Header=BB2_1545 Depth=1
	s_or_b32 exec_lo, exec_lo, s10
.LBB2_1608:                             ;   in Loop: Header=BB2_1545 Depth=1
	s_delay_alu instid0(SALU_CYCLE_1)
	s_or_b32 exec_lo, exec_lo, s7
	s_trap 2
	ds_load_b64 v[68:69], v0
	v_min_u32_e32 v67, v67, v66
	s_wait_dscnt 0x0
	v_cmp_eq_u64_e32 vcc_lo, 0, v[68:69]
	s_cbranch_vccnz .LBB2_1616
; %bb.1609:                             ;   in Loop: Header=BB2_1545 Depth=1
	s_trap 2
	ds_load_b64 v[70:71], v0
	s_wait_dscnt 0x0
	v_cmp_eq_u64_e32 vcc_lo, 0, v[70:71]
	s_cbranch_vccnz .LBB2_1616
; %bb.1610:                             ;   in Loop: Header=BB2_1545 Depth=1
	s_mov_b32 s7, -1
	s_and_saveexec_b32 s10, s5
	s_cbranch_execz .LBB2_1612
; %bb.1611:                             ;   in Loop: Header=BB2_1545 Depth=1
	ds_load_b32 v11, v0 offset:720
	s_wait_dscnt 0x0
	v_and_b32_e32 v11, 15, v11
	s_delay_alu instid0(VALU_DEP_1)
	v_cmp_eq_u32_e32 vcc_lo, 0, v11
	s_or_not1_b32 s7, vcc_lo, exec_lo
.LBB2_1612:                             ;   in Loop: Header=BB2_1545 Depth=1
	s_or_b32 exec_lo, exec_lo, s10
	s_and_saveexec_b32 s10, s6
	s_cbranch_execz .LBB2_1614
; %bb.1613:                             ;   in Loop: Header=BB2_1545 Depth=1
	ds_load_b32 v11, v0 offset:784
	s_wait_dscnt 0x0
	v_and_b32_e32 v11, 15, v11
	s_delay_alu instid0(VALU_DEP_1) | instskip(SKIP_3) | instid1(SALU_CYCLE_1)
	v_cmp_eq_u32_e32 vcc_lo, 0, v11
	s_and_b32 s11, s7, vcc_lo
	s_and_not1_b32 s7, s7, exec_lo
	s_and_b32 s11, s11, exec_lo
	s_or_b32 s7, s7, s11
.LBB2_1614:                             ;   in Loop: Header=BB2_1545 Depth=1
	s_or_b32 exec_lo, exec_lo, s10
	v_cmp_eq_u32_e32 vcc_lo, 0, v10
	s_xor_b32 s7, s7, -1
	s_mov_b32 s26, -1
	v_cndmask_b32_e64 v11, 0, 1, s7
	v_dual_mov_b32 v115, 0 :: v_dual_cndmask_b32 v114, 0, v67
	v_mov_b32_e32 v30, v0
	s_delay_alu instid0(VALU_DEP_3) | instskip(NEXT) | instid1(VALU_DEP_3)
	v_cmp_ne_u32_e32 vcc_lo, 0, v11
	v_mov_b32_e32 v116, v114
	s_cbranch_vccz .LBB2_1617
; %bb.1615:                             ;   in Loop: Header=BB2_1545 Depth=1
	s_and_saveexec_b32 s10, s26
	s_cbranch_execnz .LBB2_2620
	s_branch .LBB2_2952
.LBB2_1616:                             ;   in Loop: Header=BB2_1545 Depth=1
	s_mov_b32 s7, 0
	s_and_saveexec_b32 s10, s2
	s_cbranch_execnz .LBB2_2953
	s_branch .LBB2_2971
.LBB2_1617:                             ;   in Loop: Header=BB2_1545 Depth=1
	v_and_b32_e32 v115, 0x1ff, v114
	v_dual_lshrrev_b32 v10, 9, v114 :: v_dual_sub_nc_u32 v116, v114, v48
	s_mov_b32 s26, exec_lo
	s_delay_alu instid0(VALU_DEP_2) | instskip(NEXT) | instid1(VALU_DEP_2)
	v_cmp_lt_u32_e32 vcc_lo, 15, v115
	v_add_co_ci_u32_e64 v117, null, v10, v101, vcc_lo
	s_delay_alu instid0(VALU_DEP_3)
	v_cmpx_lt_i32_e32 15, v116
	s_cbranch_execz .LBB2_2117
; %bb.1618:                             ;   in Loop: Header=BB2_1545 Depth=1
	s_trap 2
	ds_load_b64 v[10:11], v0
	v_add_nc_u64_e32 v[80:81], v[68:69], v[48:49]
	v_add_nc_u64_e32 v[84:85], v[70:71], v[48:49]
	s_mov_b32 s27, 0
	s_wait_dscnt 0x0
	v_add_nc_u64_e32 v[82:83], v[10:11], v[48:49]
	s_branch .LBB2_1620
.LBB2_1619:                             ;   in Loop: Header=BB2_1620 Depth=2
	s_or_b32 exec_lo, exec_lo, s7
	v_lshl_or_b32 v11, v99, 8, v98
	v_dual_lshlrev_b32 v12, 16, v30 :: v_dual_lshlrev_b32 v13, 24, v96
	v_lshl_or_b32 v15, v119, 8, v118
	v_dual_lshlrev_b32 v16, 16, v40 :: v_dual_lshlrev_b32 v17, 24, v41
	;; [unrolled: 2-line block ×3, first 2 shown]
	v_dual_lshlrev_b32 v97, 24, v10 :: v_dual_sub_nc_u32 v117, v117, v36
	v_lshlrev_b32_e32 v14, 16, v14
	v_lshl_or_b32 v86, v87, 8, v86
	v_or3_b32 v11, v11, v12, v13
	v_or3_b32 v10, v15, v16, v17
	;; [unrolled: 1-line block ×3, first 2 shown]
	v_sub_nc_u32_e32 v116, v116, v50
	v_or3_b32 v13, v86, v14, v97
	v_add_nc_u64_e32 v[80:81], v[80:81], v[50:51]
	v_add_nc_u64_e32 v[82:83], v[82:83], v[50:51]
	s_delay_alu instid0(VALU_DEP_4) | instskip(SKIP_4) | instid1(SALU_CYCLE_1)
	v_cmp_gt_i32_e64 s7, 16, v116
	global_store_b128 v[84:85], v[10:13], off th:TH_STORE_NT
	s_wait_xcnt 0x0
	v_add_nc_u64_e32 v[84:85], v[84:85], v[50:51]
	s_or_b32 s27, s7, s27
	s_and_not1_b32 exec_lo, exec_lo, s27
	s_cbranch_execz .LBB2_2116
.LBB2_1620:                             ;   Parent Loop BB2_1545 Depth=1
                                        ; =>  This Inner Loop Header: Depth=2
	global_load_b128 v[14:17], v[80:81], off th:TH_LOAD_NT
	global_load_b128 v[10:13], v[82:83], off th:TH_LOAD_NT
	v_mov_b32_e32 v30, 0
	s_mov_b32 s10, exec_lo
	s_wait_loadcnt 0x1
	v_and_b32_e32 v38, 0xff, v14
	s_wait_xcnt 0x0
	s_delay_alu instid0(VALU_DEP_1)
	v_cmpx_ne_u16_e32 0, v38
	s_cbranch_execz .LBB2_1626
; %bb.1621:                             ;   in Loop: Header=BB2_1620 Depth=2
	v_bfrev_b32_e32 v30, 1
	s_mov_b32 s11, exec_lo
	v_cmpx_ne_u16_e32 0x80, v38
	s_cbranch_execz .LBB2_1625
; %bb.1622:                             ;   in Loop: Header=BB2_1620 Depth=2
	v_and_b32_e32 v38, 0x7f, v14
	v_mov_b32_e32 v30, 0x7f800001
	s_mov_b32 s28, exec_lo
	s_delay_alu instid0(VALU_DEP_2)
	v_cmpx_ne_u32_e32 0x7f, v38
	s_cbranch_execz .LBB2_1624
; %bb.1623:                             ;   in Loop: Header=BB2_1620 Depth=2
	v_cmp_gt_u32_e64 s7, 8, v38
	v_and_b32_e32 v30, 7, v14
	v_lshrrev_b32_e32 v86, 3, v38
	s_delay_alu instid0(VALU_DEP_2) | instskip(NEXT) | instid1(VALU_DEP_1)
	v_clz_i32_u32_e32 v30, v30
	v_min_u32_e32 v30, 32, v30
	s_delay_alu instid0(VALU_DEP_1) | instskip(NEXT) | instid1(VALU_DEP_1)
	v_subrev_nc_u32_e32 v87, 28, v30
	v_dual_sub_nc_u32 v30, 29, v30 :: v_dual_cndmask_b32 v38, 0, v87, s7
	s_delay_alu instid0(VALU_DEP_1) | instskip(NEXT) | instid1(VALU_DEP_2)
	v_cndmask_b32_e64 v30, v86, v30, s7
	v_lshlrev_b64_e32 v[86:87], v38, v[14:15]
	v_lshlrev_b32_e32 v38, 24, v14
	s_delay_alu instid0(VALU_DEP_3) | instskip(NEXT) | instid1(VALU_DEP_2)
	v_lshl_add_u32 v30, v30, 23, 0x3c000000
	v_and_b32_e32 v38, 0x80000000, v38
	s_delay_alu instid0(VALU_DEP_4) | instskip(NEXT) | instid1(VALU_DEP_1)
	v_lshlrev_b32_e32 v86, 20, v86
	v_and_b32_e32 v86, 0x700000, v86
	s_delay_alu instid0(VALU_DEP_1)
	v_or3_b32 v30, v86, v38, v30
.LBB2_1624:                             ;   in Loop: Header=BB2_1620 Depth=2
	s_or_b32 exec_lo, exec_lo, s28
.LBB2_1625:                             ;   in Loop: Header=BB2_1620 Depth=2
	s_delay_alu instid0(SALU_CYCLE_1)
	s_or_b32 exec_lo, exec_lo, s11
.LBB2_1626:                             ;   in Loop: Header=BB2_1620 Depth=2
	s_delay_alu instid0(SALU_CYCLE_1) | instskip(SKIP_4) | instid1(VALU_DEP_1)
	s_or_b32 exec_lo, exec_lo, s10
	s_wait_loadcnt 0x0
	v_and_b32_e32 v86, 0xff, v10
	s_mov_b32 s10, 0
	s_mov_b32 s11, exec_lo
	v_cmpx_lt_i16_e32 0x7f, v86
	s_xor_b32 s11, exec_lo, s11
	s_cbranch_execz .LBB2_1661
; %bb.1627:                             ;   in Loop: Header=BB2_1620 Depth=2
	s_mov_b32 s10, -1
	s_mov_b32 s28, exec_lo
	v_cmpx_eq_u16_e32 0x80, v86
; %bb.1628:                             ;   in Loop: Header=BB2_1620 Depth=2
	s_xor_b32 s10, exec_lo, -1
; %bb.1629:                             ;   in Loop: Header=BB2_1620 Depth=2
	s_or_b32 exec_lo, exec_lo, s28
	s_delay_alu instid0(SALU_CYCLE_1)
	s_and_b32 s10, s10, exec_lo
                                        ; implicit-def: $vgpr86
	s_or_saveexec_b32 s11, s11
	v_bfrev_b32_e32 v38, 1
	s_xor_b32 exec_lo, exec_lo, s11
	s_cbranch_execnz .LBB2_1662
.LBB2_1630:                             ;   in Loop: Header=BB2_1620 Depth=2
	s_or_b32 exec_lo, exec_lo, s11
	s_and_saveexec_b32 s11, s10
	s_cbranch_execz .LBB2_1632
.LBB2_1631:                             ;   in Loop: Header=BB2_1620 Depth=2
	v_and_b32_e32 v96, 0x7f, v10
	v_bfe_u32 v86, v10, 3, 4
	s_delay_alu instid0(VALU_DEP_2) | instskip(SKIP_1) | instid1(VALU_DEP_1)
	v_cmp_gt_u32_e64 s7, 8, v96
	v_and_b32_e32 v38, 7, v10
	v_clz_i32_u32_e32 v38, v38
	s_delay_alu instid0(VALU_DEP_1) | instskip(NEXT) | instid1(VALU_DEP_1)
	v_min_u32_e32 v38, 32, v38
	v_subrev_nc_u32_e32 v87, 28, v38
	v_sub_nc_u32_e32 v38, 29, v38
	s_delay_alu instid0(VALU_DEP_1) | instskip(SKIP_1) | instid1(VALU_DEP_2)
	v_dual_cndmask_b32 v38, v86, v38, s7 :: v_dual_cndmask_b32 v86, 0, v87, s7
	v_cmp_ne_u32_e64 s7, 0x7f, v96
	v_lshl_add_u32 v38, v38, 23, 0x3c000000
	s_delay_alu instid0(VALU_DEP_3) | instskip(SKIP_1) | instid1(VALU_DEP_1)
	v_lshlrev_b64_e32 v[86:87], v86, v[10:11]
	v_lshlrev_b32_e32 v87, 24, v10
	v_and_b32_e32 v87, 0x80000000, v87
	s_delay_alu instid0(VALU_DEP_3) | instskip(NEXT) | instid1(VALU_DEP_1)
	v_lshlrev_b32_e32 v86, 20, v86
	v_and_b32_e32 v86, 0x700000, v86
	s_delay_alu instid0(VALU_DEP_1) | instskip(NEXT) | instid1(VALU_DEP_1)
	v_or3_b32 v38, v86, v87, v38
	v_cndmask_b32_e64 v38, 0x7f800001, v38, s7
.LBB2_1632:                             ;   in Loop: Header=BB2_1620 Depth=2
	s_or_b32 exec_lo, exec_lo, s11
	s_delay_alu instid0(VALU_DEP_1) | instskip(SKIP_1) | instid1(VALU_DEP_1)
	v_mul_f32_e32 v86, v30, v38
                                        ; implicit-def: $vgpr118
	s_mov_b32 s10, exec_lo
	v_and_b32_e32 v38, 0x7f800000, v86
	v_lshrrev_b32_e32 v30, 24, v86
	s_delay_alu instid0(VALU_DEP_2)
	v_cmpx_ne_u64_e32 0x7f800000, v[38:39]
	s_xor_b32 s11, exec_lo, s10
	s_cbranch_execz .LBB2_1646
; %bb.1633:                             ;   in Loop: Header=BB2_1620 Depth=2
	v_and_b32_e32 v38, 0x7fffffff, v86
	v_and_b32_e32 v30, 0x80, v30
                                        ; implicit-def: $vgpr118
	s_mov_b32 s10, exec_lo
	s_delay_alu instid0(VALU_DEP_2)
	v_cmpx_gt_u64_e32 0x43e00001, v[38:39]
	s_xor_b32 s28, exec_lo, s10
	s_cbranch_execz .LBB2_1643
; %bb.1634:                             ;   in Loop: Header=BB2_1620 Depth=2
	v_mov_b32_e32 v118, 0
	s_mov_b32 s29, exec_lo
	v_cmpx_ne_u32_e32 0, v86
	s_cbranch_execz .LBB2_1642
; %bb.1635:                             ;   in Loop: Header=BB2_1620 Depth=2
	v_bfe_u32 v98, v86, 23, 8
	s_delay_alu instid0(VALU_DEP_1) | instskip(SKIP_1) | instid1(VALU_DEP_1)
	v_sub_nc_u32_e32 v38, 0x79, v98
	v_cmp_gt_u32_e64 s7, 0x7a, v98
	v_cndmask_b32_e64 v38, 0, v38, s7
	v_cmp_eq_u32_e64 s7, 0, v98
	s_delay_alu instid0(VALU_DEP_1) | instskip(SKIP_1) | instid1(VALU_DEP_2)
	v_cndmask_b32_e64 v99, v38, 0x78, s7
	v_and_b32_e32 v38, 0x7fffff, v86
	v_add_nc_u32_e32 v86, 20, v99
	s_delay_alu instid0(VALU_DEP_2) | instskip(SKIP_1) | instid1(VALU_DEP_3)
	v_or_b32_e32 v96, 0x800000, v38
	v_add_nc_u32_e32 v97, 19, v99
	v_lshlrev_b64_e64 v[86:87], v86, -1
	s_delay_alu instid0(VALU_DEP_3) | instskip(NEXT) | instid1(VALU_DEP_3)
	v_cndmask_b32_e64 v38, v96, v38, s7
	v_lshlrev_b64_e64 v[96:97], v97, 1
	s_delay_alu instid0(VALU_DEP_3) | instskip(NEXT) | instid1(VALU_DEP_3)
	v_bfi_b32 v119, v87, 0, 0
	v_bfi_b32 v118, v86, 0, v38
	v_lshrrev_b64 v[86:87], v99, v[38:39]
	s_delay_alu instid0(VALU_DEP_2) | instskip(NEXT) | instid1(VALU_DEP_2)
	v_cmp_eq_u64_e64 s10, v[118:119], v[96:97]
	v_mov_b64_e32 v[96:97], v[86:87]
	s_and_saveexec_b32 s40, s10
; %bb.1636:                             ;   in Loop: Header=BB2_1620 Depth=2
	v_bfe_u32 v38, v86, 20, 1
	s_delay_alu instid0(VALU_DEP_1) | instskip(NEXT) | instid1(VALU_DEP_1)
	v_add_nc_u64_e32 v[96:97], v[86:87], v[38:39]
	v_add_nc_u64_e32 v[96:97], -1, v[96:97]
; %bb.1637:                             ;   in Loop: Header=BB2_1620 Depth=2
	s_or_b32 exec_lo, exec_lo, s40
	v_add_nc_u32_e32 v38, 0xffffff81, v98
	v_lshrrev_b32_e32 v87, 23, v86
	s_mov_b32 s10, exec_lo
	s_delay_alu instid0(VALU_DEP_2) | instskip(NEXT) | instid1(VALU_DEP_1)
	v_cndmask_b32_e64 v38, v38, 0xffffff82, s7
	v_add3_u32 v97, v99, v38, v87
	v_and_b32_e32 v38, 0xfffff, v96
                                        ; implicit-def: $vgpr96
	s_delay_alu instid0(VALU_DEP_1) | instskip(NEXT) | instid1(VALU_DEP_1)
	v_dual_add_nc_u32 v98, 6, v97 :: v_dual_add_nc_u32 v38, v38, v86
                                        ; implicit-def: $vgpr86_vgpr87
	v_cmpx_ne_u32_e32 0, v98
	s_xor_b32 s10, exec_lo, s10
; %bb.1638:                             ;   in Loop: Header=BB2_1620 Depth=2
	s_delay_alu instid0(VALU_DEP_2) | instskip(SKIP_1) | instid1(VALU_DEP_1)
	v_cmp_lt_u64_e64 s7, 0xffffff, v[38:39]
	v_add_nc_u32_e32 v86, 7, v97
	v_cndmask_b32_e64 v96, v98, v86, s7
	v_cndmask_b32_e64 v86, 0, 1, s7
	s_delay_alu instid0(VALU_DEP_1)
	v_lshrrev_b64 v[86:87], v86, v[38:39]
; %bb.1639:                             ;   in Loop: Header=BB2_1620 Depth=2
	s_and_not1_saveexec_b32 s7, s10
; %bb.1640:                             ;   in Loop: Header=BB2_1620 Depth=2
	v_mov_b64_e32 v[86:87], v[38:39]
	v_bfe_u32 v96, v38, 23, 1
; %bb.1641:                             ;   in Loop: Header=BB2_1620 Depth=2
	s_or_b32 exec_lo, exec_lo, s7
	s_delay_alu instid0(VALU_DEP_2) | instskip(NEXT) | instid1(VALU_DEP_2)
	v_lshrrev_b64 v[86:87], 20, v[86:87]
	v_cmp_gt_i32_e64 s7, 16, v96
	v_min_i32_e32 v38, 15, v96
	v_cmp_eq_u32_e64 s10, 0, v96
	s_delay_alu instid0(VALU_DEP_2) | instskip(SKIP_1) | instid1(VALU_DEP_2)
	v_dual_cndmask_b32 v87, 0, v87, s7 :: v_dual_lshlrev_b32 v38, 3, v38
	v_cndmask_b32_e64 v86, 7, v86, s7
	v_and_b32_e32 v38, 0xf8, v38
	s_delay_alu instid0(VALU_DEP_2) | instskip(NEXT) | instid1(VALU_DEP_2)
	v_cmp_eq_u64_e64 s7, 0, v[86:87]
	v_and_or_b32 v38, v86, 7, v38
	s_and_b32 s7, s10, s7
	s_delay_alu instid0(VALU_DEP_1) | instid1(SALU_CYCLE_1)
	v_cndmask_b32_e64 v38, v38, 0, s7
	s_delay_alu instid0(VALU_DEP_1)
	v_or_b32_e32 v118, v38, v30
.LBB2_1642:                             ;   in Loop: Header=BB2_1620 Depth=2
	s_or_b32 exec_lo, exec_lo, s29
                                        ; implicit-def: $vgpr30
.LBB2_1643:                             ;   in Loop: Header=BB2_1620 Depth=2
	s_and_not1_saveexec_b32 s7, s28
; %bb.1644:                             ;   in Loop: Header=BB2_1620 Depth=2
	v_or_b32_e32 v118, 0x7e, v30
; %bb.1645:                             ;   in Loop: Header=BB2_1620 Depth=2
	s_or_b32 exec_lo, exec_lo, s7
                                        ; implicit-def: $vgpr30
.LBB2_1646:                             ;   in Loop: Header=BB2_1620 Depth=2
	s_and_not1_saveexec_b32 s7, s11
; %bb.1647:                             ;   in Loop: Header=BB2_1620 Depth=2
	v_or_b32_e32 v118, 0x7f, v30
; %bb.1648:                             ;   in Loop: Header=BB2_1620 Depth=2
	s_or_b32 exec_lo, exec_lo, s7
	v_lshrrev_b16 v30, 8, v14
	v_mov_b32_e32 v38, 0
	s_mov_b32 s10, exec_lo
	s_delay_alu instid0(VALU_DEP_2)
	v_cmpx_ne_u16_e32 0, v30
	s_cbranch_execz .LBB2_1656
; %bb.1649:                             ;   in Loop: Header=BB2_1620 Depth=2
	v_bfrev_b32_e32 v38, 1
	s_mov_b32 s11, exec_lo
	v_cmpx_ne_u16_e32 0x80, v30
	s_cbranch_execz .LBB2_1655
; %bb.1650:                             ;   in Loop: Header=BB2_1620 Depth=2
	v_and_b32_e32 v30, 0xffff, v30
	v_mov_b32_e32 v38, 0x7f800001
	s_mov_b32 s28, exec_lo
	s_delay_alu instid0(VALU_DEP_2) | instskip(NEXT) | instid1(VALU_DEP_1)
	v_and_b32_e32 v86, 0x7f, v30
	v_cmpx_ne_u32_e32 0x7f, v86
	s_cbranch_execz .LBB2_1654
; %bb.1651:                             ;   in Loop: Header=BB2_1620 Depth=2
	v_and_b32_e32 v38, 7, v30
	v_lshrrev_b32_e32 v30, 3, v86
	s_mov_b32 s29, exec_lo
	v_cmpx_gt_u32_e32 8, v86
; %bb.1652:                             ;   in Loop: Header=BB2_1620 Depth=2
	s_delay_alu instid0(VALU_DEP_3) | instskip(NEXT) | instid1(VALU_DEP_1)
	v_clz_i32_u32_e32 v30, v38
	v_min_u32_e32 v30, 32, v30
	s_delay_alu instid0(VALU_DEP_1) | instskip(SKIP_1) | instid1(VALU_DEP_2)
	v_subrev_nc_u32_e32 v86, 28, v30
	v_sub_nc_u32_e32 v30, 29, v30
	v_lshlrev_b64_e32 v[86:87], v86, v[38:39]
	s_delay_alu instid0(VALU_DEP_1)
	v_and_b32_e32 v38, 7, v86
; %bb.1653:                             ;   in Loop: Header=BB2_1620 Depth=2
	s_or_b32 exec_lo, exec_lo, s29
	v_lshlrev_b32_e32 v86, 16, v14
	s_delay_alu instid0(VALU_DEP_2) | instskip(SKIP_1) | instid1(VALU_DEP_3)
	v_lshlrev_b32_e32 v38, 20, v38
	v_lshl_add_u32 v30, v30, 23, 0x3c000000
	v_and_b32_e32 v86, 0x80000000, v86
	s_delay_alu instid0(VALU_DEP_1)
	v_or3_b32 v38, v38, v86, v30
.LBB2_1654:                             ;   in Loop: Header=BB2_1620 Depth=2
	s_or_b32 exec_lo, exec_lo, s28
.LBB2_1655:                             ;   in Loop: Header=BB2_1620 Depth=2
	s_delay_alu instid0(SALU_CYCLE_1)
	s_or_b32 exec_lo, exec_lo, s11
.LBB2_1656:                             ;   in Loop: Header=BB2_1620 Depth=2
	s_delay_alu instid0(SALU_CYCLE_1) | instskip(SKIP_3) | instid1(VALU_DEP_1)
	s_or_b32 exec_lo, exec_lo, s10
	v_lshrrev_b16 v86, 8, v10
	s_mov_b32 s11, 0
	s_mov_b32 s10, exec_lo
	v_cmpx_lt_i16_e32 0x7f, v86
	s_xor_b32 s10, exec_lo, s10
	s_cbranch_execz .LBB2_1663
; %bb.1657:                             ;   in Loop: Header=BB2_1620 Depth=2
	s_mov_b32 s11, -1
	s_mov_b32 s28, exec_lo
	v_cmpx_eq_u16_e32 0x80, v86
; %bb.1658:                             ;   in Loop: Header=BB2_1620 Depth=2
	s_xor_b32 s11, exec_lo, -1
; %bb.1659:                             ;   in Loop: Header=BB2_1620 Depth=2
	s_or_b32 exec_lo, exec_lo, s28
	s_delay_alu instid0(SALU_CYCLE_1)
	s_and_b32 s11, s11, exec_lo
	s_or_saveexec_b32 s10, s10
	v_bfrev_b32_e32 v87, 1
	s_xor_b32 exec_lo, exec_lo, s10
	s_cbranch_execnz .LBB2_1664
.LBB2_1660:                             ;   in Loop: Header=BB2_1620 Depth=2
	s_or_b32 exec_lo, exec_lo, s10
	s_and_saveexec_b32 s10, s11
	s_cbranch_execnz .LBB2_1665
	s_branch .LBB2_1668
.LBB2_1661:                             ;   in Loop: Header=BB2_1620 Depth=2
	s_or_saveexec_b32 s11, s11
	v_bfrev_b32_e32 v38, 1
	s_xor_b32 exec_lo, exec_lo, s11
	s_cbranch_execz .LBB2_1630
.LBB2_1662:                             ;   in Loop: Header=BB2_1620 Depth=2
	v_cmp_ne_u16_e64 s7, 0, v86
	v_mov_b32_e32 v38, 0
	s_and_not1_b32 s10, s10, exec_lo
	s_and_b32 s7, s7, exec_lo
	s_delay_alu instid0(SALU_CYCLE_1)
	s_or_b32 s10, s10, s7
	s_or_b32 exec_lo, exec_lo, s11
	s_and_saveexec_b32 s11, s10
	s_cbranch_execnz .LBB2_1631
	s_branch .LBB2_1632
.LBB2_1663:                             ;   in Loop: Header=BB2_1620 Depth=2
	s_or_saveexec_b32 s10, s10
	v_bfrev_b32_e32 v87, 1
	s_xor_b32 exec_lo, exec_lo, s10
	s_cbranch_execz .LBB2_1660
.LBB2_1664:                             ;   in Loop: Header=BB2_1620 Depth=2
	v_cmp_ne_u16_e64 s7, 0, v86
	v_mov_b32_e32 v87, 0
	s_and_not1_b32 s11, s11, exec_lo
	s_and_b32 s7, s7, exec_lo
	s_delay_alu instid0(SALU_CYCLE_1)
	s_or_b32 s11, s11, s7
	s_or_b32 exec_lo, exec_lo, s10
	s_and_saveexec_b32 s10, s11
	s_cbranch_execz .LBB2_1668
.LBB2_1665:                             ;   in Loop: Header=BB2_1620 Depth=2
	v_and_b32_e32 v30, 0xffff, v86
	v_mov_b32_e32 v87, 0x7f800001
	s_mov_b32 s11, exec_lo
	s_delay_alu instid0(VALU_DEP_2) | instskip(NEXT) | instid1(VALU_DEP_1)
	v_and_b32_e32 v96, 0x7f, v30
	v_cmpx_ne_u32_e32 0x7f, v96
	s_cbranch_execz .LBB2_1667
; %bb.1666:                             ;   in Loop: Header=BB2_1620 Depth=2
	v_and_b32_e32 v87, 7, v30
	v_cmp_gt_u32_e64 s7, 8, v96
	s_delay_alu instid0(VALU_DEP_2) | instskip(NEXT) | instid1(VALU_DEP_1)
	v_clz_i32_u32_e32 v97, v87
	v_min_u32_e32 v97, 32, v97
	s_delay_alu instid0(VALU_DEP_1) | instskip(NEXT) | instid1(VALU_DEP_1)
	v_subrev_nc_u32_e32 v98, 28, v97
	v_lshlrev_b64_e32 v[98:99], v98, v[30:31]
	v_dual_lshrrev_b32 v30, 3, v96 :: v_dual_sub_nc_u32 v97, 29, v97
	s_delay_alu instid0(VALU_DEP_2) | instskip(NEXT) | instid1(VALU_DEP_2)
	v_and_b32_e32 v96, 7, v98
	v_dual_lshlrev_b32 v86, 24, v86 :: v_dual_cndmask_b32 v30, v30, v97, s7
	s_delay_alu instid0(VALU_DEP_2) | instskip(NEXT) | instid1(VALU_DEP_2)
	v_cndmask_b32_e64 v87, v87, v96, s7
	v_and_b32_e32 v86, 0x80000000, v86
	s_delay_alu instid0(VALU_DEP_3) | instskip(NEXT) | instid1(VALU_DEP_3)
	v_lshl_add_u32 v30, v30, 23, 0x3c000000
	v_lshlrev_b32_e32 v87, 20, v87
	s_delay_alu instid0(VALU_DEP_1)
	v_or3_b32 v87, v87, v86, v30
.LBB2_1667:                             ;   in Loop: Header=BB2_1620 Depth=2
	s_or_b32 exec_lo, exec_lo, s11
.LBB2_1668:                             ;   in Loop: Header=BB2_1620 Depth=2
	s_delay_alu instid0(SALU_CYCLE_1) | instskip(NEXT) | instid1(VALU_DEP_1)
	s_or_b32 exec_lo, exec_lo, s10
	v_mul_f32_e32 v86, v38, v87
                                        ; implicit-def: $vgpr119
	s_mov_b32 s10, exec_lo
	s_delay_alu instid0(VALU_DEP_1) | instskip(SKIP_1) | instid1(VALU_DEP_2)
	v_and_b32_e32 v38, 0x7f800000, v86
	v_lshrrev_b32_e32 v30, 24, v86
	v_cmpx_ne_u64_e32 0x7f800000, v[38:39]
	s_xor_b32 s11, exec_lo, s10
	s_cbranch_execz .LBB2_1682
; %bb.1669:                             ;   in Loop: Header=BB2_1620 Depth=2
	v_and_b32_e32 v38, 0x7fffffff, v86
	v_and_b32_e32 v30, 0x80, v30
                                        ; implicit-def: $vgpr119
	s_mov_b32 s10, exec_lo
	s_delay_alu instid0(VALU_DEP_2)
	v_cmpx_gt_u64_e32 0x43e00001, v[38:39]
	s_xor_b32 s28, exec_lo, s10
	s_cbranch_execz .LBB2_1679
; %bb.1670:                             ;   in Loop: Header=BB2_1620 Depth=2
	v_mov_b32_e32 v119, 0
	s_mov_b32 s29, exec_lo
	v_cmpx_ne_u32_e32 0, v86
	s_cbranch_execz .LBB2_1678
; %bb.1671:                             ;   in Loop: Header=BB2_1620 Depth=2
	v_bfe_u32 v98, v86, 23, 8
	s_delay_alu instid0(VALU_DEP_1) | instskip(SKIP_1) | instid1(VALU_DEP_1)
	v_sub_nc_u32_e32 v38, 0x79, v98
	v_cmp_gt_u32_e64 s7, 0x7a, v98
	v_cndmask_b32_e64 v38, 0, v38, s7
	v_cmp_eq_u32_e64 s7, 0, v98
	s_delay_alu instid0(VALU_DEP_1) | instskip(SKIP_1) | instid1(VALU_DEP_2)
	v_cndmask_b32_e64 v99, v38, 0x78, s7
	v_and_b32_e32 v38, 0x7fffff, v86
	v_add_nc_u32_e32 v86, 20, v99
	s_delay_alu instid0(VALU_DEP_2) | instskip(SKIP_1) | instid1(VALU_DEP_3)
	v_or_b32_e32 v96, 0x800000, v38
	v_add_nc_u32_e32 v97, 19, v99
	v_lshlrev_b64_e64 v[86:87], v86, -1
	s_delay_alu instid0(VALU_DEP_3) | instskip(NEXT) | instid1(VALU_DEP_3)
	v_cndmask_b32_e64 v38, v96, v38, s7
	v_lshlrev_b64_e64 v[96:97], v97, 1
	s_delay_alu instid0(VALU_DEP_3) | instskip(NEXT) | instid1(VALU_DEP_3)
	v_bfi_b32 v41, v87, 0, 0
	v_bfi_b32 v40, v86, 0, v38
	v_lshrrev_b64 v[86:87], v99, v[38:39]
	s_delay_alu instid0(VALU_DEP_2) | instskip(NEXT) | instid1(VALU_DEP_2)
	v_cmp_eq_u64_e64 s10, v[40:41], v[96:97]
	v_mov_b64_e32 v[96:97], v[86:87]
	s_and_saveexec_b32 s40, s10
; %bb.1672:                             ;   in Loop: Header=BB2_1620 Depth=2
	v_bfe_u32 v38, v86, 20, 1
	s_delay_alu instid0(VALU_DEP_1) | instskip(NEXT) | instid1(VALU_DEP_1)
	v_add_nc_u64_e32 v[96:97], v[86:87], v[38:39]
	v_add_nc_u64_e32 v[96:97], -1, v[96:97]
; %bb.1673:                             ;   in Loop: Header=BB2_1620 Depth=2
	s_or_b32 exec_lo, exec_lo, s40
	v_add_nc_u32_e32 v38, 0xffffff81, v98
	v_lshrrev_b32_e32 v87, 23, v86
	s_mov_b32 s10, exec_lo
	s_delay_alu instid0(VALU_DEP_2) | instskip(NEXT) | instid1(VALU_DEP_1)
	v_cndmask_b32_e64 v38, v38, 0xffffff82, s7
	v_add3_u32 v97, v99, v38, v87
	v_and_b32_e32 v38, 0xfffff, v96
                                        ; implicit-def: $vgpr96
	s_delay_alu instid0(VALU_DEP_1) | instskip(NEXT) | instid1(VALU_DEP_1)
	v_dual_add_nc_u32 v98, 6, v97 :: v_dual_add_nc_u32 v38, v38, v86
                                        ; implicit-def: $vgpr86_vgpr87
	v_cmpx_ne_u32_e32 0, v98
	s_xor_b32 s10, exec_lo, s10
; %bb.1674:                             ;   in Loop: Header=BB2_1620 Depth=2
	s_delay_alu instid0(VALU_DEP_2) | instskip(SKIP_1) | instid1(VALU_DEP_1)
	v_cmp_lt_u64_e64 s7, 0xffffff, v[38:39]
	v_add_nc_u32_e32 v86, 7, v97
	v_cndmask_b32_e64 v96, v98, v86, s7
	v_cndmask_b32_e64 v86, 0, 1, s7
	s_delay_alu instid0(VALU_DEP_1)
	v_lshrrev_b64 v[86:87], v86, v[38:39]
; %bb.1675:                             ;   in Loop: Header=BB2_1620 Depth=2
	s_and_not1_saveexec_b32 s7, s10
; %bb.1676:                             ;   in Loop: Header=BB2_1620 Depth=2
	v_mov_b64_e32 v[86:87], v[38:39]
	v_bfe_u32 v96, v38, 23, 1
; %bb.1677:                             ;   in Loop: Header=BB2_1620 Depth=2
	s_or_b32 exec_lo, exec_lo, s7
	s_delay_alu instid0(VALU_DEP_2) | instskip(NEXT) | instid1(VALU_DEP_2)
	v_lshrrev_b64 v[86:87], 20, v[86:87]
	v_cmp_gt_i32_e64 s7, 16, v96
	v_min_i32_e32 v38, 15, v96
	v_cmp_eq_u32_e64 s10, 0, v96
	s_delay_alu instid0(VALU_DEP_2) | instskip(SKIP_1) | instid1(VALU_DEP_2)
	v_dual_cndmask_b32 v87, 0, v87, s7 :: v_dual_lshlrev_b32 v38, 3, v38
	v_cndmask_b32_e64 v86, 7, v86, s7
	v_and_b32_e32 v38, 0xf8, v38
	s_delay_alu instid0(VALU_DEP_2) | instskip(NEXT) | instid1(VALU_DEP_2)
	v_cmp_eq_u64_e64 s7, 0, v[86:87]
	v_and_or_b32 v38, v86, 7, v38
	s_and_b32 s7, s10, s7
	s_delay_alu instid0(VALU_DEP_1) | instid1(SALU_CYCLE_1)
	v_cndmask_b32_e64 v38, v38, 0, s7
	s_delay_alu instid0(VALU_DEP_1)
	v_or_b32_e32 v119, v38, v30
.LBB2_1678:                             ;   in Loop: Header=BB2_1620 Depth=2
	s_or_b32 exec_lo, exec_lo, s29
                                        ; implicit-def: $vgpr30
.LBB2_1679:                             ;   in Loop: Header=BB2_1620 Depth=2
	s_and_not1_saveexec_b32 s7, s28
; %bb.1680:                             ;   in Loop: Header=BB2_1620 Depth=2
	v_or_b32_e32 v119, 0x7e, v30
; %bb.1681:                             ;   in Loop: Header=BB2_1620 Depth=2
	s_or_b32 exec_lo, exec_lo, s7
                                        ; implicit-def: $vgpr30
.LBB2_1682:                             ;   in Loop: Header=BB2_1620 Depth=2
	s_and_not1_saveexec_b32 s7, s11
; %bb.1683:                             ;   in Loop: Header=BB2_1620 Depth=2
	v_or_b32_e32 v119, 0x7f, v30
; %bb.1684:                             ;   in Loop: Header=BB2_1620 Depth=2
	s_or_b32 exec_lo, exec_lo, s7
	v_dual_lshrrev_b32 v30, 16, v14 :: v_dual_mov_b32 v38, 0
	s_mov_b32 s10, exec_lo
	s_delay_alu instid0(VALU_DEP_1) | instskip(NEXT) | instid1(VALU_DEP_1)
	v_and_b32_e32 v86, 0xff, v30
	v_cmpx_ne_u16_e32 0, v86
	s_cbranch_execz .LBB2_1692
; %bb.1685:                             ;   in Loop: Header=BB2_1620 Depth=2
	v_bfrev_b32_e32 v38, 1
	s_mov_b32 s11, exec_lo
	v_cmpx_ne_u16_e32 0x80, v86
	s_cbranch_execz .LBB2_1691
; %bb.1686:                             ;   in Loop: Header=BB2_1620 Depth=2
	v_bfe_u32 v87, v14, 16, 7
	v_mov_b32_e32 v38, 0x7f800001
	s_mov_b32 s28, exec_lo
	s_delay_alu instid0(VALU_DEP_2)
	v_cmpx_ne_u32_e32 0x7f, v87
	s_cbranch_execz .LBB2_1690
; %bb.1687:                             ;   in Loop: Header=BB2_1620 Depth=2
	v_dual_lshrrev_b32 v86, 3, v87 :: v_dual_bitop2_b32 v38, 7, v30 bitop3:0x40
	s_mov_b32 s29, exec_lo
	v_cmpx_gt_u32_e32 8, v87
; %bb.1688:                             ;   in Loop: Header=BB2_1620 Depth=2
	s_delay_alu instid0(VALU_DEP_2) | instskip(NEXT) | instid1(VALU_DEP_1)
	v_clz_i32_u32_e32 v86, v38
	v_min_u32_e32 v86, 32, v86
	s_delay_alu instid0(VALU_DEP_1) | instskip(NEXT) | instid1(VALU_DEP_1)
	v_subrev_nc_u32_e32 v87, 28, v86
	v_lshlrev_b64_e32 v[96:97], v87, v[38:39]
	s_delay_alu instid0(VALU_DEP_1)
	v_dual_sub_nc_u32 v86, 29, v86 :: v_dual_bitop2_b32 v38, 7, v96 bitop3:0x40
; %bb.1689:                             ;   in Loop: Header=BB2_1620 Depth=2
	s_or_b32 exec_lo, exec_lo, s29
	v_lshlrev_b32_e32 v30, 24, v30
	s_delay_alu instid0(VALU_DEP_2) | instskip(NEXT) | instid1(VALU_DEP_3)
	v_lshlrev_b32_e32 v38, 20, v38
	v_lshl_add_u32 v86, v86, 23, 0x3c000000
	s_delay_alu instid0(VALU_DEP_3) | instskip(NEXT) | instid1(VALU_DEP_1)
	v_and_b32_e32 v30, 0x80000000, v30
	v_or3_b32 v38, v38, v30, v86
.LBB2_1690:                             ;   in Loop: Header=BB2_1620 Depth=2
	s_or_b32 exec_lo, exec_lo, s28
.LBB2_1691:                             ;   in Loop: Header=BB2_1620 Depth=2
	s_delay_alu instid0(SALU_CYCLE_1)
	s_or_b32 exec_lo, exec_lo, s11
.LBB2_1692:                             ;   in Loop: Header=BB2_1620 Depth=2
	s_delay_alu instid0(SALU_CYCLE_1) | instskip(SKIP_3) | instid1(VALU_DEP_1)
	s_or_b32 exec_lo, exec_lo, s10
	v_lshrrev_b32_e32 v30, 16, v10
	s_mov_b32 s11, 0
	s_mov_b32 s10, exec_lo
	v_and_b32_e32 v87, 0xff, v30
	s_delay_alu instid0(VALU_DEP_1)
	v_cmpx_lt_i16_e32 0x7f, v87
	s_xor_b32 s10, exec_lo, s10
	s_cbranch_execz .LBB2_1697
; %bb.1693:                             ;   in Loop: Header=BB2_1620 Depth=2
	s_mov_b32 s11, -1
	s_mov_b32 s28, exec_lo
	v_cmpx_eq_u16_e32 0x80, v87
; %bb.1694:                             ;   in Loop: Header=BB2_1620 Depth=2
	s_xor_b32 s11, exec_lo, -1
; %bb.1695:                             ;   in Loop: Header=BB2_1620 Depth=2
	s_or_b32 exec_lo, exec_lo, s28
	s_delay_alu instid0(SALU_CYCLE_1)
	s_and_b32 s11, s11, exec_lo
                                        ; implicit-def: $vgpr87
	s_or_saveexec_b32 s10, s10
	v_bfrev_b32_e32 v86, 1
	s_xor_b32 exec_lo, exec_lo, s10
	s_cbranch_execnz .LBB2_1698
.LBB2_1696:                             ;   in Loop: Header=BB2_1620 Depth=2
	s_or_b32 exec_lo, exec_lo, s10
	s_and_saveexec_b32 s10, s11
	s_cbranch_execnz .LBB2_1699
	s_branch .LBB2_1702
.LBB2_1697:                             ;   in Loop: Header=BB2_1620 Depth=2
	s_or_saveexec_b32 s10, s10
	v_bfrev_b32_e32 v86, 1
	s_xor_b32 exec_lo, exec_lo, s10
	s_cbranch_execz .LBB2_1696
.LBB2_1698:                             ;   in Loop: Header=BB2_1620 Depth=2
	v_cmp_ne_u16_e64 s7, 0, v87
	v_mov_b32_e32 v86, 0
	s_and_not1_b32 s11, s11, exec_lo
	s_and_b32 s7, s7, exec_lo
	s_delay_alu instid0(SALU_CYCLE_1)
	s_or_b32 s11, s11, s7
	s_or_b32 exec_lo, exec_lo, s10
	s_and_saveexec_b32 s10, s11
	s_cbranch_execz .LBB2_1702
.LBB2_1699:                             ;   in Loop: Header=BB2_1620 Depth=2
	v_and_b32_e32 v87, 0x7f, v30
	v_mov_b32_e32 v86, 0x7f800001
	s_mov_b32 s11, exec_lo
	s_delay_alu instid0(VALU_DEP_2)
	v_cmpx_ne_u32_e32 0x7f, v87
	s_cbranch_execz .LBB2_1701
; %bb.1700:                             ;   in Loop: Header=BB2_1620 Depth=2
	v_and_b32_e32 v86, 7, v30
	v_cmp_gt_u32_e64 s7, 8, v87
	s_delay_alu instid0(VALU_DEP_2) | instskip(NEXT) | instid1(VALU_DEP_1)
	v_clz_i32_u32_e32 v96, v86
	v_min_u32_e32 v98, 32, v96
	s_delay_alu instid0(VALU_DEP_1) | instskip(NEXT) | instid1(VALU_DEP_1)
	v_subrev_nc_u32_e32 v96, 28, v98
	v_lshlrev_b64_e32 v[96:97], v96, v[30:31]
	v_dual_lshrrev_b32 v97, 3, v87 :: v_dual_sub_nc_u32 v98, 29, v98
	s_delay_alu instid0(VALU_DEP_2) | instskip(NEXT) | instid1(VALU_DEP_1)
	v_dual_lshlrev_b32 v30, 24, v30 :: v_dual_bitop2_b32 v87, 7, v96 bitop3:0x40
	v_dual_cndmask_b32 v96, v97, v98, s7 :: v_dual_cndmask_b32 v86, v86, v87, s7
	s_delay_alu instid0(VALU_DEP_2) | instskip(NEXT) | instid1(VALU_DEP_2)
	v_and_b32_e32 v30, 0x80000000, v30
	v_lshl_add_u32 v87, v96, 23, 0x3c000000
	s_delay_alu instid0(VALU_DEP_3) | instskip(NEXT) | instid1(VALU_DEP_1)
	v_lshlrev_b32_e32 v86, 20, v86
	v_or3_b32 v86, v86, v30, v87
.LBB2_1701:                             ;   in Loop: Header=BB2_1620 Depth=2
	s_or_b32 exec_lo, exec_lo, s11
.LBB2_1702:                             ;   in Loop: Header=BB2_1620 Depth=2
	s_delay_alu instid0(SALU_CYCLE_1) | instskip(NEXT) | instid1(VALU_DEP_1)
	s_or_b32 exec_lo, exec_lo, s10
	v_mul_f32_e32 v86, v38, v86
                                        ; implicit-def: $vgpr40
	s_mov_b32 s10, exec_lo
	s_delay_alu instid0(VALU_DEP_1) | instskip(SKIP_1) | instid1(VALU_DEP_2)
	v_and_b32_e32 v38, 0x7f800000, v86
	v_lshrrev_b32_e32 v30, 24, v86
	v_cmpx_ne_u64_e32 0x7f800000, v[38:39]
	s_xor_b32 s11, exec_lo, s10
	s_cbranch_execz .LBB2_1716
; %bb.1703:                             ;   in Loop: Header=BB2_1620 Depth=2
	v_and_b32_e32 v38, 0x7fffffff, v86
	v_and_b32_e32 v30, 0x80, v30
                                        ; implicit-def: $vgpr40
	s_mov_b32 s10, exec_lo
	s_delay_alu instid0(VALU_DEP_2)
	v_cmpx_gt_u64_e32 0x43e00001, v[38:39]
	s_xor_b32 s28, exec_lo, s10
	s_cbranch_execz .LBB2_1713
; %bb.1704:                             ;   in Loop: Header=BB2_1620 Depth=2
	v_mov_b32_e32 v40, 0
	s_mov_b32 s29, exec_lo
	v_cmpx_ne_u32_e32 0, v86
	s_cbranch_execz .LBB2_1712
; %bb.1705:                             ;   in Loop: Header=BB2_1620 Depth=2
	v_bfe_u32 v98, v86, 23, 8
	s_delay_alu instid0(VALU_DEP_1) | instskip(SKIP_1) | instid1(VALU_DEP_1)
	v_sub_nc_u32_e32 v38, 0x79, v98
	v_cmp_gt_u32_e64 s7, 0x7a, v98
	v_cndmask_b32_e64 v38, 0, v38, s7
	v_cmp_eq_u32_e64 s7, 0, v98
	s_delay_alu instid0(VALU_DEP_1) | instskip(SKIP_1) | instid1(VALU_DEP_2)
	v_cndmask_b32_e64 v99, v38, 0x78, s7
	v_and_b32_e32 v38, 0x7fffff, v86
	v_add_nc_u32_e32 v86, 20, v99
	s_delay_alu instid0(VALU_DEP_2) | instskip(SKIP_1) | instid1(VALU_DEP_3)
	v_or_b32_e32 v96, 0x800000, v38
	v_add_nc_u32_e32 v97, 19, v99
	v_lshlrev_b64_e64 v[86:87], v86, -1
	s_delay_alu instid0(VALU_DEP_3) | instskip(NEXT) | instid1(VALU_DEP_3)
	v_cndmask_b32_e64 v38, v96, v38, s7
	v_lshlrev_b64_e64 v[96:97], v97, 1
	s_delay_alu instid0(VALU_DEP_3) | instskip(NEXT) | instid1(VALU_DEP_3)
	v_bfi_b32 v41, v87, 0, 0
	v_bfi_b32 v40, v86, 0, v38
	v_lshrrev_b64 v[86:87], v99, v[38:39]
	s_delay_alu instid0(VALU_DEP_2) | instskip(NEXT) | instid1(VALU_DEP_2)
	v_cmp_eq_u64_e64 s10, v[40:41], v[96:97]
	v_mov_b64_e32 v[96:97], v[86:87]
	s_and_saveexec_b32 s40, s10
; %bb.1706:                             ;   in Loop: Header=BB2_1620 Depth=2
	v_bfe_u32 v38, v86, 20, 1
	s_delay_alu instid0(VALU_DEP_1) | instskip(NEXT) | instid1(VALU_DEP_1)
	v_add_nc_u64_e32 v[96:97], v[86:87], v[38:39]
	v_add_nc_u64_e32 v[96:97], -1, v[96:97]
; %bb.1707:                             ;   in Loop: Header=BB2_1620 Depth=2
	s_or_b32 exec_lo, exec_lo, s40
	v_add_nc_u32_e32 v38, 0xffffff81, v98
	v_lshrrev_b32_e32 v87, 23, v86
	s_mov_b32 s10, exec_lo
	s_delay_alu instid0(VALU_DEP_2) | instskip(NEXT) | instid1(VALU_DEP_1)
	v_cndmask_b32_e64 v38, v38, 0xffffff82, s7
	v_add3_u32 v97, v99, v38, v87
	v_and_b32_e32 v38, 0xfffff, v96
                                        ; implicit-def: $vgpr96
	s_delay_alu instid0(VALU_DEP_1) | instskip(NEXT) | instid1(VALU_DEP_1)
	v_dual_add_nc_u32 v98, 6, v97 :: v_dual_add_nc_u32 v38, v38, v86
                                        ; implicit-def: $vgpr86_vgpr87
	v_cmpx_ne_u32_e32 0, v98
	s_xor_b32 s10, exec_lo, s10
; %bb.1708:                             ;   in Loop: Header=BB2_1620 Depth=2
	s_delay_alu instid0(VALU_DEP_2) | instskip(SKIP_1) | instid1(VALU_DEP_1)
	v_cmp_lt_u64_e64 s7, 0xffffff, v[38:39]
	v_add_nc_u32_e32 v86, 7, v97
	v_cndmask_b32_e64 v96, v98, v86, s7
	v_cndmask_b32_e64 v86, 0, 1, s7
	s_delay_alu instid0(VALU_DEP_1)
	v_lshrrev_b64 v[86:87], v86, v[38:39]
; %bb.1709:                             ;   in Loop: Header=BB2_1620 Depth=2
	s_and_not1_saveexec_b32 s7, s10
; %bb.1710:                             ;   in Loop: Header=BB2_1620 Depth=2
	v_mov_b64_e32 v[86:87], v[38:39]
	v_bfe_u32 v96, v38, 23, 1
; %bb.1711:                             ;   in Loop: Header=BB2_1620 Depth=2
	s_or_b32 exec_lo, exec_lo, s7
	s_delay_alu instid0(VALU_DEP_2) | instskip(NEXT) | instid1(VALU_DEP_2)
	v_lshrrev_b64 v[86:87], 20, v[86:87]
	v_cmp_gt_i32_e64 s7, 16, v96
	v_min_i32_e32 v38, 15, v96
	v_cmp_eq_u32_e64 s10, 0, v96
	s_delay_alu instid0(VALU_DEP_2) | instskip(SKIP_1) | instid1(VALU_DEP_2)
	v_dual_cndmask_b32 v87, 0, v87, s7 :: v_dual_lshlrev_b32 v38, 3, v38
	v_cndmask_b32_e64 v86, 7, v86, s7
	v_and_b32_e32 v38, 0xf8, v38
	s_delay_alu instid0(VALU_DEP_2) | instskip(NEXT) | instid1(VALU_DEP_2)
	v_cmp_eq_u64_e64 s7, 0, v[86:87]
	v_and_or_b32 v38, v86, 7, v38
	s_and_b32 s7, s10, s7
	s_delay_alu instid0(VALU_DEP_1) | instid1(SALU_CYCLE_1)
	v_cndmask_b32_e64 v38, v38, 0, s7
	s_delay_alu instid0(VALU_DEP_1)
	v_or_b32_e32 v40, v38, v30
.LBB2_1712:                             ;   in Loop: Header=BB2_1620 Depth=2
	s_or_b32 exec_lo, exec_lo, s29
                                        ; implicit-def: $vgpr30
.LBB2_1713:                             ;   in Loop: Header=BB2_1620 Depth=2
	s_and_not1_saveexec_b32 s7, s28
; %bb.1714:                             ;   in Loop: Header=BB2_1620 Depth=2
	v_or_b32_e32 v40, 0x7e, v30
; %bb.1715:                             ;   in Loop: Header=BB2_1620 Depth=2
	s_or_b32 exec_lo, exec_lo, s7
                                        ; implicit-def: $vgpr30
.LBB2_1716:                             ;   in Loop: Header=BB2_1620 Depth=2
	s_and_not1_saveexec_b32 s7, s11
; %bb.1717:                             ;   in Loop: Header=BB2_1620 Depth=2
	v_or_b32_e32 v40, 0x7f, v30
; %bb.1718:                             ;   in Loop: Header=BB2_1620 Depth=2
	s_or_b32 exec_lo, exec_lo, s7
	v_mov_b32_e32 v38, 0
	s_mov_b32 s10, exec_lo
	v_cmpx_lt_u32_e32 0xffffff, v14
	s_cbranch_execz .LBB2_1726
; %bb.1719:                             ;   in Loop: Header=BB2_1620 Depth=2
	v_lshrrev_b32_e32 v30, 24, v14
	v_bfrev_b32_e32 v38, 1
	s_mov_b32 s11, exec_lo
	s_delay_alu instid0(VALU_DEP_2)
	v_cmpx_ne_u32_e32 0x80, v30
	s_cbranch_execz .LBB2_1725
; %bb.1720:                             ;   in Loop: Header=BB2_1620 Depth=2
	v_bfe_u32 v87, v14, 24, 7
	v_mov_b32_e32 v38, 0x7f800001
	s_mov_b32 s28, exec_lo
	s_delay_alu instid0(VALU_DEP_2)
	v_cmpx_ne_u32_e32 0x7f, v87
	s_cbranch_execz .LBB2_1724
; %bb.1721:                             ;   in Loop: Header=BB2_1620 Depth=2
	v_dual_lshrrev_b32 v86, 3, v87 :: v_dual_bitop2_b32 v38, 7, v30 bitop3:0x40
	s_mov_b32 s29, exec_lo
	v_cmpx_gt_u32_e32 8, v87
; %bb.1722:                             ;   in Loop: Header=BB2_1620 Depth=2
	s_delay_alu instid0(VALU_DEP_2) | instskip(NEXT) | instid1(VALU_DEP_1)
	v_clz_i32_u32_e32 v86, v38
	v_min_u32_e32 v86, 32, v86
	s_delay_alu instid0(VALU_DEP_1) | instskip(NEXT) | instid1(VALU_DEP_1)
	v_subrev_nc_u32_e32 v87, 28, v86
	v_lshlrev_b64_e32 v[96:97], v87, v[38:39]
	s_delay_alu instid0(VALU_DEP_1)
	v_dual_sub_nc_u32 v86, 29, v86 :: v_dual_bitop2_b32 v38, 7, v96 bitop3:0x40
; %bb.1723:                             ;   in Loop: Header=BB2_1620 Depth=2
	s_or_b32 exec_lo, exec_lo, s29
	v_lshlrev_b32_e32 v30, 24, v30
	s_delay_alu instid0(VALU_DEP_2) | instskip(NEXT) | instid1(VALU_DEP_3)
	v_lshlrev_b32_e32 v38, 20, v38
	v_lshl_add_u32 v86, v86, 23, 0x3c000000
	s_delay_alu instid0(VALU_DEP_3) | instskip(NEXT) | instid1(VALU_DEP_1)
	v_and_b32_e32 v30, 0x80000000, v30
	v_or3_b32 v38, v38, v30, v86
.LBB2_1724:                             ;   in Loop: Header=BB2_1620 Depth=2
	s_or_b32 exec_lo, exec_lo, s28
.LBB2_1725:                             ;   in Loop: Header=BB2_1620 Depth=2
	s_delay_alu instid0(SALU_CYCLE_1)
	s_or_b32 exec_lo, exec_lo, s11
.LBB2_1726:                             ;   in Loop: Header=BB2_1620 Depth=2
	s_delay_alu instid0(SALU_CYCLE_1) | instskip(SKIP_3) | instid1(VALU_DEP_3)
	s_or_b32 exec_lo, exec_lo, s10
	v_lshrrev_b32_e32 v30, 24, v10
	v_bfe_u32 v86, v10, 24, 7
	v_cmp_gt_u32_e64 s11, 0x1000000, v10
	v_cmp_eq_u32_e64 s7, 0x80, v30
	s_delay_alu instid0(VALU_DEP_3) | instskip(NEXT) | instid1(VALU_DEP_2)
	v_cmp_eq_u32_e64 s10, 0x7f, v86
	v_cndmask_b32_e64 v87, 0x7f800001, v103, s7
	s_or_b32 s7, s7, s10
	s_delay_alu instid0(SALU_CYCLE_1) | instskip(NEXT) | instid1(VALU_DEP_1)
	s_nor_b32 s7, s11, s7
	v_cndmask_b32_e64 v87, v87, 0, s11
	s_and_saveexec_b32 s10, s7
	s_cbranch_execz .LBB2_1728
; %bb.1727:                             ;   in Loop: Header=BB2_1620 Depth=2
	v_and_b32_e32 v87, 7, v30
	v_cmp_gt_u32_e64 s7, 8, v86
	s_delay_alu instid0(VALU_DEP_2) | instskip(NEXT) | instid1(VALU_DEP_1)
	v_clz_i32_u32_e32 v96, v87
	v_min_u32_e32 v98, 32, v96
	s_delay_alu instid0(VALU_DEP_1) | instskip(SKIP_1) | instid1(VALU_DEP_2)
	v_subrev_nc_u32_e32 v96, 28, v98
	v_sub_nc_u32_e32 v98, 29, v98
	v_lshlrev_b64_e32 v[96:97], v96, v[30:31]
	v_lshrrev_b32_e32 v97, 3, v86
	v_lshlrev_b32_e32 v30, 24, v30
	s_delay_alu instid0(VALU_DEP_1) | instskip(NEXT) | instid1(VALU_DEP_3)
	v_and_b32_e32 v30, 0x80000000, v30
	v_dual_cndmask_b32 v96, v97, v98, s7 :: v_dual_bitop2_b32 v86, 7, v96 bitop3:0x40
	s_delay_alu instid0(VALU_DEP_1) | instskip(NEXT) | instid1(VALU_DEP_2)
	v_cndmask_b32_e64 v86, v87, v86, s7
	v_lshl_add_u32 v87, v96, 23, 0x3c000000
	s_delay_alu instid0(VALU_DEP_2) | instskip(NEXT) | instid1(VALU_DEP_1)
	v_lshlrev_b32_e32 v86, 20, v86
	v_or3_b32 v87, v86, v30, v87
.LBB2_1728:                             ;   in Loop: Header=BB2_1620 Depth=2
	s_or_b32 exec_lo, exec_lo, s10
	s_delay_alu instid0(VALU_DEP_1) | instskip(SKIP_1) | instid1(VALU_DEP_1)
	v_mul_f32_e32 v86, v38, v87
                                        ; implicit-def: $vgpr41
	s_mov_b32 s10, exec_lo
	v_and_b32_e32 v38, 0x7f800000, v86
	v_lshrrev_b32_e32 v30, 24, v86
	s_delay_alu instid0(VALU_DEP_2)
	v_cmpx_ne_u64_e32 0x7f800000, v[38:39]
	s_xor_b32 s11, exec_lo, s10
	s_cbranch_execz .LBB2_1742
; %bb.1729:                             ;   in Loop: Header=BB2_1620 Depth=2
	v_and_b32_e32 v38, 0x7fffffff, v86
	v_and_b32_e32 v30, 0x80, v30
                                        ; implicit-def: $vgpr41
	s_mov_b32 s10, exec_lo
	s_delay_alu instid0(VALU_DEP_2)
	v_cmpx_gt_u64_e32 0x43e00001, v[38:39]
	s_xor_b32 s28, exec_lo, s10
	s_cbranch_execz .LBB2_1739
; %bb.1730:                             ;   in Loop: Header=BB2_1620 Depth=2
	v_mov_b32_e32 v41, 0
	s_mov_b32 s29, exec_lo
	v_cmpx_ne_u32_e32 0, v86
	s_cbranch_execz .LBB2_1738
; %bb.1731:                             ;   in Loop: Header=BB2_1620 Depth=2
	v_bfe_u32 v98, v86, 23, 8
	s_delay_alu instid0(VALU_DEP_1) | instskip(SKIP_1) | instid1(VALU_DEP_1)
	v_sub_nc_u32_e32 v38, 0x79, v98
	v_cmp_gt_u32_e64 s7, 0x7a, v98
	v_cndmask_b32_e64 v38, 0, v38, s7
	v_cmp_eq_u32_e64 s7, 0, v98
	s_delay_alu instid0(VALU_DEP_1) | instskip(SKIP_1) | instid1(VALU_DEP_2)
	v_cndmask_b32_e64 v99, v38, 0x78, s7
	v_and_b32_e32 v38, 0x7fffff, v86
	v_add_nc_u32_e32 v86, 20, v99
	s_delay_alu instid0(VALU_DEP_2) | instskip(SKIP_1) | instid1(VALU_DEP_3)
	v_or_b32_e32 v96, 0x800000, v38
	v_add_nc_u32_e32 v97, 19, v99
	v_lshlrev_b64_e64 v[86:87], v86, -1
	s_delay_alu instid0(VALU_DEP_3) | instskip(NEXT) | instid1(VALU_DEP_3)
	v_cndmask_b32_e64 v38, v96, v38, s7
	v_lshlrev_b64_e64 v[96:97], v97, 1
	s_delay_alu instid0(VALU_DEP_3) | instskip(NEXT) | instid1(VALU_DEP_3)
	v_bfi_b32 v43, v87, 0, 0
	v_bfi_b32 v42, v86, 0, v38
	v_lshrrev_b64 v[86:87], v99, v[38:39]
	s_delay_alu instid0(VALU_DEP_2) | instskip(NEXT) | instid1(VALU_DEP_2)
	v_cmp_eq_u64_e64 s10, v[42:43], v[96:97]
	v_mov_b64_e32 v[96:97], v[86:87]
	s_and_saveexec_b32 s40, s10
; %bb.1732:                             ;   in Loop: Header=BB2_1620 Depth=2
	v_bfe_u32 v38, v86, 20, 1
	s_delay_alu instid0(VALU_DEP_1) | instskip(NEXT) | instid1(VALU_DEP_1)
	v_add_nc_u64_e32 v[96:97], v[86:87], v[38:39]
	v_add_nc_u64_e32 v[96:97], -1, v[96:97]
; %bb.1733:                             ;   in Loop: Header=BB2_1620 Depth=2
	s_or_b32 exec_lo, exec_lo, s40
	v_add_nc_u32_e32 v38, 0xffffff81, v98
	v_lshrrev_b32_e32 v87, 23, v86
	s_mov_b32 s10, exec_lo
	s_delay_alu instid0(VALU_DEP_2) | instskip(NEXT) | instid1(VALU_DEP_1)
	v_cndmask_b32_e64 v38, v38, 0xffffff82, s7
	v_add3_u32 v97, v99, v38, v87
	v_and_b32_e32 v38, 0xfffff, v96
                                        ; implicit-def: $vgpr96
	s_delay_alu instid0(VALU_DEP_1) | instskip(NEXT) | instid1(VALU_DEP_1)
	v_dual_add_nc_u32 v98, 6, v97 :: v_dual_add_nc_u32 v38, v38, v86
                                        ; implicit-def: $vgpr86_vgpr87
	v_cmpx_ne_u32_e32 0, v98
	s_xor_b32 s10, exec_lo, s10
; %bb.1734:                             ;   in Loop: Header=BB2_1620 Depth=2
	s_delay_alu instid0(VALU_DEP_2) | instskip(SKIP_1) | instid1(VALU_DEP_1)
	v_cmp_lt_u64_e64 s7, 0xffffff, v[38:39]
	v_add_nc_u32_e32 v86, 7, v97
	v_cndmask_b32_e64 v96, v98, v86, s7
	v_cndmask_b32_e64 v86, 0, 1, s7
	s_delay_alu instid0(VALU_DEP_1)
	v_lshrrev_b64 v[86:87], v86, v[38:39]
; %bb.1735:                             ;   in Loop: Header=BB2_1620 Depth=2
	s_and_not1_saveexec_b32 s7, s10
; %bb.1736:                             ;   in Loop: Header=BB2_1620 Depth=2
	v_mov_b64_e32 v[86:87], v[38:39]
	v_bfe_u32 v96, v38, 23, 1
; %bb.1737:                             ;   in Loop: Header=BB2_1620 Depth=2
	s_or_b32 exec_lo, exec_lo, s7
	s_delay_alu instid0(VALU_DEP_2) | instskip(NEXT) | instid1(VALU_DEP_2)
	v_lshrrev_b64 v[86:87], 20, v[86:87]
	v_cmp_gt_i32_e64 s7, 16, v96
	v_min_i32_e32 v38, 15, v96
	v_cmp_eq_u32_e64 s10, 0, v96
	s_delay_alu instid0(VALU_DEP_2) | instskip(SKIP_1) | instid1(VALU_DEP_2)
	v_dual_cndmask_b32 v87, 0, v87, s7 :: v_dual_lshlrev_b32 v38, 3, v38
	v_cndmask_b32_e64 v86, 7, v86, s7
	v_and_b32_e32 v38, 0xf8, v38
	s_delay_alu instid0(VALU_DEP_2) | instskip(NEXT) | instid1(VALU_DEP_2)
	v_cmp_eq_u64_e64 s7, 0, v[86:87]
	v_and_or_b32 v38, v86, 7, v38
	s_and_b32 s7, s10, s7
	s_delay_alu instid0(VALU_DEP_1) | instid1(SALU_CYCLE_1)
	v_cndmask_b32_e64 v38, v38, 0, s7
	s_delay_alu instid0(VALU_DEP_1)
	v_or_b32_e32 v41, v38, v30
.LBB2_1738:                             ;   in Loop: Header=BB2_1620 Depth=2
	s_or_b32 exec_lo, exec_lo, s29
                                        ; implicit-def: $vgpr30
.LBB2_1739:                             ;   in Loop: Header=BB2_1620 Depth=2
	s_and_not1_saveexec_b32 s7, s28
; %bb.1740:                             ;   in Loop: Header=BB2_1620 Depth=2
	v_or_b32_e32 v41, 0x7e, v30
; %bb.1741:                             ;   in Loop: Header=BB2_1620 Depth=2
	s_or_b32 exec_lo, exec_lo, s7
                                        ; implicit-def: $vgpr30
.LBB2_1742:                             ;   in Loop: Header=BB2_1620 Depth=2
	s_and_not1_saveexec_b32 s7, s11
; %bb.1743:                             ;   in Loop: Header=BB2_1620 Depth=2
	v_or_b32_e32 v41, 0x7f, v30
; %bb.1744:                             ;   in Loop: Header=BB2_1620 Depth=2
	s_or_b32 exec_lo, exec_lo, s7
	v_and_b32_e32 v86, 0xff, v15
	v_dual_mov_b32 v38, v15 :: v_dual_mov_b32 v30, 0
	s_mov_b32 s10, exec_lo
	s_delay_alu instid0(VALU_DEP_2)
	v_cmpx_ne_u16_e32 0, v86
	s_cbranch_execz .LBB2_1750
; %bb.1745:                             ;   in Loop: Header=BB2_1620 Depth=2
	v_bfrev_b32_e32 v30, 1
	s_mov_b32 s11, exec_lo
	v_cmpx_ne_u16_e32 0x80, v86
	s_cbranch_execz .LBB2_1749
; %bb.1746:                             ;   in Loop: Header=BB2_1620 Depth=2
	v_and_b32_e32 v86, 0x7f, v15
	v_mov_b32_e32 v30, 0x7f800001
	s_mov_b32 s28, exec_lo
	s_delay_alu instid0(VALU_DEP_2)
	v_cmpx_ne_u32_e32 0x7f, v86
	s_cbranch_execz .LBB2_1748
; %bb.1747:                             ;   in Loop: Header=BB2_1620 Depth=2
	v_dual_lshrrev_b32 v87, 3, v86 :: v_dual_bitop2_b32 v30, 7, v15 bitop3:0x40
	v_cmp_gt_u32_e64 s7, 8, v86
	s_delay_alu instid0(VALU_DEP_2) | instskip(NEXT) | instid1(VALU_DEP_1)
	v_clz_i32_u32_e32 v30, v30
	v_min_u32_e32 v30, 32, v30
	s_delay_alu instid0(VALU_DEP_1) | instskip(NEXT) | instid1(VALU_DEP_1)
	v_subrev_nc_u32_e32 v96, 28, v30
	v_dual_sub_nc_u32 v30, 29, v30 :: v_dual_cndmask_b32 v86, 0, v96, s7
	s_delay_alu instid0(VALU_DEP_1) | instskip(NEXT) | instid1(VALU_DEP_2)
	v_cndmask_b32_e64 v30, v87, v30, s7
	v_lshlrev_b64_e32 v[86:87], v86, v[38:39]
	v_lshlrev_b32_e32 v87, 24, v38
	s_delay_alu instid0(VALU_DEP_3) | instskip(NEXT) | instid1(VALU_DEP_2)
	v_lshl_add_u32 v30, v30, 23, 0x3c000000
	v_and_b32_e32 v87, 0x80000000, v87
	s_delay_alu instid0(VALU_DEP_4) | instskip(NEXT) | instid1(VALU_DEP_1)
	v_lshlrev_b32_e32 v86, 20, v86
	v_and_b32_e32 v86, 0x700000, v86
	s_delay_alu instid0(VALU_DEP_1)
	v_or3_b32 v30, v86, v87, v30
.LBB2_1748:                             ;   in Loop: Header=BB2_1620 Depth=2
	s_or_b32 exec_lo, exec_lo, s28
.LBB2_1749:                             ;   in Loop: Header=BB2_1620 Depth=2
	s_delay_alu instid0(SALU_CYCLE_1)
	s_or_b32 exec_lo, exec_lo, s11
.LBB2_1750:                             ;   in Loop: Header=BB2_1620 Depth=2
	s_delay_alu instid0(SALU_CYCLE_1) | instskip(SKIP_4) | instid1(VALU_DEP_2)
	s_or_b32 exec_lo, exec_lo, s10
	v_and_b32_e32 v87, 0xff, v11
	v_mov_b32_e32 v86, v11
	s_mov_b32 s10, 0
	s_mov_b32 s11, exec_lo
	v_cmpx_lt_i16_e32 0x7f, v87
	s_xor_b32 s11, exec_lo, s11
	s_cbranch_execz .LBB2_1785
; %bb.1751:                             ;   in Loop: Header=BB2_1620 Depth=2
	s_mov_b32 s10, -1
	s_mov_b32 s28, exec_lo
	v_cmpx_eq_u16_e32 0x80, v87
; %bb.1752:                             ;   in Loop: Header=BB2_1620 Depth=2
	s_xor_b32 s10, exec_lo, -1
; %bb.1753:                             ;   in Loop: Header=BB2_1620 Depth=2
	s_or_b32 exec_lo, exec_lo, s28
	s_delay_alu instid0(SALU_CYCLE_1)
	s_and_b32 s10, s10, exec_lo
                                        ; implicit-def: $vgpr87
	s_or_saveexec_b32 s11, s11
	v_bfrev_b32_e32 v96, 1
	s_xor_b32 exec_lo, exec_lo, s11
	s_cbranch_execnz .LBB2_1786
.LBB2_1754:                             ;   in Loop: Header=BB2_1620 Depth=2
	s_or_b32 exec_lo, exec_lo, s11
	v_mov_b32_e32 v87, v39
	s_and_saveexec_b32 s11, s10
	s_cbranch_execz .LBB2_1756
.LBB2_1755:                             ;   in Loop: Header=BB2_1620 Depth=2
	v_and_b32_e32 v96, 7, v11
	v_and_b32_e32 v98, 0x7f, v11
	v_bfe_u32 v97, v11, 3, 4
	s_delay_alu instid0(VALU_DEP_3) | instskip(NEXT) | instid1(VALU_DEP_3)
	v_clz_i32_u32_e32 v96, v96
	v_cmp_gt_u32_e64 s7, 8, v98
	s_delay_alu instid0(VALU_DEP_2) | instskip(NEXT) | instid1(VALU_DEP_1)
	v_min_u32_e32 v96, 32, v96
	v_subrev_nc_u32_e32 v99, 28, v96
	v_sub_nc_u32_e32 v96, 29, v96
	s_delay_alu instid0(VALU_DEP_1) | instskip(SKIP_1) | instid1(VALU_DEP_2)
	v_dual_cndmask_b32 v42, v97, v96, s7 :: v_dual_cndmask_b32 v96, 0, v99, s7
	v_cmp_ne_u32_e64 s7, 0x7f, v98
	v_lshlrev_b64_e32 v[96:97], v96, v[86:87]
	v_lshlrev_b32_e32 v87, 24, v86
	s_delay_alu instid0(VALU_DEP_4) | instskip(NEXT) | instid1(VALU_DEP_2)
	v_lshl_add_u32 v97, v42, 23, 0x3c000000
	v_and_b32_e32 v87, 0x80000000, v87
	s_delay_alu instid0(VALU_DEP_4) | instskip(NEXT) | instid1(VALU_DEP_1)
	v_lshlrev_b32_e32 v96, 20, v96
	v_and_b32_e32 v96, 0x700000, v96
	s_delay_alu instid0(VALU_DEP_1) | instskip(NEXT) | instid1(VALU_DEP_1)
	v_or3_b32 v87, v96, v87, v97
	v_cndmask_b32_e64 v96, 0x7f800001, v87, s7
.LBB2_1756:                             ;   in Loop: Header=BB2_1620 Depth=2
	s_or_b32 exec_lo, exec_lo, s11
	s_delay_alu instid0(VALU_DEP_1) | instskip(SKIP_1) | instid1(VALU_DEP_1)
	v_dual_mul_f32 v87, v30, v96 :: v_dual_mov_b32 v97, v39
                                        ; implicit-def: $vgpr98
	s_mov_b32 s10, exec_lo
	v_and_b32_e32 v96, 0x7f800000, v87
	v_lshrrev_b32_e32 v30, 24, v87
	s_delay_alu instid0(VALU_DEP_2)
	v_cmpx_ne_u64_e32 0x7f800000, v[96:97]
	s_xor_b32 s11, exec_lo, s10
	s_cbranch_execz .LBB2_1770
; %bb.1757:                             ;   in Loop: Header=BB2_1620 Depth=2
	v_and_b32_e32 v96, 0x7fffffff, v87
	v_mov_b32_e32 v97, v39
	v_and_b32_e32 v30, 0x80, v30
                                        ; implicit-def: $vgpr98
	s_mov_b32 s10, exec_lo
	s_delay_alu instid0(VALU_DEP_2)
	v_cmpx_gt_u64_e32 0x43e00001, v[96:97]
	s_xor_b32 s28, exec_lo, s10
	s_cbranch_execz .LBB2_1767
; %bb.1758:                             ;   in Loop: Header=BB2_1620 Depth=2
	v_mov_b32_e32 v98, 0
	s_mov_b32 s29, exec_lo
	v_cmpx_ne_u32_e32 0, v87
	s_cbranch_execz .LBB2_1766
; %bb.1759:                             ;   in Loop: Header=BB2_1620 Depth=2
	v_bfe_u32 v42, v87, 23, 8
	v_and_b32_e32 v87, 0x7fffff, v87
	s_mov_b32 s40, exec_lo
	s_delay_alu instid0(VALU_DEP_2) | instskip(SKIP_1) | instid1(VALU_DEP_3)
	v_dual_mov_b32 v99, v39 :: v_dual_sub_nc_u32 v96, 0x79, v42
	v_cmp_gt_u32_e64 s7, 0x7a, v42
	v_or_b32_e32 v98, 0x800000, v87
	s_delay_alu instid0(VALU_DEP_2) | instskip(SKIP_1) | instid1(VALU_DEP_1)
	v_cndmask_b32_e64 v96, 0, v96, s7
	v_cmp_eq_u32_e64 s7, 0, v42
	v_cndmask_b32_e64 v43, v96, 0x78, s7
	s_delay_alu instid0(VALU_DEP_4) | instskip(NEXT) | instid1(VALU_DEP_2)
	v_cndmask_b32_e64 v98, v98, v87, s7
	v_dual_add_nc_u32 v96, 20, v43 :: v_dual_add_nc_u32 v44, 19, v43
	s_delay_alu instid0(VALU_DEP_1) | instskip(NEXT) | instid1(VALU_DEP_2)
	v_lshlrev_b64_e64 v[96:97], v96, -1
	v_lshlrev_b64_e64 v[44:45], v44, 1
	s_delay_alu instid0(VALU_DEP_2) | instskip(NEXT) | instid1(VALU_DEP_3)
	v_bfi_b32 v47, v97, 0, 0
	v_bfi_b32 v46, v96, 0, v98
	v_lshrrev_b64 v[96:97], v43, v[98:99]
	s_delay_alu instid0(VALU_DEP_1) | instskip(NEXT) | instid1(VALU_DEP_3)
	v_mov_b64_e32 v[98:99], v[96:97]
	v_cmpx_eq_u64_e64 v[46:47], v[44:45]
; %bb.1760:                             ;   in Loop: Header=BB2_1620 Depth=2
	v_bfe_u32 v98, v96, 20, 1
	v_mov_b32_e32 v99, v39
	s_delay_alu instid0(VALU_DEP_1) | instskip(NEXT) | instid1(VALU_DEP_1)
	v_add_nc_u64_e32 v[98:99], v[96:97], v[98:99]
	v_add_nc_u64_e32 v[98:99], -1, v[98:99]
; %bb.1761:                             ;   in Loop: Header=BB2_1620 Depth=2
	s_or_b32 exec_lo, exec_lo, s40
	v_add_nc_u32_e32 v87, 0xffffff81, v42
	v_lshrrev_b32_e32 v97, 23, v96
	s_mov_b32 s10, exec_lo
	s_delay_alu instid0(VALU_DEP_2) | instskip(NEXT) | instid1(VALU_DEP_1)
	v_cndmask_b32_e64 v87, v87, 0xffffff82, s7
	v_add3_u32 v99, v43, v87, v97
	v_and_b32_e32 v87, 0xfffff, v98
	s_delay_alu instid0(VALU_DEP_2) | instskip(NEXT) | instid1(VALU_DEP_2)
	v_dual_mov_b32 v97, v39 :: v_dual_add_nc_u32 v98, 6, v99
	v_add_nc_u32_e32 v96, v87, v96
                                        ; implicit-def: $vgpr87
	s_delay_alu instid0(VALU_DEP_2)
	v_cmpx_ne_u32_e32 0, v98
	s_xor_b32 s10, exec_lo, s10
; %bb.1762:                             ;   in Loop: Header=BB2_1620 Depth=2
	s_delay_alu instid0(VALU_DEP_2) | instskip(SKIP_1) | instid1(VALU_DEP_1)
	v_cmp_lt_u64_e64 s7, 0xffffff, v[96:97]
	v_add_nc_u32_e32 v87, 7, v99
	v_cndmask_b32_e64 v87, v98, v87, s7
	v_cndmask_b32_e64 v98, 0, 1, s7
	s_delay_alu instid0(VALU_DEP_1)
	v_lshrrev_b64 v[96:97], v98, v[96:97]
; %bb.1763:                             ;   in Loop: Header=BB2_1620 Depth=2
	s_and_not1_saveexec_b32 s7, s10
; %bb.1764:                             ;   in Loop: Header=BB2_1620 Depth=2
	s_delay_alu instid0(VALU_DEP_1)
	v_bfe_u32 v87, v96, 23, 1
; %bb.1765:                             ;   in Loop: Header=BB2_1620 Depth=2
	s_or_b32 exec_lo, exec_lo, s7
	s_delay_alu instid0(VALU_DEP_2) | instskip(NEXT) | instid1(VALU_DEP_2)
	v_lshrrev_b64 v[96:97], 20, v[96:97]
	v_cmp_gt_i32_e64 s7, 16, v87
	v_min_i32_e32 v98, 15, v87
	v_cmp_eq_u32_e64 s10, 0, v87
	s_delay_alu instid0(VALU_DEP_2) | instskip(SKIP_1) | instid1(VALU_DEP_2)
	v_dual_cndmask_b32 v97, 0, v97, s7 :: v_dual_lshlrev_b32 v98, 3, v98
	v_cndmask_b32_e64 v96, 7, v96, s7
	v_and_b32_e32 v98, 0xf8, v98
	s_delay_alu instid0(VALU_DEP_2) | instskip(NEXT) | instid1(VALU_DEP_2)
	v_cmp_eq_u64_e64 s7, 0, v[96:97]
	v_and_or_b32 v87, v96, 7, v98
	s_and_b32 s7, s10, s7
	s_delay_alu instid0(VALU_DEP_1) | instid1(SALU_CYCLE_1)
	v_cndmask_b32_e64 v87, v87, 0, s7
	s_delay_alu instid0(VALU_DEP_1)
	v_or_b32_e32 v98, v87, v30
.LBB2_1766:                             ;   in Loop: Header=BB2_1620 Depth=2
	s_or_b32 exec_lo, exec_lo, s29
                                        ; implicit-def: $vgpr30
.LBB2_1767:                             ;   in Loop: Header=BB2_1620 Depth=2
	s_and_not1_saveexec_b32 s7, s28
; %bb.1768:                             ;   in Loop: Header=BB2_1620 Depth=2
	v_or_b32_e32 v98, 0x7e, v30
; %bb.1769:                             ;   in Loop: Header=BB2_1620 Depth=2
	s_or_b32 exec_lo, exec_lo, s7
                                        ; implicit-def: $vgpr30
.LBB2_1770:                             ;   in Loop: Header=BB2_1620 Depth=2
	s_and_not1_saveexec_b32 s7, s11
; %bb.1771:                             ;   in Loop: Header=BB2_1620 Depth=2
	v_or_b32_e32 v98, 0x7f, v30
; %bb.1772:                             ;   in Loop: Header=BB2_1620 Depth=2
	s_or_b32 exec_lo, exec_lo, s7
	v_lshrrev_b16 v30, 8, v38
	v_mov_b32_e32 v87, 0
	s_mov_b32 s10, exec_lo
	s_delay_alu instid0(VALU_DEP_2)
	v_cmpx_ne_u16_e32 0, v30
	s_cbranch_execz .LBB2_1780
; %bb.1773:                             ;   in Loop: Header=BB2_1620 Depth=2
	v_bfrev_b32_e32 v87, 1
	s_mov_b32 s11, exec_lo
	v_cmpx_ne_u16_e32 0x80, v30
	s_cbranch_execz .LBB2_1779
; %bb.1774:                             ;   in Loop: Header=BB2_1620 Depth=2
	v_and_b32_e32 v30, 0xffff, v30
	v_mov_b32_e32 v87, 0x7f800001
	s_mov_b32 s28, exec_lo
	s_delay_alu instid0(VALU_DEP_2) | instskip(NEXT) | instid1(VALU_DEP_1)
	v_and_b32_e32 v99, 0x7f, v30
	v_cmpx_ne_u32_e32 0x7f, v99
	s_cbranch_execz .LBB2_1778
; %bb.1775:                             ;   in Loop: Header=BB2_1620 Depth=2
	v_dual_mov_b32 v97, v39 :: v_dual_bitop2_b32 v96, 7, v30 bitop3:0x40
	v_lshrrev_b32_e32 v30, 3, v99
	s_mov_b32 s29, exec_lo
	v_cmpx_gt_u32_e32 8, v99
; %bb.1776:                             ;   in Loop: Header=BB2_1620 Depth=2
	s_delay_alu instid0(VALU_DEP_3) | instskip(NEXT) | instid1(VALU_DEP_1)
	v_clz_i32_u32_e32 v30, v96
	v_min_u32_e32 v30, 32, v30
	s_delay_alu instid0(VALU_DEP_1) | instskip(NEXT) | instid1(VALU_DEP_1)
	v_subrev_nc_u32_e32 v87, 28, v30
	v_lshlrev_b64_e32 v[96:97], v87, v[96:97]
	s_delay_alu instid0(VALU_DEP_1)
	v_dual_sub_nc_u32 v30, 29, v30 :: v_dual_bitop2_b32 v96, 7, v96 bitop3:0x40
; %bb.1777:                             ;   in Loop: Header=BB2_1620 Depth=2
	s_or_b32 exec_lo, exec_lo, s29
	s_delay_alu instid0(VALU_DEP_1) | instskip(NEXT) | instid1(VALU_DEP_2)
	v_dual_lshlrev_b32 v38, 16, v38 :: v_dual_lshlrev_b32 v87, 20, v96
	v_lshl_add_u32 v30, v30, 23, 0x3c000000
	s_delay_alu instid0(VALU_DEP_2) | instskip(NEXT) | instid1(VALU_DEP_1)
	v_and_b32_e32 v38, 0x80000000, v38
	v_or3_b32 v87, v87, v38, v30
.LBB2_1778:                             ;   in Loop: Header=BB2_1620 Depth=2
	s_or_b32 exec_lo, exec_lo, s28
.LBB2_1779:                             ;   in Loop: Header=BB2_1620 Depth=2
	s_delay_alu instid0(SALU_CYCLE_1)
	s_or_b32 exec_lo, exec_lo, s11
.LBB2_1780:                             ;   in Loop: Header=BB2_1620 Depth=2
	s_delay_alu instid0(SALU_CYCLE_1) | instskip(SKIP_3) | instid1(VALU_DEP_1)
	s_or_b32 exec_lo, exec_lo, s10
	v_lshrrev_b16 v38, 8, v86
	s_mov_b32 s11, 0
	s_mov_b32 s10, exec_lo
	v_cmpx_lt_i16_e32 0x7f, v38
	s_xor_b32 s10, exec_lo, s10
	s_cbranch_execz .LBB2_1787
; %bb.1781:                             ;   in Loop: Header=BB2_1620 Depth=2
	s_mov_b32 s11, -1
	s_mov_b32 s28, exec_lo
	v_cmpx_eq_u16_e32 0x80, v38
; %bb.1782:                             ;   in Loop: Header=BB2_1620 Depth=2
	s_xor_b32 s11, exec_lo, -1
; %bb.1783:                             ;   in Loop: Header=BB2_1620 Depth=2
	s_or_b32 exec_lo, exec_lo, s28
	s_delay_alu instid0(SALU_CYCLE_1)
	s_and_b32 s11, s11, exec_lo
	s_or_saveexec_b32 s10, s10
	v_bfrev_b32_e32 v86, 1
	s_xor_b32 exec_lo, exec_lo, s10
	s_cbranch_execnz .LBB2_1788
.LBB2_1784:                             ;   in Loop: Header=BB2_1620 Depth=2
	s_or_b32 exec_lo, exec_lo, s10
	s_and_saveexec_b32 s10, s11
	s_cbranch_execnz .LBB2_1789
	s_branch .LBB2_1792
.LBB2_1785:                             ;   in Loop: Header=BB2_1620 Depth=2
	s_or_saveexec_b32 s11, s11
	v_bfrev_b32_e32 v96, 1
	s_xor_b32 exec_lo, exec_lo, s11
	s_cbranch_execz .LBB2_1754
.LBB2_1786:                             ;   in Loop: Header=BB2_1620 Depth=2
	v_cmp_ne_u16_e64 s7, 0, v87
	v_mov_b32_e32 v96, 0
	s_and_not1_b32 s10, s10, exec_lo
	s_and_b32 s7, s7, exec_lo
	s_delay_alu instid0(SALU_CYCLE_1)
	s_or_b32 s10, s10, s7
	s_or_b32 exec_lo, exec_lo, s11
	v_mov_b32_e32 v87, v39
	s_and_saveexec_b32 s11, s10
	s_cbranch_execnz .LBB2_1755
	s_branch .LBB2_1756
.LBB2_1787:                             ;   in Loop: Header=BB2_1620 Depth=2
	s_or_saveexec_b32 s10, s10
	v_bfrev_b32_e32 v86, 1
	s_xor_b32 exec_lo, exec_lo, s10
	s_cbranch_execz .LBB2_1784
.LBB2_1788:                             ;   in Loop: Header=BB2_1620 Depth=2
	v_cmp_ne_u16_e64 s7, 0, v38
	v_mov_b32_e32 v86, 0
	s_and_not1_b32 s11, s11, exec_lo
	s_and_b32 s7, s7, exec_lo
	s_delay_alu instid0(SALU_CYCLE_1)
	s_or_b32 s11, s11, s7
	s_or_b32 exec_lo, exec_lo, s10
	s_and_saveexec_b32 s10, s11
	s_cbranch_execz .LBB2_1792
.LBB2_1789:                             ;   in Loop: Header=BB2_1620 Depth=2
	v_and_b32_e32 v30, 0xffff, v38
	v_mov_b32_e32 v86, 0x7f800001
	s_mov_b32 s11, exec_lo
	s_delay_alu instid0(VALU_DEP_2) | instskip(NEXT) | instid1(VALU_DEP_1)
	v_and_b32_e32 v96, 0x7f, v30
	v_cmpx_ne_u32_e32 0x7f, v96
	s_cbranch_execz .LBB2_1791
; %bb.1790:                             ;   in Loop: Header=BB2_1620 Depth=2
	v_and_b32_e32 v86, 7, v30
	v_cmp_gt_u32_e64 s7, 8, v96
	s_delay_alu instid0(VALU_DEP_2) | instskip(NEXT) | instid1(VALU_DEP_1)
	v_clz_i32_u32_e32 v97, v86
	v_min_u32_e32 v97, 32, v97
	s_delay_alu instid0(VALU_DEP_1) | instskip(NEXT) | instid1(VALU_DEP_1)
	v_subrev_nc_u32_e32 v99, 28, v97
	v_lshlrev_b64_e32 v[42:43], v99, v[30:31]
	v_dual_lshrrev_b32 v30, 3, v96 :: v_dual_sub_nc_u32 v97, 29, v97
	s_delay_alu instid0(VALU_DEP_2) | instskip(NEXT) | instid1(VALU_DEP_2)
	v_and_b32_e32 v96, 7, v42
	v_dual_lshlrev_b32 v38, 24, v38 :: v_dual_cndmask_b32 v30, v30, v97, s7
	s_delay_alu instid0(VALU_DEP_2) | instskip(NEXT) | instid1(VALU_DEP_2)
	v_cndmask_b32_e64 v86, v86, v96, s7
	v_and_b32_e32 v38, 0x80000000, v38
	s_delay_alu instid0(VALU_DEP_3) | instskip(NEXT) | instid1(VALU_DEP_3)
	v_lshl_add_u32 v30, v30, 23, 0x3c000000
	v_lshlrev_b32_e32 v86, 20, v86
	s_delay_alu instid0(VALU_DEP_1)
	v_or3_b32 v86, v86, v38, v30
.LBB2_1791:                             ;   in Loop: Header=BB2_1620 Depth=2
	s_or_b32 exec_lo, exec_lo, s11
.LBB2_1792:                             ;   in Loop: Header=BB2_1620 Depth=2
	s_delay_alu instid0(SALU_CYCLE_1) | instskip(NEXT) | instid1(VALU_DEP_1)
	s_or_b32 exec_lo, exec_lo, s10
	v_mul_f32_e32 v86, v87, v86
                                        ; implicit-def: $vgpr99
	s_mov_b32 s10, exec_lo
	s_delay_alu instid0(VALU_DEP_1) | instskip(SKIP_1) | instid1(VALU_DEP_2)
	v_and_b32_e32 v38, 0x7f800000, v86
	v_lshrrev_b32_e32 v30, 24, v86
	v_cmpx_ne_u64_e32 0x7f800000, v[38:39]
	s_xor_b32 s11, exec_lo, s10
	s_cbranch_execz .LBB2_1806
; %bb.1793:                             ;   in Loop: Header=BB2_1620 Depth=2
	v_and_b32_e32 v38, 0x7fffffff, v86
	v_and_b32_e32 v30, 0x80, v30
                                        ; implicit-def: $vgpr99
	s_mov_b32 s10, exec_lo
	s_delay_alu instid0(VALU_DEP_2)
	v_cmpx_gt_u64_e32 0x43e00001, v[38:39]
	s_xor_b32 s28, exec_lo, s10
	s_cbranch_execz .LBB2_1803
; %bb.1794:                             ;   in Loop: Header=BB2_1620 Depth=2
	v_mov_b32_e32 v99, 0
	s_mov_b32 s29, exec_lo
	v_cmpx_ne_u32_e32 0, v86
	s_cbranch_execz .LBB2_1802
; %bb.1795:                             ;   in Loop: Header=BB2_1620 Depth=2
	v_bfe_u32 v99, v86, 23, 8
	s_delay_alu instid0(VALU_DEP_1) | instskip(SKIP_1) | instid1(VALU_DEP_1)
	v_sub_nc_u32_e32 v38, 0x79, v99
	v_cmp_gt_u32_e64 s7, 0x7a, v99
	v_cndmask_b32_e64 v38, 0, v38, s7
	v_cmp_eq_u32_e64 s7, 0, v99
	s_delay_alu instid0(VALU_DEP_1) | instskip(SKIP_1) | instid1(VALU_DEP_2)
	v_cndmask_b32_e64 v42, v38, 0x78, s7
	v_and_b32_e32 v38, 0x7fffff, v86
	v_dual_add_nc_u32 v86, 20, v42 :: v_dual_add_nc_u32 v97, 19, v42
	s_delay_alu instid0(VALU_DEP_2) | instskip(NEXT) | instid1(VALU_DEP_2)
	v_or_b32_e32 v96, 0x800000, v38
	v_lshlrev_b64_e64 v[86:87], v86, -1
	s_delay_alu instid0(VALU_DEP_2) | instskip(NEXT) | instid1(VALU_DEP_4)
	v_cndmask_b32_e64 v38, v96, v38, s7
	v_lshlrev_b64_e64 v[96:97], v97, 1
	s_delay_alu instid0(VALU_DEP_3) | instskip(NEXT) | instid1(VALU_DEP_3)
	v_bfi_b32 v45, v87, 0, 0
	v_bfi_b32 v44, v86, 0, v38
	v_lshrrev_b64 v[86:87], v42, v[38:39]
	s_delay_alu instid0(VALU_DEP_2) | instskip(NEXT) | instid1(VALU_DEP_2)
	v_cmp_eq_u64_e64 s10, v[44:45], v[96:97]
	v_mov_b64_e32 v[96:97], v[86:87]
	s_and_saveexec_b32 s40, s10
; %bb.1796:                             ;   in Loop: Header=BB2_1620 Depth=2
	v_bfe_u32 v38, v86, 20, 1
	s_delay_alu instid0(VALU_DEP_1) | instskip(NEXT) | instid1(VALU_DEP_1)
	v_add_nc_u64_e32 v[96:97], v[86:87], v[38:39]
	v_add_nc_u64_e32 v[96:97], -1, v[96:97]
; %bb.1797:                             ;   in Loop: Header=BB2_1620 Depth=2
	s_or_b32 exec_lo, exec_lo, s40
	v_add_nc_u32_e32 v38, 0xffffff81, v99
	v_lshrrev_b32_e32 v87, 23, v86
	s_mov_b32 s10, exec_lo
	s_delay_alu instid0(VALU_DEP_2) | instskip(NEXT) | instid1(VALU_DEP_1)
	v_cndmask_b32_e64 v38, v38, 0xffffff82, s7
	v_add3_u32 v97, v42, v38, v87
	v_and_b32_e32 v38, 0xfffff, v96
                                        ; implicit-def: $vgpr96
	s_delay_alu instid0(VALU_DEP_1) | instskip(NEXT) | instid1(VALU_DEP_1)
	v_dual_add_nc_u32 v99, 6, v97 :: v_dual_add_nc_u32 v38, v38, v86
                                        ; implicit-def: $vgpr86_vgpr87
	v_cmpx_ne_u32_e32 0, v99
	s_xor_b32 s10, exec_lo, s10
; %bb.1798:                             ;   in Loop: Header=BB2_1620 Depth=2
	s_delay_alu instid0(VALU_DEP_2) | instskip(SKIP_1) | instid1(VALU_DEP_1)
	v_cmp_lt_u64_e64 s7, 0xffffff, v[38:39]
	v_add_nc_u32_e32 v86, 7, v97
	v_cndmask_b32_e64 v96, v99, v86, s7
	v_cndmask_b32_e64 v86, 0, 1, s7
	s_delay_alu instid0(VALU_DEP_1)
	v_lshrrev_b64 v[86:87], v86, v[38:39]
; %bb.1799:                             ;   in Loop: Header=BB2_1620 Depth=2
	s_and_not1_saveexec_b32 s7, s10
; %bb.1800:                             ;   in Loop: Header=BB2_1620 Depth=2
	v_mov_b64_e32 v[86:87], v[38:39]
	v_bfe_u32 v96, v38, 23, 1
; %bb.1801:                             ;   in Loop: Header=BB2_1620 Depth=2
	s_or_b32 exec_lo, exec_lo, s7
	s_delay_alu instid0(VALU_DEP_2) | instskip(NEXT) | instid1(VALU_DEP_2)
	v_lshrrev_b64 v[86:87], 20, v[86:87]
	v_cmp_gt_i32_e64 s7, 16, v96
	v_min_i32_e32 v38, 15, v96
	v_cmp_eq_u32_e64 s10, 0, v96
	s_delay_alu instid0(VALU_DEP_2) | instskip(SKIP_1) | instid1(VALU_DEP_2)
	v_dual_cndmask_b32 v87, 0, v87, s7 :: v_dual_lshlrev_b32 v38, 3, v38
	v_cndmask_b32_e64 v86, 7, v86, s7
	v_and_b32_e32 v38, 0xf8, v38
	s_delay_alu instid0(VALU_DEP_2) | instskip(NEXT) | instid1(VALU_DEP_2)
	v_cmp_eq_u64_e64 s7, 0, v[86:87]
	v_and_or_b32 v38, v86, 7, v38
	s_and_b32 s7, s10, s7
	s_delay_alu instid0(VALU_DEP_1) | instid1(SALU_CYCLE_1)
	v_cndmask_b32_e64 v38, v38, 0, s7
	s_delay_alu instid0(VALU_DEP_1)
	v_or_b32_e32 v99, v38, v30
.LBB2_1802:                             ;   in Loop: Header=BB2_1620 Depth=2
	s_or_b32 exec_lo, exec_lo, s29
                                        ; implicit-def: $vgpr30
.LBB2_1803:                             ;   in Loop: Header=BB2_1620 Depth=2
	s_and_not1_saveexec_b32 s7, s28
; %bb.1804:                             ;   in Loop: Header=BB2_1620 Depth=2
	v_or_b32_e32 v99, 0x7e, v30
; %bb.1805:                             ;   in Loop: Header=BB2_1620 Depth=2
	s_or_b32 exec_lo, exec_lo, s7
                                        ; implicit-def: $vgpr30
.LBB2_1806:                             ;   in Loop: Header=BB2_1620 Depth=2
	s_and_not1_saveexec_b32 s7, s11
; %bb.1807:                             ;   in Loop: Header=BB2_1620 Depth=2
	v_or_b32_e32 v99, 0x7f, v30
; %bb.1808:                             ;   in Loop: Header=BB2_1620 Depth=2
	s_or_b32 exec_lo, exec_lo, s7
	v_dual_lshrrev_b32 v30, 16, v15 :: v_dual_mov_b32 v38, 0
	s_mov_b32 s10, exec_lo
	s_delay_alu instid0(VALU_DEP_1) | instskip(NEXT) | instid1(VALU_DEP_1)
	v_and_b32_e32 v86, 0xff, v30
	v_cmpx_ne_u16_e32 0, v86
	s_cbranch_execz .LBB2_1816
; %bb.1809:                             ;   in Loop: Header=BB2_1620 Depth=2
	v_bfrev_b32_e32 v38, 1
	s_mov_b32 s11, exec_lo
	v_cmpx_ne_u16_e32 0x80, v86
	s_cbranch_execz .LBB2_1815
; %bb.1810:                             ;   in Loop: Header=BB2_1620 Depth=2
	v_bfe_u32 v87, v15, 16, 7
	v_mov_b32_e32 v38, 0x7f800001
	s_mov_b32 s28, exec_lo
	s_delay_alu instid0(VALU_DEP_2)
	v_cmpx_ne_u32_e32 0x7f, v87
	s_cbranch_execz .LBB2_1814
; %bb.1811:                             ;   in Loop: Header=BB2_1620 Depth=2
	v_dual_lshrrev_b32 v86, 3, v87 :: v_dual_bitop2_b32 v38, 7, v30 bitop3:0x40
	s_mov_b32 s29, exec_lo
	v_cmpx_gt_u32_e32 8, v87
; %bb.1812:                             ;   in Loop: Header=BB2_1620 Depth=2
	s_delay_alu instid0(VALU_DEP_2) | instskip(NEXT) | instid1(VALU_DEP_1)
	v_clz_i32_u32_e32 v86, v38
	v_min_u32_e32 v86, 32, v86
	s_delay_alu instid0(VALU_DEP_1) | instskip(NEXT) | instid1(VALU_DEP_1)
	v_subrev_nc_u32_e32 v87, 28, v86
	v_lshlrev_b64_e32 v[96:97], v87, v[38:39]
	s_delay_alu instid0(VALU_DEP_1)
	v_dual_sub_nc_u32 v86, 29, v86 :: v_dual_bitop2_b32 v38, 7, v96 bitop3:0x40
; %bb.1813:                             ;   in Loop: Header=BB2_1620 Depth=2
	s_or_b32 exec_lo, exec_lo, s29
	v_lshlrev_b32_e32 v30, 24, v30
	s_delay_alu instid0(VALU_DEP_2) | instskip(NEXT) | instid1(VALU_DEP_3)
	v_lshlrev_b32_e32 v38, 20, v38
	v_lshl_add_u32 v86, v86, 23, 0x3c000000
	s_delay_alu instid0(VALU_DEP_3) | instskip(NEXT) | instid1(VALU_DEP_1)
	v_and_b32_e32 v30, 0x80000000, v30
	v_or3_b32 v38, v38, v30, v86
.LBB2_1814:                             ;   in Loop: Header=BB2_1620 Depth=2
	s_or_b32 exec_lo, exec_lo, s28
.LBB2_1815:                             ;   in Loop: Header=BB2_1620 Depth=2
	s_delay_alu instid0(SALU_CYCLE_1)
	s_or_b32 exec_lo, exec_lo, s11
.LBB2_1816:                             ;   in Loop: Header=BB2_1620 Depth=2
	s_delay_alu instid0(SALU_CYCLE_1) | instskip(SKIP_3) | instid1(VALU_DEP_1)
	s_or_b32 exec_lo, exec_lo, s10
	v_lshrrev_b32_e32 v30, 16, v11
	s_mov_b32 s11, 0
	s_mov_b32 s10, exec_lo
	v_and_b32_e32 v87, 0xff, v30
	s_delay_alu instid0(VALU_DEP_1)
	v_cmpx_lt_i16_e32 0x7f, v87
	s_xor_b32 s10, exec_lo, s10
	s_cbranch_execz .LBB2_1821
; %bb.1817:                             ;   in Loop: Header=BB2_1620 Depth=2
	s_mov_b32 s11, -1
	s_mov_b32 s28, exec_lo
	v_cmpx_eq_u16_e32 0x80, v87
; %bb.1818:                             ;   in Loop: Header=BB2_1620 Depth=2
	s_xor_b32 s11, exec_lo, -1
; %bb.1819:                             ;   in Loop: Header=BB2_1620 Depth=2
	s_or_b32 exec_lo, exec_lo, s28
	s_delay_alu instid0(SALU_CYCLE_1)
	s_and_b32 s11, s11, exec_lo
                                        ; implicit-def: $vgpr87
	s_or_saveexec_b32 s10, s10
	v_bfrev_b32_e32 v86, 1
	s_xor_b32 exec_lo, exec_lo, s10
	s_cbranch_execnz .LBB2_1822
.LBB2_1820:                             ;   in Loop: Header=BB2_1620 Depth=2
	s_or_b32 exec_lo, exec_lo, s10
	s_and_saveexec_b32 s10, s11
	s_cbranch_execnz .LBB2_1823
	s_branch .LBB2_1826
.LBB2_1821:                             ;   in Loop: Header=BB2_1620 Depth=2
	s_or_saveexec_b32 s10, s10
	v_bfrev_b32_e32 v86, 1
	s_xor_b32 exec_lo, exec_lo, s10
	s_cbranch_execz .LBB2_1820
.LBB2_1822:                             ;   in Loop: Header=BB2_1620 Depth=2
	v_cmp_ne_u16_e64 s7, 0, v87
	v_mov_b32_e32 v86, 0
	s_and_not1_b32 s11, s11, exec_lo
	s_and_b32 s7, s7, exec_lo
	s_delay_alu instid0(SALU_CYCLE_1)
	s_or_b32 s11, s11, s7
	s_or_b32 exec_lo, exec_lo, s10
	s_and_saveexec_b32 s10, s11
	s_cbranch_execz .LBB2_1826
.LBB2_1823:                             ;   in Loop: Header=BB2_1620 Depth=2
	v_and_b32_e32 v87, 0x7f, v30
	v_mov_b32_e32 v86, 0x7f800001
	s_mov_b32 s11, exec_lo
	s_delay_alu instid0(VALU_DEP_2)
	v_cmpx_ne_u32_e32 0x7f, v87
	s_cbranch_execz .LBB2_1825
; %bb.1824:                             ;   in Loop: Header=BB2_1620 Depth=2
	v_and_b32_e32 v86, 7, v30
	v_cmp_gt_u32_e64 s7, 8, v87
	s_delay_alu instid0(VALU_DEP_2) | instskip(NEXT) | instid1(VALU_DEP_1)
	v_clz_i32_u32_e32 v96, v86
	v_min_u32_e32 v42, 32, v96
	s_delay_alu instid0(VALU_DEP_1) | instskip(NEXT) | instid1(VALU_DEP_1)
	v_subrev_nc_u32_e32 v96, 28, v42
	v_lshlrev_b64_e32 v[96:97], v96, v[30:31]
	v_dual_lshrrev_b32 v97, 3, v87 :: v_dual_sub_nc_u32 v42, 29, v42
	s_delay_alu instid0(VALU_DEP_2) | instskip(NEXT) | instid1(VALU_DEP_1)
	v_dual_lshlrev_b32 v30, 24, v30 :: v_dual_bitop2_b32 v87, 7, v96 bitop3:0x40
	v_dual_cndmask_b32 v96, v97, v42, s7 :: v_dual_cndmask_b32 v86, v86, v87, s7
	s_delay_alu instid0(VALU_DEP_2) | instskip(NEXT) | instid1(VALU_DEP_2)
	v_and_b32_e32 v30, 0x80000000, v30
	v_lshl_add_u32 v87, v96, 23, 0x3c000000
	s_delay_alu instid0(VALU_DEP_3) | instskip(NEXT) | instid1(VALU_DEP_1)
	v_lshlrev_b32_e32 v86, 20, v86
	v_or3_b32 v86, v86, v30, v87
.LBB2_1825:                             ;   in Loop: Header=BB2_1620 Depth=2
	s_or_b32 exec_lo, exec_lo, s11
.LBB2_1826:                             ;   in Loop: Header=BB2_1620 Depth=2
	s_delay_alu instid0(SALU_CYCLE_1) | instskip(NEXT) | instid1(VALU_DEP_1)
	s_or_b32 exec_lo, exec_lo, s10
	v_mul_f32_e32 v86, v38, v86
                                        ; implicit-def: $vgpr30
	s_mov_b32 s10, exec_lo
	s_delay_alu instid0(VALU_DEP_1) | instskip(SKIP_1) | instid1(VALU_DEP_2)
	v_and_b32_e32 v38, 0x7f800000, v86
	v_lshrrev_b32_e32 v87, 24, v86
	v_cmpx_ne_u64_e32 0x7f800000, v[38:39]
	s_xor_b32 s11, exec_lo, s10
	s_cbranch_execz .LBB2_1840
; %bb.1827:                             ;   in Loop: Header=BB2_1620 Depth=2
	v_and_b32_e32 v38, 0x7fffffff, v86
	v_and_b32_e32 v42, 0x80, v87
                                        ; implicit-def: $vgpr30
	s_mov_b32 s10, exec_lo
	s_delay_alu instid0(VALU_DEP_2)
	v_cmpx_gt_u64_e32 0x43e00001, v[38:39]
	s_xor_b32 s28, exec_lo, s10
	s_cbranch_execz .LBB2_1837
; %bb.1828:                             ;   in Loop: Header=BB2_1620 Depth=2
	v_mov_b32_e32 v30, 0
	s_mov_b32 s29, exec_lo
	v_cmpx_ne_u32_e32 0, v86
	s_cbranch_execz .LBB2_1836
; %bb.1829:                             ;   in Loop: Header=BB2_1620 Depth=2
	v_bfe_u32 v30, v86, 23, 8
	s_delay_alu instid0(VALU_DEP_1) | instskip(SKIP_1) | instid1(VALU_DEP_1)
	v_sub_nc_u32_e32 v38, 0x79, v30
	v_cmp_gt_u32_e64 s7, 0x7a, v30
	v_cndmask_b32_e64 v38, 0, v38, s7
	v_cmp_eq_u32_e64 s7, 0, v30
	s_delay_alu instid0(VALU_DEP_1) | instskip(SKIP_1) | instid1(VALU_DEP_2)
	v_cndmask_b32_e64 v43, v38, 0x78, s7
	v_and_b32_e32 v38, 0x7fffff, v86
	v_add_nc_u32_e32 v86, 20, v43
	s_delay_alu instid0(VALU_DEP_2) | instskip(SKIP_1) | instid1(VALU_DEP_3)
	v_or_b32_e32 v96, 0x800000, v38
	v_add_nc_u32_e32 v97, 19, v43
	v_lshlrev_b64_e64 v[86:87], v86, -1
	s_delay_alu instid0(VALU_DEP_3) | instskip(NEXT) | instid1(VALU_DEP_3)
	v_cndmask_b32_e64 v38, v96, v38, s7
	v_lshlrev_b64_e64 v[96:97], v97, 1
	s_delay_alu instid0(VALU_DEP_3) | instskip(NEXT) | instid1(VALU_DEP_3)
	v_bfi_b32 v45, v87, 0, 0
	v_bfi_b32 v44, v86, 0, v38
	v_lshrrev_b64 v[86:87], v43, v[38:39]
	s_delay_alu instid0(VALU_DEP_2) | instskip(NEXT) | instid1(VALU_DEP_2)
	v_cmp_eq_u64_e64 s10, v[44:45], v[96:97]
	v_mov_b64_e32 v[96:97], v[86:87]
	s_and_saveexec_b32 s40, s10
; %bb.1830:                             ;   in Loop: Header=BB2_1620 Depth=2
	v_bfe_u32 v38, v86, 20, 1
	s_delay_alu instid0(VALU_DEP_1) | instskip(NEXT) | instid1(VALU_DEP_1)
	v_add_nc_u64_e32 v[96:97], v[86:87], v[38:39]
	v_add_nc_u64_e32 v[96:97], -1, v[96:97]
; %bb.1831:                             ;   in Loop: Header=BB2_1620 Depth=2
	s_or_b32 exec_lo, exec_lo, s40
	v_add_nc_u32_e32 v30, 0xffffff81, v30
	v_lshrrev_b32_e32 v38, 23, v86
	s_mov_b32 s10, exec_lo
	s_delay_alu instid0(VALU_DEP_2) | instskip(NEXT) | instid1(VALU_DEP_1)
	v_cndmask_b32_e64 v30, v30, 0xffffff82, s7
	v_add3_u32 v97, v43, v30, v38
	v_and_b32_e32 v30, 0xfffff, v96
	s_delay_alu instid0(VALU_DEP_1) | instskip(NEXT) | instid1(VALU_DEP_1)
	v_dual_add_nc_u32 v96, 6, v97 :: v_dual_add_nc_u32 v38, v30, v86
                                        ; implicit-def: $vgpr86_vgpr87
                                        ; implicit-def: $vgpr30
	v_cmpx_ne_u32_e32 0, v96
	s_xor_b32 s10, exec_lo, s10
; %bb.1832:                             ;   in Loop: Header=BB2_1620 Depth=2
	s_delay_alu instid0(VALU_DEP_2) | instskip(SKIP_1) | instid1(VALU_DEP_2)
	v_cmp_lt_u64_e64 s7, 0xffffff, v[38:39]
	v_add_nc_u32_e32 v30, 7, v97
	v_cndmask_b32_e64 v86, 0, 1, s7
	s_delay_alu instid0(VALU_DEP_2) | instskip(NEXT) | instid1(VALU_DEP_2)
	v_cndmask_b32_e64 v30, v96, v30, s7
	v_lshrrev_b64 v[86:87], v86, v[38:39]
; %bb.1833:                             ;   in Loop: Header=BB2_1620 Depth=2
	s_and_not1_saveexec_b32 s7, s10
; %bb.1834:                             ;   in Loop: Header=BB2_1620 Depth=2
	v_mov_b64_e32 v[86:87], v[38:39]
	v_bfe_u32 v30, v38, 23, 1
; %bb.1835:                             ;   in Loop: Header=BB2_1620 Depth=2
	s_or_b32 exec_lo, exec_lo, s7
	s_delay_alu instid0(VALU_DEP_2) | instskip(NEXT) | instid1(VALU_DEP_2)
	v_lshrrev_b64 v[86:87], 20, v[86:87]
	v_cmp_gt_i32_e64 s7, 16, v30
	v_min_i32_e32 v38, 15, v30
	v_cmp_eq_u32_e64 s10, 0, v30
	s_delay_alu instid0(VALU_DEP_2) | instskip(SKIP_1) | instid1(VALU_DEP_2)
	v_dual_cndmask_b32 v87, 0, v87, s7 :: v_dual_lshlrev_b32 v38, 3, v38
	v_cndmask_b32_e64 v86, 7, v86, s7
	v_and_b32_e32 v38, 0xf8, v38
	s_delay_alu instid0(VALU_DEP_2) | instskip(NEXT) | instid1(VALU_DEP_2)
	v_cmp_eq_u64_e64 s7, 0, v[86:87]
	v_and_or_b32 v30, v86, 7, v38
	s_and_b32 s7, s10, s7
	s_delay_alu instid0(VALU_DEP_1) | instid1(SALU_CYCLE_1)
	v_cndmask_b32_e64 v30, v30, 0, s7
	s_delay_alu instid0(VALU_DEP_1)
	v_or_b32_e32 v30, v30, v42
.LBB2_1836:                             ;   in Loop: Header=BB2_1620 Depth=2
	s_or_b32 exec_lo, exec_lo, s29
                                        ; implicit-def: $vgpr42
.LBB2_1837:                             ;   in Loop: Header=BB2_1620 Depth=2
	s_and_not1_saveexec_b32 s7, s28
; %bb.1838:                             ;   in Loop: Header=BB2_1620 Depth=2
	v_or_b32_e32 v30, 0x7e, v42
; %bb.1839:                             ;   in Loop: Header=BB2_1620 Depth=2
	s_or_b32 exec_lo, exec_lo, s7
                                        ; implicit-def: $vgpr87
.LBB2_1840:                             ;   in Loop: Header=BB2_1620 Depth=2
	s_and_not1_saveexec_b32 s7, s11
; %bb.1841:                             ;   in Loop: Header=BB2_1620 Depth=2
	v_or_b32_e32 v30, 0x7f, v87
; %bb.1842:                             ;   in Loop: Header=BB2_1620 Depth=2
	s_or_b32 exec_lo, exec_lo, s7
	v_mov_b32_e32 v38, 0
	s_mov_b32 s10, exec_lo
	v_cmpx_lt_u64_e64 s[12:13], v[14:15]
	s_cbranch_execz .LBB2_1850
; %bb.1843:                             ;   in Loop: Header=BB2_1620 Depth=2
	v_lshrrev_b32_e32 v14, 24, v15
	v_bfrev_b32_e32 v38, 1
	s_mov_b32 s11, exec_lo
	s_delay_alu instid0(VALU_DEP_2)
	v_cmpx_ne_u32_e32 0x80, v14
	s_cbranch_execz .LBB2_1849
; %bb.1844:                             ;   in Loop: Header=BB2_1620 Depth=2
	v_bfe_u32 v86, v15, 24, 7
	v_mov_b32_e32 v38, 0x7f800001
	s_mov_b32 s28, exec_lo
	s_delay_alu instid0(VALU_DEP_2)
	v_cmpx_ne_u32_e32 0x7f, v86
	s_cbranch_execz .LBB2_1848
; %bb.1845:                             ;   in Loop: Header=BB2_1620 Depth=2
	v_and_b32_e32 v38, 7, v14
	v_lshrrev_b32_e32 v15, 3, v86
	s_mov_b32 s29, exec_lo
	v_cmpx_gt_u32_e32 8, v86
; %bb.1846:                             ;   in Loop: Header=BB2_1620 Depth=2
	s_delay_alu instid0(VALU_DEP_3) | instskip(NEXT) | instid1(VALU_DEP_1)
	v_clz_i32_u32_e32 v15, v38
	v_min_u32_e32 v15, 32, v15
	s_delay_alu instid0(VALU_DEP_1) | instskip(NEXT) | instid1(VALU_DEP_1)
	v_subrev_nc_u32_e32 v86, 28, v15
	v_lshlrev_b64_e32 v[86:87], v86, v[38:39]
	s_delay_alu instid0(VALU_DEP_1)
	v_dual_sub_nc_u32 v15, 29, v15 :: v_dual_bitop2_b32 v38, 7, v86 bitop3:0x40
; %bb.1847:                             ;   in Loop: Header=BB2_1620 Depth=2
	s_or_b32 exec_lo, exec_lo, s29
	v_lshlrev_b32_e32 v14, 24, v14
	s_delay_alu instid0(VALU_DEP_2) | instskip(NEXT) | instid1(VALU_DEP_3)
	v_lshlrev_b32_e32 v38, 20, v38
	v_lshl_add_u32 v15, v15, 23, 0x3c000000
	s_delay_alu instid0(VALU_DEP_3) | instskip(NEXT) | instid1(VALU_DEP_1)
	v_and_b32_e32 v14, 0x80000000, v14
	v_or3_b32 v38, v38, v14, v15
.LBB2_1848:                             ;   in Loop: Header=BB2_1620 Depth=2
	s_or_b32 exec_lo, exec_lo, s28
.LBB2_1849:                             ;   in Loop: Header=BB2_1620 Depth=2
	s_delay_alu instid0(SALU_CYCLE_1)
	s_or_b32 exec_lo, exec_lo, s11
.LBB2_1850:                             ;   in Loop: Header=BB2_1620 Depth=2
	s_delay_alu instid0(SALU_CYCLE_1) | instskip(SKIP_3) | instid1(VALU_DEP_3)
	s_or_b32 exec_lo, exec_lo, s10
	v_lshrrev_b32_e32 v14, 24, v11
	v_bfe_u32 v15, v11, 24, 7
	v_cmp_gt_u64_e64 s11, s[14:15], v[10:11]
	v_cmp_eq_u32_e64 s10, 0x80, v14
	s_delay_alu instid0(VALU_DEP_3) | instskip(NEXT) | instid1(VALU_DEP_2)
	v_cmp_eq_u32_e64 s7, 0x7f, v15
	v_cndmask_b32_e64 v86, 0x7f800001, v103, s10
	s_or_b32 s7, s10, s7
	s_delay_alu instid0(SALU_CYCLE_1) | instskip(NEXT) | instid1(VALU_DEP_1)
	s_nor_b32 s7, s11, s7
	v_cndmask_b32_e64 v10, v86, 0, s11
	s_and_saveexec_b32 s10, s7
	s_cbranch_execz .LBB2_1852
; %bb.1851:                             ;   in Loop: Header=BB2_1620 Depth=2
	v_and_b32_e32 v86, 7, v14
	v_cmp_gt_u32_e64 s7, 8, v15
	s_delay_alu instid0(VALU_DEP_2) | instskip(NEXT) | instid1(VALU_DEP_1)
	v_clz_i32_u32_e32 v10, v86
	v_min_u32_e32 v87, 32, v10
	s_delay_alu instid0(VALU_DEP_1) | instskip(NEXT) | instid1(VALU_DEP_1)
	v_subrev_nc_u32_e32 v10, 28, v87
	v_lshlrev_b64_e32 v[10:11], v10, v[14:15]
	v_lshrrev_b32_e32 v11, 3, v15
	s_delay_alu instid0(VALU_DEP_2) | instskip(NEXT) | instid1(VALU_DEP_1)
	v_dual_sub_nc_u32 v87, 29, v87 :: v_dual_bitop2_b32 v10, 7, v10 bitop3:0x40
	v_dual_lshlrev_b32 v14, 24, v14 :: v_dual_cndmask_b32 v11, v11, v87, s7
	s_delay_alu instid0(VALU_DEP_2) | instskip(NEXT) | instid1(VALU_DEP_2)
	v_cndmask_b32_e64 v10, v86, v10, s7
	v_and_b32_e32 v14, 0x80000000, v14
	s_delay_alu instid0(VALU_DEP_3) | instskip(NEXT) | instid1(VALU_DEP_3)
	v_lshl_add_u32 v11, v11, 23, 0x3c000000
	v_lshlrev_b32_e32 v10, 20, v10
	s_delay_alu instid0(VALU_DEP_1)
	v_or3_b32 v10, v10, v14, v11
.LBB2_1852:                             ;   in Loop: Header=BB2_1620 Depth=2
	s_or_b32 exec_lo, exec_lo, s10
	s_delay_alu instid0(VALU_DEP_1) | instskip(SKIP_1) | instid1(VALU_DEP_1)
	v_mul_f32_e32 v10, v38, v10
                                        ; implicit-def: $vgpr96
	s_mov_b32 s10, exec_lo
	v_and_b32_e32 v38, 0x7f800000, v10
	v_lshrrev_b32_e32 v11, 24, v10
	s_delay_alu instid0(VALU_DEP_2)
	v_cmpx_ne_u64_e32 0x7f800000, v[38:39]
	s_xor_b32 s11, exec_lo, s10
	s_cbranch_execz .LBB2_1866
; %bb.1853:                             ;   in Loop: Header=BB2_1620 Depth=2
	v_and_b32_e32 v38, 0x7fffffff, v10
	v_and_b32_e32 v86, 0x80, v11
                                        ; implicit-def: $vgpr96
	s_mov_b32 s10, exec_lo
	s_delay_alu instid0(VALU_DEP_2)
	v_cmpx_gt_u64_e32 0x43e00001, v[38:39]
	s_xor_b32 s28, exec_lo, s10
	s_cbranch_execz .LBB2_1863
; %bb.1854:                             ;   in Loop: Header=BB2_1620 Depth=2
	v_mov_b32_e32 v96, 0
	s_mov_b32 s29, exec_lo
	v_cmpx_ne_u32_e32 0, v10
	s_cbranch_execz .LBB2_1862
; %bb.1855:                             ;   in Loop: Header=BB2_1620 Depth=2
	v_bfe_u32 v87, v10, 23, 8
	v_and_b32_e32 v14, 0x7fffff, v10
	s_delay_alu instid0(VALU_DEP_2) | instskip(SKIP_1) | instid1(VALU_DEP_3)
	v_sub_nc_u32_e32 v11, 0x79, v87
	v_cmp_gt_u32_e64 s7, 0x7a, v87
	v_or_b32_e32 v15, 0x800000, v14
	s_delay_alu instid0(VALU_DEP_2) | instskip(SKIP_1) | instid1(VALU_DEP_1)
	v_cndmask_b32_e64 v11, 0, v11, s7
	v_cmp_eq_u32_e64 s7, 0, v87
	v_cndmask_b32_e64 v96, v11, 0x78, s7
	s_delay_alu instid0(VALU_DEP_1) | instskip(SKIP_1) | instid1(VALU_DEP_2)
	v_dual_cndmask_b32 v38, v15, v14, s7 :: v_dual_add_nc_u32 v97, 19, v96
	v_add_nc_u32_e32 v10, 20, v96
	v_lshlrev_b64_e64 v[14:15], v97, 1
	s_delay_alu instid0(VALU_DEP_2) | instskip(NEXT) | instid1(VALU_DEP_1)
	v_lshlrev_b64_e64 v[10:11], v10, -1
	v_bfi_b32 v43, v11, 0, 0
	s_delay_alu instid0(VALU_DEP_2) | instskip(SKIP_1) | instid1(VALU_DEP_2)
	v_bfi_b32 v42, v10, 0, v38
	v_lshrrev_b64 v[10:11], v96, v[38:39]
	v_cmp_eq_u64_e64 s10, v[42:43], v[14:15]
	s_delay_alu instid0(VALU_DEP_2)
	v_mov_b64_e32 v[14:15], v[10:11]
	s_and_saveexec_b32 s40, s10
; %bb.1856:                             ;   in Loop: Header=BB2_1620 Depth=2
	v_bfe_u32 v38, v10, 20, 1
	s_delay_alu instid0(VALU_DEP_1) | instskip(NEXT) | instid1(VALU_DEP_1)
	v_add_nc_u64_e32 v[14:15], v[10:11], v[38:39]
	v_add_nc_u64_e32 v[14:15], -1, v[14:15]
; %bb.1857:                             ;   in Loop: Header=BB2_1620 Depth=2
	s_or_b32 exec_lo, exec_lo, s40
	v_add_nc_u32_e32 v11, 0xffffff81, v87
	v_lshrrev_b32_e32 v15, 23, v10
	s_mov_b32 s10, exec_lo
	s_delay_alu instid0(VALU_DEP_2) | instskip(NEXT) | instid1(VALU_DEP_1)
	v_cndmask_b32_e64 v11, v11, 0xffffff82, s7
	v_add3_u32 v15, v96, v11, v15
	v_and_b32_e32 v11, 0xfffff, v14
                                        ; implicit-def: $vgpr14
	s_delay_alu instid0(VALU_DEP_1) | instskip(NEXT) | instid1(VALU_DEP_1)
	v_dual_add_nc_u32 v87, 6, v15 :: v_dual_add_nc_u32 v38, v11, v10
                                        ; implicit-def: $vgpr10_vgpr11
	v_cmpx_ne_u32_e32 0, v87
	s_xor_b32 s10, exec_lo, s10
; %bb.1858:                             ;   in Loop: Header=BB2_1620 Depth=2
	s_delay_alu instid0(VALU_DEP_2) | instskip(SKIP_1) | instid1(VALU_DEP_1)
	v_cmp_lt_u64_e64 s7, 0xffffff, v[38:39]
	v_add_nc_u32_e32 v10, 7, v15
	v_cndmask_b32_e64 v14, v87, v10, s7
	v_cndmask_b32_e64 v10, 0, 1, s7
	s_delay_alu instid0(VALU_DEP_1)
	v_lshrrev_b64 v[10:11], v10, v[38:39]
; %bb.1859:                             ;   in Loop: Header=BB2_1620 Depth=2
	s_and_not1_saveexec_b32 s7, s10
; %bb.1860:                             ;   in Loop: Header=BB2_1620 Depth=2
	v_mov_b64_e32 v[10:11], v[38:39]
	v_bfe_u32 v14, v38, 23, 1
; %bb.1861:                             ;   in Loop: Header=BB2_1620 Depth=2
	s_or_b32 exec_lo, exec_lo, s7
	s_delay_alu instid0(VALU_DEP_2) | instskip(NEXT) | instid1(VALU_DEP_2)
	v_lshrrev_b64 v[10:11], 20, v[10:11]
	v_cmp_gt_i32_e64 s7, 16, v14
	v_min_i32_e32 v15, 15, v14
	v_cmp_eq_u32_e64 s10, 0, v14
	s_delay_alu instid0(VALU_DEP_3) | instskip(NEXT) | instid1(VALU_DEP_3)
	v_cndmask_b32_e64 v11, 0, v11, s7
	v_dual_lshlrev_b32 v15, 3, v15 :: v_dual_cndmask_b32 v10, 7, v10, s7
	s_delay_alu instid0(VALU_DEP_1) | instskip(NEXT) | instid1(VALU_DEP_2)
	v_and_b32_e32 v15, 0xf8, v15
	v_cmp_eq_u64_e64 s7, 0, v[10:11]
	s_delay_alu instid0(VALU_DEP_2)
	v_and_or_b32 v10, v10, 7, v15
	s_and_b32 s7, s10, s7
	s_delay_alu instid0(VALU_DEP_1) | instid1(SALU_CYCLE_1)
	v_cndmask_b32_e64 v10, v10, 0, s7
	s_delay_alu instid0(VALU_DEP_1)
	v_or_b32_e32 v96, v10, v86
.LBB2_1862:                             ;   in Loop: Header=BB2_1620 Depth=2
	s_or_b32 exec_lo, exec_lo, s29
                                        ; implicit-def: $vgpr86
.LBB2_1863:                             ;   in Loop: Header=BB2_1620 Depth=2
	s_and_not1_saveexec_b32 s7, s28
; %bb.1864:                             ;   in Loop: Header=BB2_1620 Depth=2
	v_or_b32_e32 v96, 0x7e, v86
; %bb.1865:                             ;   in Loop: Header=BB2_1620 Depth=2
	s_or_b32 exec_lo, exec_lo, s7
                                        ; implicit-def: $vgpr11
.LBB2_1866:                             ;   in Loop: Header=BB2_1620 Depth=2
	s_and_not1_saveexec_b32 s7, s11
; %bb.1867:                             ;   in Loop: Header=BB2_1620 Depth=2
	v_or_b32_e32 v96, 0x7f, v11
; %bb.1868:                             ;   in Loop: Header=BB2_1620 Depth=2
	s_or_b32 exec_lo, exec_lo, s7
	v_and_b32_e32 v11, 0xff, v16
	v_mov_b32_e32 v10, 0
	s_mov_b32 s10, exec_lo
	s_delay_alu instid0(VALU_DEP_2)
	v_cmpx_ne_u16_e32 0, v11
	s_cbranch_execz .LBB2_1874
; %bb.1869:                             ;   in Loop: Header=BB2_1620 Depth=2
	v_bfrev_b32_e32 v10, 1
	s_mov_b32 s11, exec_lo
	v_cmpx_ne_u16_e32 0x80, v11
	s_cbranch_execz .LBB2_1873
; %bb.1870:                             ;   in Loop: Header=BB2_1620 Depth=2
	v_and_b32_e32 v11, 0x7f, v16
	v_mov_b32_e32 v10, 0x7f800001
	s_mov_b32 s28, exec_lo
	s_delay_alu instid0(VALU_DEP_2)
	v_cmpx_ne_u32_e32 0x7f, v11
	s_cbranch_execz .LBB2_1872
; %bb.1871:                             ;   in Loop: Header=BB2_1620 Depth=2
	v_dual_lshrrev_b32 v14, 3, v11 :: v_dual_bitop2_b32 v10, 7, v16 bitop3:0x40
	v_cmp_gt_u32_e64 s7, 8, v11
	s_delay_alu instid0(VALU_DEP_2) | instskip(NEXT) | instid1(VALU_DEP_1)
	v_clz_i32_u32_e32 v10, v10
	v_min_u32_e32 v10, 32, v10
	s_delay_alu instid0(VALU_DEP_1) | instskip(SKIP_1) | instid1(VALU_DEP_1)
	v_subrev_nc_u32_e32 v15, 28, v10
	v_sub_nc_u32_e32 v10, 29, v10
	v_dual_cndmask_b32 v14, v14, v10, s7 :: v_dual_cndmask_b32 v10, 0, v15, s7
	s_delay_alu instid0(VALU_DEP_1) | instskip(NEXT) | instid1(VALU_DEP_2)
	v_lshl_add_u32 v14, v14, 23, 0x3c000000
	v_lshlrev_b64_e32 v[10:11], v10, v[16:17]
	v_lshlrev_b32_e32 v11, 24, v16
	s_delay_alu instid0(VALU_DEP_1) | instskip(NEXT) | instid1(VALU_DEP_3)
	v_and_b32_e32 v11, 0x80000000, v11
	v_lshlrev_b32_e32 v10, 20, v10
	s_delay_alu instid0(VALU_DEP_1) | instskip(NEXT) | instid1(VALU_DEP_1)
	v_and_b32_e32 v10, 0x700000, v10
	v_or3_b32 v10, v10, v11, v14
.LBB2_1872:                             ;   in Loop: Header=BB2_1620 Depth=2
	s_or_b32 exec_lo, exec_lo, s28
.LBB2_1873:                             ;   in Loop: Header=BB2_1620 Depth=2
	s_delay_alu instid0(SALU_CYCLE_1)
	s_or_b32 exec_lo, exec_lo, s11
.LBB2_1874:                             ;   in Loop: Header=BB2_1620 Depth=2
	s_delay_alu instid0(SALU_CYCLE_1) | instskip(SKIP_3) | instid1(VALU_DEP_1)
	s_or_b32 exec_lo, exec_lo, s10
	v_and_b32_e32 v14, 0xff, v12
	s_mov_b32 s10, 0
	s_mov_b32 s11, exec_lo
	v_cmpx_lt_i16_e32 0x7f, v14
	s_xor_b32 s11, exec_lo, s11
	s_cbranch_execz .LBB2_1909
; %bb.1875:                             ;   in Loop: Header=BB2_1620 Depth=2
	s_mov_b32 s10, -1
	s_mov_b32 s28, exec_lo
	v_cmpx_eq_u16_e32 0x80, v14
; %bb.1876:                             ;   in Loop: Header=BB2_1620 Depth=2
	s_xor_b32 s10, exec_lo, -1
; %bb.1877:                             ;   in Loop: Header=BB2_1620 Depth=2
	s_or_b32 exec_lo, exec_lo, s28
	s_delay_alu instid0(SALU_CYCLE_1)
	s_and_b32 s10, s10, exec_lo
                                        ; implicit-def: $vgpr14
	s_or_saveexec_b32 s11, s11
	v_bfrev_b32_e32 v11, 1
	s_xor_b32 exec_lo, exec_lo, s11
	s_cbranch_execnz .LBB2_1910
.LBB2_1878:                             ;   in Loop: Header=BB2_1620 Depth=2
	s_or_b32 exec_lo, exec_lo, s11
	s_and_saveexec_b32 s11, s10
	s_cbranch_execz .LBB2_1880
.LBB2_1879:                             ;   in Loop: Header=BB2_1620 Depth=2
	v_and_b32_e32 v38, 0x7f, v12
	v_bfe_u32 v14, v12, 3, 4
	s_delay_alu instid0(VALU_DEP_2) | instskip(SKIP_1) | instid1(VALU_DEP_1)
	v_cmp_gt_u32_e64 s7, 8, v38
	v_and_b32_e32 v11, 7, v12
	v_clz_i32_u32_e32 v11, v11
	s_delay_alu instid0(VALU_DEP_1) | instskip(NEXT) | instid1(VALU_DEP_1)
	v_min_u32_e32 v11, 32, v11
	v_subrev_nc_u32_e32 v15, 28, v11
	v_sub_nc_u32_e32 v11, 29, v11
	s_delay_alu instid0(VALU_DEP_1) | instskip(NEXT) | instid1(VALU_DEP_3)
	v_cndmask_b32_e64 v11, v14, v11, s7
	v_cndmask_b32_e64 v14, 0, v15, s7
	v_cmp_ne_u32_e64 s7, 0x7f, v38
	s_delay_alu instid0(VALU_DEP_2) | instskip(SKIP_1) | instid1(VALU_DEP_1)
	v_lshlrev_b64_e32 v[14:15], v14, v[12:13]
	v_lshlrev_b32_e32 v15, 24, v12
	v_and_b32_e32 v15, 0x80000000, v15
	s_delay_alu instid0(VALU_DEP_3) | instskip(SKIP_1) | instid1(VALU_DEP_2)
	v_lshlrev_b32_e32 v14, 20, v14
	v_lshl_add_u32 v11, v11, 23, 0x3c000000
	v_and_b32_e32 v14, 0x700000, v14
	s_delay_alu instid0(VALU_DEP_1) | instskip(NEXT) | instid1(VALU_DEP_1)
	v_or3_b32 v11, v14, v15, v11
	v_cndmask_b32_e64 v11, 0x7f800001, v11, s7
.LBB2_1880:                             ;   in Loop: Header=BB2_1620 Depth=2
	s_or_b32 exec_lo, exec_lo, s11
	s_delay_alu instid0(VALU_DEP_1) | instskip(SKIP_1) | instid1(VALU_DEP_1)
	v_mul_f32_e32 v10, v10, v11
                                        ; implicit-def: $vgpr97
	s_mov_b32 s10, exec_lo
	v_and_b32_e32 v38, 0x7f800000, v10
	v_lshrrev_b32_e32 v11, 24, v10
	s_delay_alu instid0(VALU_DEP_2)
	v_cmpx_ne_u64_e32 0x7f800000, v[38:39]
	s_xor_b32 s11, exec_lo, s10
	s_cbranch_execz .LBB2_1894
; %bb.1881:                             ;   in Loop: Header=BB2_1620 Depth=2
	v_and_b32_e32 v38, 0x7fffffff, v10
	v_and_b32_e32 v86, 0x80, v11
                                        ; implicit-def: $vgpr97
	s_mov_b32 s10, exec_lo
	s_delay_alu instid0(VALU_DEP_2)
	v_cmpx_gt_u64_e32 0x43e00001, v[38:39]
	s_xor_b32 s28, exec_lo, s10
	s_cbranch_execz .LBB2_1891
; %bb.1882:                             ;   in Loop: Header=BB2_1620 Depth=2
	v_mov_b32_e32 v97, 0
	s_mov_b32 s29, exec_lo
	v_cmpx_ne_u32_e32 0, v10
	s_cbranch_execz .LBB2_1890
; %bb.1883:                             ;   in Loop: Header=BB2_1620 Depth=2
	v_bfe_u32 v87, v10, 23, 8
	v_and_b32_e32 v14, 0x7fffff, v10
	s_delay_alu instid0(VALU_DEP_2) | instskip(SKIP_1) | instid1(VALU_DEP_3)
	v_sub_nc_u32_e32 v11, 0x79, v87
	v_cmp_gt_u32_e64 s7, 0x7a, v87
	v_or_b32_e32 v15, 0x800000, v14
	s_delay_alu instid0(VALU_DEP_2) | instskip(SKIP_1) | instid1(VALU_DEP_1)
	v_cndmask_b32_e64 v11, 0, v11, s7
	v_cmp_eq_u32_e64 s7, 0, v87
	v_cndmask_b32_e64 v97, v11, 0x78, s7
	s_delay_alu instid0(VALU_DEP_1) | instskip(SKIP_1) | instid1(VALU_DEP_2)
	v_dual_cndmask_b32 v38, v15, v14, s7 :: v_dual_add_nc_u32 v42, 19, v97
	v_add_nc_u32_e32 v10, 20, v97
	v_lshlrev_b64_e64 v[14:15], v42, 1
	s_delay_alu instid0(VALU_DEP_2) | instskip(NEXT) | instid1(VALU_DEP_1)
	v_lshlrev_b64_e64 v[10:11], v10, -1
	v_bfi_b32 v43, v11, 0, 0
	s_delay_alu instid0(VALU_DEP_2) | instskip(SKIP_1) | instid1(VALU_DEP_2)
	v_bfi_b32 v42, v10, 0, v38
	v_lshrrev_b64 v[10:11], v97, v[38:39]
	v_cmp_eq_u64_e64 s10, v[42:43], v[14:15]
	s_delay_alu instid0(VALU_DEP_2)
	v_mov_b64_e32 v[14:15], v[10:11]
	s_and_saveexec_b32 s40, s10
; %bb.1884:                             ;   in Loop: Header=BB2_1620 Depth=2
	v_bfe_u32 v38, v10, 20, 1
	s_delay_alu instid0(VALU_DEP_1) | instskip(NEXT) | instid1(VALU_DEP_1)
	v_add_nc_u64_e32 v[14:15], v[10:11], v[38:39]
	v_add_nc_u64_e32 v[14:15], -1, v[14:15]
; %bb.1885:                             ;   in Loop: Header=BB2_1620 Depth=2
	s_or_b32 exec_lo, exec_lo, s40
	v_add_nc_u32_e32 v11, 0xffffff81, v87
	v_lshrrev_b32_e32 v15, 23, v10
	s_mov_b32 s10, exec_lo
	s_delay_alu instid0(VALU_DEP_2) | instskip(NEXT) | instid1(VALU_DEP_1)
	v_cndmask_b32_e64 v11, v11, 0xffffff82, s7
	v_add3_u32 v15, v97, v11, v15
	v_and_b32_e32 v11, 0xfffff, v14
                                        ; implicit-def: $vgpr14
	s_delay_alu instid0(VALU_DEP_1) | instskip(NEXT) | instid1(VALU_DEP_1)
	v_dual_add_nc_u32 v87, 6, v15 :: v_dual_add_nc_u32 v38, v11, v10
                                        ; implicit-def: $vgpr10_vgpr11
	v_cmpx_ne_u32_e32 0, v87
	s_xor_b32 s10, exec_lo, s10
; %bb.1886:                             ;   in Loop: Header=BB2_1620 Depth=2
	s_delay_alu instid0(VALU_DEP_2) | instskip(SKIP_1) | instid1(VALU_DEP_1)
	v_cmp_lt_u64_e64 s7, 0xffffff, v[38:39]
	v_add_nc_u32_e32 v10, 7, v15
	v_cndmask_b32_e64 v14, v87, v10, s7
	v_cndmask_b32_e64 v10, 0, 1, s7
	s_delay_alu instid0(VALU_DEP_1)
	v_lshrrev_b64 v[10:11], v10, v[38:39]
; %bb.1887:                             ;   in Loop: Header=BB2_1620 Depth=2
	s_and_not1_saveexec_b32 s7, s10
; %bb.1888:                             ;   in Loop: Header=BB2_1620 Depth=2
	v_mov_b64_e32 v[10:11], v[38:39]
	v_bfe_u32 v14, v38, 23, 1
; %bb.1889:                             ;   in Loop: Header=BB2_1620 Depth=2
	s_or_b32 exec_lo, exec_lo, s7
	s_delay_alu instid0(VALU_DEP_2) | instskip(NEXT) | instid1(VALU_DEP_2)
	v_lshrrev_b64 v[10:11], 20, v[10:11]
	v_cmp_gt_i32_e64 s7, 16, v14
	v_min_i32_e32 v15, 15, v14
	v_cmp_eq_u32_e64 s10, 0, v14
	s_delay_alu instid0(VALU_DEP_3) | instskip(NEXT) | instid1(VALU_DEP_3)
	v_cndmask_b32_e64 v11, 0, v11, s7
	v_dual_lshlrev_b32 v15, 3, v15 :: v_dual_cndmask_b32 v10, 7, v10, s7
	s_delay_alu instid0(VALU_DEP_1) | instskip(NEXT) | instid1(VALU_DEP_2)
	v_and_b32_e32 v15, 0xf8, v15
	v_cmp_eq_u64_e64 s7, 0, v[10:11]
	s_delay_alu instid0(VALU_DEP_2)
	v_and_or_b32 v10, v10, 7, v15
	s_and_b32 s7, s10, s7
	s_delay_alu instid0(VALU_DEP_1) | instid1(SALU_CYCLE_1)
	v_cndmask_b32_e64 v10, v10, 0, s7
	s_delay_alu instid0(VALU_DEP_1)
	v_or_b32_e32 v97, v10, v86
.LBB2_1890:                             ;   in Loop: Header=BB2_1620 Depth=2
	s_or_b32 exec_lo, exec_lo, s29
                                        ; implicit-def: $vgpr86
.LBB2_1891:                             ;   in Loop: Header=BB2_1620 Depth=2
	s_and_not1_saveexec_b32 s7, s28
; %bb.1892:                             ;   in Loop: Header=BB2_1620 Depth=2
	v_or_b32_e32 v97, 0x7e, v86
; %bb.1893:                             ;   in Loop: Header=BB2_1620 Depth=2
	s_or_b32 exec_lo, exec_lo, s7
                                        ; implicit-def: $vgpr11
.LBB2_1894:                             ;   in Loop: Header=BB2_1620 Depth=2
	s_and_not1_saveexec_b32 s7, s11
; %bb.1895:                             ;   in Loop: Header=BB2_1620 Depth=2
	v_or_b32_e32 v97, 0x7f, v11
; %bb.1896:                             ;   in Loop: Header=BB2_1620 Depth=2
	s_or_b32 exec_lo, exec_lo, s7
	v_lshrrev_b16 v10, 8, v16
	v_mov_b32_e32 v11, 0
	s_mov_b32 s10, exec_lo
	s_delay_alu instid0(VALU_DEP_2)
	v_cmpx_ne_u16_e32 0, v10
	s_cbranch_execz .LBB2_1904
; %bb.1897:                             ;   in Loop: Header=BB2_1620 Depth=2
	v_bfrev_b32_e32 v11, 1
	s_mov_b32 s11, exec_lo
	v_cmpx_ne_u16_e32 0x80, v10
	s_cbranch_execz .LBB2_1903
; %bb.1898:                             ;   in Loop: Header=BB2_1620 Depth=2
	v_and_b32_e32 v10, 0xffff, v10
	v_mov_b32_e32 v11, 0x7f800001
	s_mov_b32 s28, exec_lo
	s_delay_alu instid0(VALU_DEP_2) | instskip(NEXT) | instid1(VALU_DEP_1)
	v_and_b32_e32 v14, 0x7f, v10
	v_cmpx_ne_u32_e32 0x7f, v14
	s_cbranch_execz .LBB2_1902
; %bb.1899:                             ;   in Loop: Header=BB2_1620 Depth=2
	v_and_b32_e32 v38, 7, v10
	v_lshrrev_b32_e32 v10, 3, v14
	s_mov_b32 s29, exec_lo
	v_cmpx_gt_u32_e32 8, v14
; %bb.1900:                             ;   in Loop: Header=BB2_1620 Depth=2
	s_delay_alu instid0(VALU_DEP_3) | instskip(NEXT) | instid1(VALU_DEP_1)
	v_clz_i32_u32_e32 v10, v38
	v_min_u32_e32 v10, 32, v10
	s_delay_alu instid0(VALU_DEP_1) | instskip(SKIP_1) | instid1(VALU_DEP_2)
	v_subrev_nc_u32_e32 v11, 28, v10
	v_sub_nc_u32_e32 v10, 29, v10
	v_lshlrev_b64_e32 v[14:15], v11, v[38:39]
	s_delay_alu instid0(VALU_DEP_1)
	v_and_b32_e32 v38, 7, v14
; %bb.1901:                             ;   in Loop: Header=BB2_1620 Depth=2
	s_or_b32 exec_lo, exec_lo, s29
	s_delay_alu instid0(VALU_DEP_1) | instskip(SKIP_1) | instid1(VALU_DEP_2)
	v_dual_lshlrev_b32 v11, 16, v16 :: v_dual_lshlrev_b32 v14, 20, v38
	v_lshl_add_u32 v10, v10, 23, 0x3c000000
	v_and_b32_e32 v11, 0x80000000, v11
	s_delay_alu instid0(VALU_DEP_1)
	v_or3_b32 v11, v14, v11, v10
.LBB2_1902:                             ;   in Loop: Header=BB2_1620 Depth=2
	s_or_b32 exec_lo, exec_lo, s28
.LBB2_1903:                             ;   in Loop: Header=BB2_1620 Depth=2
	s_delay_alu instid0(SALU_CYCLE_1)
	s_or_b32 exec_lo, exec_lo, s11
.LBB2_1904:                             ;   in Loop: Header=BB2_1620 Depth=2
	s_delay_alu instid0(SALU_CYCLE_1) | instskip(SKIP_3) | instid1(VALU_DEP_1)
	s_or_b32 exec_lo, exec_lo, s10
	v_lshrrev_b16 v14, 8, v12
	s_mov_b32 s11, 0
	s_mov_b32 s10, exec_lo
	v_cmpx_lt_i16_e32 0x7f, v14
	s_xor_b32 s10, exec_lo, s10
	s_cbranch_execz .LBB2_1911
; %bb.1905:                             ;   in Loop: Header=BB2_1620 Depth=2
	s_mov_b32 s11, -1
	s_mov_b32 s28, exec_lo
	v_cmpx_eq_u16_e32 0x80, v14
; %bb.1906:                             ;   in Loop: Header=BB2_1620 Depth=2
	s_xor_b32 s11, exec_lo, -1
; %bb.1907:                             ;   in Loop: Header=BB2_1620 Depth=2
	s_or_b32 exec_lo, exec_lo, s28
	s_delay_alu instid0(SALU_CYCLE_1)
	s_and_b32 s11, s11, exec_lo
	s_or_saveexec_b32 s10, s10
	v_bfrev_b32_e32 v15, 1
	s_xor_b32 exec_lo, exec_lo, s10
	s_cbranch_execnz .LBB2_1912
.LBB2_1908:                             ;   in Loop: Header=BB2_1620 Depth=2
	s_or_b32 exec_lo, exec_lo, s10
	s_and_saveexec_b32 s10, s11
	s_cbranch_execnz .LBB2_1913
	s_branch .LBB2_1916
.LBB2_1909:                             ;   in Loop: Header=BB2_1620 Depth=2
	s_or_saveexec_b32 s11, s11
	v_bfrev_b32_e32 v11, 1
	s_xor_b32 exec_lo, exec_lo, s11
	s_cbranch_execz .LBB2_1878
.LBB2_1910:                             ;   in Loop: Header=BB2_1620 Depth=2
	v_cmp_ne_u16_e64 s7, 0, v14
	v_mov_b32_e32 v11, 0
	s_and_not1_b32 s10, s10, exec_lo
	s_and_b32 s7, s7, exec_lo
	s_delay_alu instid0(SALU_CYCLE_1)
	s_or_b32 s10, s10, s7
	s_or_b32 exec_lo, exec_lo, s11
	s_and_saveexec_b32 s11, s10
	s_cbranch_execnz .LBB2_1879
	s_branch .LBB2_1880
.LBB2_1911:                             ;   in Loop: Header=BB2_1620 Depth=2
	s_or_saveexec_b32 s10, s10
	v_bfrev_b32_e32 v15, 1
	s_xor_b32 exec_lo, exec_lo, s10
	s_cbranch_execz .LBB2_1908
.LBB2_1912:                             ;   in Loop: Header=BB2_1620 Depth=2
	v_cmp_ne_u16_e64 s7, 0, v14
	v_mov_b32_e32 v15, 0
	s_and_not1_b32 s11, s11, exec_lo
	s_and_b32 s7, s7, exec_lo
	s_delay_alu instid0(SALU_CYCLE_1)
	s_or_b32 s11, s11, s7
	s_or_b32 exec_lo, exec_lo, s10
	s_and_saveexec_b32 s10, s11
	s_cbranch_execz .LBB2_1916
.LBB2_1913:                             ;   in Loop: Header=BB2_1620 Depth=2
	v_and_b32_e32 v10, 0xffff, v14
	v_mov_b32_e32 v15, 0x7f800001
	s_mov_b32 s11, exec_lo
	s_delay_alu instid0(VALU_DEP_2) | instskip(NEXT) | instid1(VALU_DEP_1)
	v_and_b32_e32 v38, 0x7f, v10
	v_cmpx_ne_u32_e32 0x7f, v38
	s_cbranch_execz .LBB2_1915
; %bb.1914:                             ;   in Loop: Header=BB2_1620 Depth=2
	v_cmp_gt_u32_e64 s7, 8, v38
	v_and_b32_e32 v15, 7, v10
	v_lshlrev_b32_e32 v14, 24, v14
	s_delay_alu instid0(VALU_DEP_2) | instskip(NEXT) | instid1(VALU_DEP_2)
	v_clz_i32_u32_e32 v86, v15
	v_and_b32_e32 v14, 0x80000000, v14
	s_delay_alu instid0(VALU_DEP_2) | instskip(NEXT) | instid1(VALU_DEP_1)
	v_min_u32_e32 v42, 32, v86
	v_subrev_nc_u32_e32 v86, 28, v42
	s_delay_alu instid0(VALU_DEP_1) | instskip(SKIP_2) | instid1(VALU_DEP_1)
	v_lshlrev_b64_e32 v[86:87], v86, v[10:11]
	v_lshrrev_b32_e32 v10, 3, v38
	v_sub_nc_u32_e32 v87, 29, v42
	v_dual_cndmask_b32 v10, v10, v87, s7 :: v_dual_bitop2_b32 v38, 7, v86 bitop3:0x40
	s_delay_alu instid0(VALU_DEP_1) | instskip(NEXT) | instid1(VALU_DEP_2)
	v_lshl_add_u32 v10, v10, 23, 0x3c000000
	v_cndmask_b32_e64 v15, v15, v38, s7
	s_delay_alu instid0(VALU_DEP_1) | instskip(NEXT) | instid1(VALU_DEP_1)
	v_lshlrev_b32_e32 v15, 20, v15
	v_or3_b32 v15, v15, v14, v10
.LBB2_1915:                             ;   in Loop: Header=BB2_1620 Depth=2
	s_or_b32 exec_lo, exec_lo, s11
.LBB2_1916:                             ;   in Loop: Header=BB2_1620 Depth=2
	s_delay_alu instid0(SALU_CYCLE_1) | instskip(NEXT) | instid1(VALU_DEP_1)
	s_or_b32 exec_lo, exec_lo, s10
	v_mul_f32_e32 v10, v11, v15
                                        ; implicit-def: $vgpr42
	s_mov_b32 s10, exec_lo
	s_delay_alu instid0(VALU_DEP_1) | instskip(SKIP_1) | instid1(VALU_DEP_2)
	v_and_b32_e32 v38, 0x7f800000, v10
	v_lshrrev_b32_e32 v11, 24, v10
	v_cmpx_ne_u64_e32 0x7f800000, v[38:39]
	s_xor_b32 s11, exec_lo, s10
	s_cbranch_execz .LBB2_1930
; %bb.1917:                             ;   in Loop: Header=BB2_1620 Depth=2
	v_and_b32_e32 v38, 0x7fffffff, v10
	v_and_b32_e32 v86, 0x80, v11
                                        ; implicit-def: $vgpr42
	s_mov_b32 s10, exec_lo
	s_delay_alu instid0(VALU_DEP_2)
	v_cmpx_gt_u64_e32 0x43e00001, v[38:39]
	s_xor_b32 s28, exec_lo, s10
	s_cbranch_execz .LBB2_1927
; %bb.1918:                             ;   in Loop: Header=BB2_1620 Depth=2
	v_mov_b32_e32 v42, 0
	s_mov_b32 s29, exec_lo
	v_cmpx_ne_u32_e32 0, v10
	s_cbranch_execz .LBB2_1926
; %bb.1919:                             ;   in Loop: Header=BB2_1620 Depth=2
	v_bfe_u32 v87, v10, 23, 8
	v_and_b32_e32 v14, 0x7fffff, v10
	s_delay_alu instid0(VALU_DEP_2) | instskip(SKIP_1) | instid1(VALU_DEP_3)
	v_sub_nc_u32_e32 v11, 0x79, v87
	v_cmp_gt_u32_e64 s7, 0x7a, v87
	v_or_b32_e32 v15, 0x800000, v14
	s_delay_alu instid0(VALU_DEP_2) | instskip(SKIP_1) | instid1(VALU_DEP_1)
	v_cndmask_b32_e64 v11, 0, v11, s7
	v_cmp_eq_u32_e64 s7, 0, v87
	v_cndmask_b32_e64 v42, v11, 0x78, s7
	s_delay_alu instid0(VALU_DEP_4) | instskip(NEXT) | instid1(VALU_DEP_2)
	v_cndmask_b32_e64 v38, v15, v14, s7
	v_dual_add_nc_u32 v10, 20, v42 :: v_dual_add_nc_u32 v43, 19, v42
	s_delay_alu instid0(VALU_DEP_1) | instskip(NEXT) | instid1(VALU_DEP_2)
	v_lshlrev_b64_e64 v[10:11], v10, -1
	v_lshlrev_b64_e64 v[14:15], v43, 1
	s_delay_alu instid0(VALU_DEP_2) | instskip(NEXT) | instid1(VALU_DEP_3)
	v_bfi_b32 v45, v11, 0, 0
	v_bfi_b32 v44, v10, 0, v38
	v_lshrrev_b64 v[10:11], v42, v[38:39]
	s_delay_alu instid0(VALU_DEP_2) | instskip(NEXT) | instid1(VALU_DEP_2)
	v_cmp_eq_u64_e64 s10, v[44:45], v[14:15]
	v_mov_b64_e32 v[14:15], v[10:11]
	s_and_saveexec_b32 s40, s10
; %bb.1920:                             ;   in Loop: Header=BB2_1620 Depth=2
	v_bfe_u32 v38, v10, 20, 1
	s_delay_alu instid0(VALU_DEP_1) | instskip(NEXT) | instid1(VALU_DEP_1)
	v_add_nc_u64_e32 v[14:15], v[10:11], v[38:39]
	v_add_nc_u64_e32 v[14:15], -1, v[14:15]
; %bb.1921:                             ;   in Loop: Header=BB2_1620 Depth=2
	s_or_b32 exec_lo, exec_lo, s40
	v_add_nc_u32_e32 v11, 0xffffff81, v87
	v_lshrrev_b32_e32 v15, 23, v10
	s_mov_b32 s10, exec_lo
	s_delay_alu instid0(VALU_DEP_2) | instskip(NEXT) | instid1(VALU_DEP_1)
	v_cndmask_b32_e64 v11, v11, 0xffffff82, s7
	v_add3_u32 v15, v42, v11, v15
	v_and_b32_e32 v11, 0xfffff, v14
                                        ; implicit-def: $vgpr14
	s_delay_alu instid0(VALU_DEP_1) | instskip(NEXT) | instid1(VALU_DEP_1)
	v_dual_add_nc_u32 v87, 6, v15 :: v_dual_add_nc_u32 v38, v11, v10
                                        ; implicit-def: $vgpr10_vgpr11
	v_cmpx_ne_u32_e32 0, v87
	s_xor_b32 s10, exec_lo, s10
; %bb.1922:                             ;   in Loop: Header=BB2_1620 Depth=2
	s_delay_alu instid0(VALU_DEP_2) | instskip(SKIP_1) | instid1(VALU_DEP_1)
	v_cmp_lt_u64_e64 s7, 0xffffff, v[38:39]
	v_add_nc_u32_e32 v10, 7, v15
	v_cndmask_b32_e64 v14, v87, v10, s7
	v_cndmask_b32_e64 v10, 0, 1, s7
	s_delay_alu instid0(VALU_DEP_1)
	v_lshrrev_b64 v[10:11], v10, v[38:39]
; %bb.1923:                             ;   in Loop: Header=BB2_1620 Depth=2
	s_and_not1_saveexec_b32 s7, s10
; %bb.1924:                             ;   in Loop: Header=BB2_1620 Depth=2
	v_mov_b64_e32 v[10:11], v[38:39]
	v_bfe_u32 v14, v38, 23, 1
; %bb.1925:                             ;   in Loop: Header=BB2_1620 Depth=2
	s_or_b32 exec_lo, exec_lo, s7
	s_delay_alu instid0(VALU_DEP_2) | instskip(NEXT) | instid1(VALU_DEP_2)
	v_lshrrev_b64 v[10:11], 20, v[10:11]
	v_cmp_gt_i32_e64 s7, 16, v14
	v_min_i32_e32 v15, 15, v14
	v_cmp_eq_u32_e64 s10, 0, v14
	s_delay_alu instid0(VALU_DEP_3) | instskip(NEXT) | instid1(VALU_DEP_3)
	v_cndmask_b32_e64 v11, 0, v11, s7
	v_dual_lshlrev_b32 v15, 3, v15 :: v_dual_cndmask_b32 v10, 7, v10, s7
	s_delay_alu instid0(VALU_DEP_1) | instskip(NEXT) | instid1(VALU_DEP_2)
	v_and_b32_e32 v15, 0xf8, v15
	v_cmp_eq_u64_e64 s7, 0, v[10:11]
	s_delay_alu instid0(VALU_DEP_2)
	v_and_or_b32 v10, v10, 7, v15
	s_and_b32 s7, s10, s7
	s_delay_alu instid0(VALU_DEP_1) | instid1(SALU_CYCLE_1)
	v_cndmask_b32_e64 v10, v10, 0, s7
	s_delay_alu instid0(VALU_DEP_1)
	v_or_b32_e32 v42, v10, v86
.LBB2_1926:                             ;   in Loop: Header=BB2_1620 Depth=2
	s_or_b32 exec_lo, exec_lo, s29
                                        ; implicit-def: $vgpr86
.LBB2_1927:                             ;   in Loop: Header=BB2_1620 Depth=2
	s_and_not1_saveexec_b32 s7, s28
; %bb.1928:                             ;   in Loop: Header=BB2_1620 Depth=2
	v_or_b32_e32 v42, 0x7e, v86
; %bb.1929:                             ;   in Loop: Header=BB2_1620 Depth=2
	s_or_b32 exec_lo, exec_lo, s7
                                        ; implicit-def: $vgpr11
.LBB2_1930:                             ;   in Loop: Header=BB2_1620 Depth=2
	s_and_not1_saveexec_b32 s7, s11
; %bb.1931:                             ;   in Loop: Header=BB2_1620 Depth=2
	v_or_b32_e32 v42, 0x7f, v11
; %bb.1932:                             ;   in Loop: Header=BB2_1620 Depth=2
	s_or_b32 exec_lo, exec_lo, s7
	v_dual_mov_b32 v11, 0 :: v_dual_lshrrev_b32 v10, 16, v16
	s_mov_b32 s10, exec_lo
	s_delay_alu instid0(VALU_DEP_1) | instskip(NEXT) | instid1(VALU_DEP_1)
	v_and_b32_e32 v14, 0xff, v10
	v_cmpx_ne_u16_e32 0, v14
	s_cbranch_execz .LBB2_1940
; %bb.1933:                             ;   in Loop: Header=BB2_1620 Depth=2
	v_bfrev_b32_e32 v11, 1
	s_mov_b32 s11, exec_lo
	v_cmpx_ne_u16_e32 0x80, v14
	s_cbranch_execz .LBB2_1939
; %bb.1934:                             ;   in Loop: Header=BB2_1620 Depth=2
	v_bfe_u32 v14, v16, 16, 7
	v_mov_b32_e32 v11, 0x7f800001
	s_mov_b32 s28, exec_lo
	s_delay_alu instid0(VALU_DEP_2)
	v_cmpx_ne_u32_e32 0x7f, v14
	s_cbranch_execz .LBB2_1938
; %bb.1935:                             ;   in Loop: Header=BB2_1620 Depth=2
	v_and_b32_e32 v38, 7, v10
	v_lshrrev_b32_e32 v11, 3, v14
	s_mov_b32 s29, exec_lo
	v_cmpx_gt_u32_e32 8, v14
; %bb.1936:                             ;   in Loop: Header=BB2_1620 Depth=2
	s_delay_alu instid0(VALU_DEP_3) | instskip(NEXT) | instid1(VALU_DEP_1)
	v_clz_i32_u32_e32 v11, v38
	v_min_u32_e32 v11, 32, v11
	s_delay_alu instid0(VALU_DEP_1) | instskip(NEXT) | instid1(VALU_DEP_1)
	v_subrev_nc_u32_e32 v14, 28, v11
	v_lshlrev_b64_e32 v[14:15], v14, v[38:39]
	s_delay_alu instid0(VALU_DEP_1)
	v_dual_sub_nc_u32 v11, 29, v11 :: v_dual_bitop2_b32 v38, 7, v14 bitop3:0x40
; %bb.1937:                             ;   in Loop: Header=BB2_1620 Depth=2
	s_or_b32 exec_lo, exec_lo, s29
	v_lshlrev_b32_e32 v10, 24, v10
	s_delay_alu instid0(VALU_DEP_2) | instskip(NEXT) | instid1(VALU_DEP_3)
	v_lshlrev_b32_e32 v14, 20, v38
	v_lshl_add_u32 v11, v11, 23, 0x3c000000
	s_delay_alu instid0(VALU_DEP_3) | instskip(NEXT) | instid1(VALU_DEP_1)
	v_and_b32_e32 v10, 0x80000000, v10
	v_or3_b32 v11, v14, v10, v11
.LBB2_1938:                             ;   in Loop: Header=BB2_1620 Depth=2
	s_or_b32 exec_lo, exec_lo, s28
.LBB2_1939:                             ;   in Loop: Header=BB2_1620 Depth=2
	s_delay_alu instid0(SALU_CYCLE_1)
	s_or_b32 exec_lo, exec_lo, s11
.LBB2_1940:                             ;   in Loop: Header=BB2_1620 Depth=2
	s_delay_alu instid0(SALU_CYCLE_1) | instskip(SKIP_3) | instid1(VALU_DEP_1)
	s_or_b32 exec_lo, exec_lo, s10
	v_lshrrev_b32_e32 v10, 16, v12
	s_mov_b32 s11, 0
	s_mov_b32 s10, exec_lo
	v_and_b32_e32 v15, 0xff, v10
	s_delay_alu instid0(VALU_DEP_1)
	v_cmpx_lt_i16_e32 0x7f, v15
	s_xor_b32 s10, exec_lo, s10
	s_cbranch_execz .LBB2_1945
; %bb.1941:                             ;   in Loop: Header=BB2_1620 Depth=2
	s_mov_b32 s11, -1
	s_mov_b32 s28, exec_lo
	v_cmpx_eq_u16_e32 0x80, v15
; %bb.1942:                             ;   in Loop: Header=BB2_1620 Depth=2
	s_xor_b32 s11, exec_lo, -1
; %bb.1943:                             ;   in Loop: Header=BB2_1620 Depth=2
	s_or_b32 exec_lo, exec_lo, s28
	s_delay_alu instid0(SALU_CYCLE_1)
	s_and_b32 s11, s11, exec_lo
                                        ; implicit-def: $vgpr15
	s_or_saveexec_b32 s10, s10
	v_bfrev_b32_e32 v14, 1
	s_xor_b32 exec_lo, exec_lo, s10
	s_cbranch_execnz .LBB2_1946
.LBB2_1944:                             ;   in Loop: Header=BB2_1620 Depth=2
	s_or_b32 exec_lo, exec_lo, s10
	s_and_saveexec_b32 s10, s11
	s_cbranch_execnz .LBB2_1947
	s_branch .LBB2_1950
.LBB2_1945:                             ;   in Loop: Header=BB2_1620 Depth=2
	s_or_saveexec_b32 s10, s10
	v_bfrev_b32_e32 v14, 1
	s_xor_b32 exec_lo, exec_lo, s10
	s_cbranch_execz .LBB2_1944
.LBB2_1946:                             ;   in Loop: Header=BB2_1620 Depth=2
	v_cmp_ne_u16_e64 s7, 0, v15
	v_mov_b32_e32 v14, 0
	s_and_not1_b32 s11, s11, exec_lo
	s_and_b32 s7, s7, exec_lo
	s_delay_alu instid0(SALU_CYCLE_1)
	s_or_b32 s11, s11, s7
	s_or_b32 exec_lo, exec_lo, s10
	s_and_saveexec_b32 s10, s11
	s_cbranch_execz .LBB2_1950
.LBB2_1947:                             ;   in Loop: Header=BB2_1620 Depth=2
	v_and_b32_e32 v15, 0x7f, v10
	v_mov_b32_e32 v14, 0x7f800001
	s_mov_b32 s11, exec_lo
	s_delay_alu instid0(VALU_DEP_2)
	v_cmpx_ne_u32_e32 0x7f, v15
	s_cbranch_execz .LBB2_1949
; %bb.1948:                             ;   in Loop: Header=BB2_1620 Depth=2
	v_and_b32_e32 v14, 7, v10
	v_cmp_gt_u32_e64 s7, 8, v15
	s_delay_alu instid0(VALU_DEP_2) | instskip(NEXT) | instid1(VALU_DEP_1)
	v_clz_i32_u32_e32 v38, v14
	v_min_u32_e32 v38, 32, v38
	s_delay_alu instid0(VALU_DEP_1) | instskip(NEXT) | instid1(VALU_DEP_1)
	v_subrev_nc_u32_e32 v86, 28, v38
	v_lshlrev_b64_e32 v[86:87], v86, v[10:11]
	v_dual_lshrrev_b32 v87, 3, v15 :: v_dual_lshlrev_b32 v10, 24, v10
	s_delay_alu instid0(VALU_DEP_1) | instskip(NEXT) | instid1(VALU_DEP_3)
	v_and_b32_e32 v10, 0x80000000, v10
	v_and_b32_e32 v15, 7, v86
	s_delay_alu instid0(VALU_DEP_1) | instskip(NEXT) | instid1(VALU_DEP_1)
	v_dual_sub_nc_u32 v38, 29, v38 :: v_dual_cndmask_b32 v14, v14, v15, s7
	v_cndmask_b32_e64 v38, v87, v38, s7
	s_delay_alu instid0(VALU_DEP_2) | instskip(NEXT) | instid1(VALU_DEP_2)
	v_lshlrev_b32_e32 v14, 20, v14
	v_lshl_add_u32 v15, v38, 23, 0x3c000000
	s_delay_alu instid0(VALU_DEP_1)
	v_or3_b32 v14, v14, v10, v15
.LBB2_1949:                             ;   in Loop: Header=BB2_1620 Depth=2
	s_or_b32 exec_lo, exec_lo, s11
.LBB2_1950:                             ;   in Loop: Header=BB2_1620 Depth=2
	s_delay_alu instid0(SALU_CYCLE_1) | instskip(NEXT) | instid1(VALU_DEP_1)
	s_or_b32 exec_lo, exec_lo, s10
	v_mul_f32_e32 v10, v11, v14
                                        ; implicit-def: $vgpr43
	s_mov_b32 s10, exec_lo
	s_delay_alu instid0(VALU_DEP_1) | instskip(SKIP_1) | instid1(VALU_DEP_2)
	v_and_b32_e32 v38, 0x7f800000, v10
	v_lshrrev_b32_e32 v11, 24, v10
	v_cmpx_ne_u64_e32 0x7f800000, v[38:39]
	s_xor_b32 s11, exec_lo, s10
	s_cbranch_execz .LBB2_1964
; %bb.1951:                             ;   in Loop: Header=BB2_1620 Depth=2
	v_and_b32_e32 v38, 0x7fffffff, v10
	v_and_b32_e32 v86, 0x80, v11
                                        ; implicit-def: $vgpr43
	s_mov_b32 s10, exec_lo
	s_delay_alu instid0(VALU_DEP_2)
	v_cmpx_gt_u64_e32 0x43e00001, v[38:39]
	s_xor_b32 s28, exec_lo, s10
	s_cbranch_execz .LBB2_1961
; %bb.1952:                             ;   in Loop: Header=BB2_1620 Depth=2
	v_mov_b32_e32 v43, 0
	s_mov_b32 s29, exec_lo
	v_cmpx_ne_u32_e32 0, v10
	s_cbranch_execz .LBB2_1960
; %bb.1953:                             ;   in Loop: Header=BB2_1620 Depth=2
	v_bfe_u32 v87, v10, 23, 8
	v_and_b32_e32 v14, 0x7fffff, v10
	s_delay_alu instid0(VALU_DEP_2) | instskip(SKIP_1) | instid1(VALU_DEP_3)
	v_sub_nc_u32_e32 v11, 0x79, v87
	v_cmp_gt_u32_e64 s7, 0x7a, v87
	v_or_b32_e32 v15, 0x800000, v14
	s_delay_alu instid0(VALU_DEP_2) | instskip(SKIP_1) | instid1(VALU_DEP_1)
	v_cndmask_b32_e64 v11, 0, v11, s7
	v_cmp_eq_u32_e64 s7, 0, v87
	v_cndmask_b32_e64 v38, v15, v14, s7
	s_delay_alu instid0(VALU_DEP_3) | instskip(NEXT) | instid1(VALU_DEP_1)
	v_cndmask_b32_e64 v43, v11, 0x78, s7
	v_dual_add_nc_u32 v10, 20, v43 :: v_dual_add_nc_u32 v44, 19, v43
	s_delay_alu instid0(VALU_DEP_1) | instskip(NEXT) | instid1(VALU_DEP_2)
	v_lshlrev_b64_e64 v[10:11], v10, -1
	v_lshlrev_b64_e64 v[14:15], v44, 1
	s_delay_alu instid0(VALU_DEP_2) | instskip(NEXT) | instid1(VALU_DEP_3)
	v_bfi_b32 v45, v11, 0, 0
	v_bfi_b32 v44, v10, 0, v38
	v_lshrrev_b64 v[10:11], v43, v[38:39]
	s_delay_alu instid0(VALU_DEP_2) | instskip(NEXT) | instid1(VALU_DEP_2)
	v_cmp_eq_u64_e64 s10, v[44:45], v[14:15]
	v_mov_b64_e32 v[14:15], v[10:11]
	s_and_saveexec_b32 s40, s10
; %bb.1954:                             ;   in Loop: Header=BB2_1620 Depth=2
	v_bfe_u32 v38, v10, 20, 1
	s_delay_alu instid0(VALU_DEP_1) | instskip(NEXT) | instid1(VALU_DEP_1)
	v_add_nc_u64_e32 v[14:15], v[10:11], v[38:39]
	v_add_nc_u64_e32 v[14:15], -1, v[14:15]
; %bb.1955:                             ;   in Loop: Header=BB2_1620 Depth=2
	s_or_b32 exec_lo, exec_lo, s40
	v_add_nc_u32_e32 v11, 0xffffff81, v87
	v_lshrrev_b32_e32 v15, 23, v10
	s_mov_b32 s10, exec_lo
	s_delay_alu instid0(VALU_DEP_2) | instskip(NEXT) | instid1(VALU_DEP_1)
	v_cndmask_b32_e64 v11, v11, 0xffffff82, s7
	v_add3_u32 v15, v43, v11, v15
	v_and_b32_e32 v11, 0xfffff, v14
                                        ; implicit-def: $vgpr14
	s_delay_alu instid0(VALU_DEP_1) | instskip(NEXT) | instid1(VALU_DEP_1)
	v_dual_add_nc_u32 v87, 6, v15 :: v_dual_add_nc_u32 v38, v11, v10
                                        ; implicit-def: $vgpr10_vgpr11
	v_cmpx_ne_u32_e32 0, v87
	s_xor_b32 s10, exec_lo, s10
; %bb.1956:                             ;   in Loop: Header=BB2_1620 Depth=2
	s_delay_alu instid0(VALU_DEP_2) | instskip(SKIP_1) | instid1(VALU_DEP_1)
	v_cmp_lt_u64_e64 s7, 0xffffff, v[38:39]
	v_add_nc_u32_e32 v10, 7, v15
	v_cndmask_b32_e64 v14, v87, v10, s7
	v_cndmask_b32_e64 v10, 0, 1, s7
	s_delay_alu instid0(VALU_DEP_1)
	v_lshrrev_b64 v[10:11], v10, v[38:39]
; %bb.1957:                             ;   in Loop: Header=BB2_1620 Depth=2
	s_and_not1_saveexec_b32 s7, s10
; %bb.1958:                             ;   in Loop: Header=BB2_1620 Depth=2
	v_mov_b64_e32 v[10:11], v[38:39]
	v_bfe_u32 v14, v38, 23, 1
; %bb.1959:                             ;   in Loop: Header=BB2_1620 Depth=2
	s_or_b32 exec_lo, exec_lo, s7
	s_delay_alu instid0(VALU_DEP_2) | instskip(NEXT) | instid1(VALU_DEP_2)
	v_lshrrev_b64 v[10:11], 20, v[10:11]
	v_cmp_gt_i32_e64 s7, 16, v14
	v_min_i32_e32 v15, 15, v14
	v_cmp_eq_u32_e64 s10, 0, v14
	s_delay_alu instid0(VALU_DEP_3) | instskip(NEXT) | instid1(VALU_DEP_3)
	v_cndmask_b32_e64 v11, 0, v11, s7
	v_dual_lshlrev_b32 v15, 3, v15 :: v_dual_cndmask_b32 v10, 7, v10, s7
	s_delay_alu instid0(VALU_DEP_1) | instskip(NEXT) | instid1(VALU_DEP_2)
	v_and_b32_e32 v15, 0xf8, v15
	v_cmp_eq_u64_e64 s7, 0, v[10:11]
	s_delay_alu instid0(VALU_DEP_2)
	v_and_or_b32 v10, v10, 7, v15
	s_and_b32 s7, s10, s7
	s_delay_alu instid0(VALU_DEP_1) | instid1(SALU_CYCLE_1)
	v_cndmask_b32_e64 v10, v10, 0, s7
	s_delay_alu instid0(VALU_DEP_1)
	v_or_b32_e32 v43, v10, v86
.LBB2_1960:                             ;   in Loop: Header=BB2_1620 Depth=2
	s_or_b32 exec_lo, exec_lo, s29
                                        ; implicit-def: $vgpr86
.LBB2_1961:                             ;   in Loop: Header=BB2_1620 Depth=2
	s_and_not1_saveexec_b32 s7, s28
; %bb.1962:                             ;   in Loop: Header=BB2_1620 Depth=2
	v_or_b32_e32 v43, 0x7e, v86
; %bb.1963:                             ;   in Loop: Header=BB2_1620 Depth=2
	s_or_b32 exec_lo, exec_lo, s7
                                        ; implicit-def: $vgpr11
.LBB2_1964:                             ;   in Loop: Header=BB2_1620 Depth=2
	s_and_not1_saveexec_b32 s7, s11
; %bb.1965:                             ;   in Loop: Header=BB2_1620 Depth=2
	v_or_b32_e32 v43, 0x7f, v11
; %bb.1966:                             ;   in Loop: Header=BB2_1620 Depth=2
	s_or_b32 exec_lo, exec_lo, s7
	v_mov_b32_e32 v11, 0
	s_mov_b32 s10, exec_lo
	v_cmpx_lt_u32_e32 0xffffff, v16
	s_cbranch_execz .LBB2_1974
; %bb.1967:                             ;   in Loop: Header=BB2_1620 Depth=2
	v_lshrrev_b32_e32 v10, 24, v16
	v_bfrev_b32_e32 v11, 1
	s_mov_b32 s11, exec_lo
	s_delay_alu instid0(VALU_DEP_2)
	v_cmpx_ne_u32_e32 0x80, v10
	s_cbranch_execz .LBB2_1973
; %bb.1968:                             ;   in Loop: Header=BB2_1620 Depth=2
	v_bfe_u32 v14, v16, 24, 7
	v_mov_b32_e32 v11, 0x7f800001
	s_mov_b32 s28, exec_lo
	s_delay_alu instid0(VALU_DEP_2)
	v_cmpx_ne_u32_e32 0x7f, v14
	s_cbranch_execz .LBB2_1972
; %bb.1969:                             ;   in Loop: Header=BB2_1620 Depth=2
	v_and_b32_e32 v38, 7, v10
	v_lshrrev_b32_e32 v11, 3, v14
	s_mov_b32 s29, exec_lo
	v_cmpx_gt_u32_e32 8, v14
; %bb.1970:                             ;   in Loop: Header=BB2_1620 Depth=2
	s_delay_alu instid0(VALU_DEP_3) | instskip(NEXT) | instid1(VALU_DEP_1)
	v_clz_i32_u32_e32 v11, v38
	v_min_u32_e32 v11, 32, v11
	s_delay_alu instid0(VALU_DEP_1) | instskip(NEXT) | instid1(VALU_DEP_1)
	v_subrev_nc_u32_e32 v14, 28, v11
	v_lshlrev_b64_e32 v[14:15], v14, v[38:39]
	s_delay_alu instid0(VALU_DEP_1)
	v_dual_sub_nc_u32 v11, 29, v11 :: v_dual_bitop2_b32 v38, 7, v14 bitop3:0x40
; %bb.1971:                             ;   in Loop: Header=BB2_1620 Depth=2
	s_or_b32 exec_lo, exec_lo, s29
	v_lshlrev_b32_e32 v10, 24, v10
	s_delay_alu instid0(VALU_DEP_2) | instskip(NEXT) | instid1(VALU_DEP_3)
	v_lshlrev_b32_e32 v14, 20, v38
	v_lshl_add_u32 v11, v11, 23, 0x3c000000
	s_delay_alu instid0(VALU_DEP_3) | instskip(NEXT) | instid1(VALU_DEP_1)
	v_and_b32_e32 v10, 0x80000000, v10
	v_or3_b32 v11, v14, v10, v11
.LBB2_1972:                             ;   in Loop: Header=BB2_1620 Depth=2
	s_or_b32 exec_lo, exec_lo, s28
.LBB2_1973:                             ;   in Loop: Header=BB2_1620 Depth=2
	s_delay_alu instid0(SALU_CYCLE_1)
	s_or_b32 exec_lo, exec_lo, s11
.LBB2_1974:                             ;   in Loop: Header=BB2_1620 Depth=2
	s_delay_alu instid0(SALU_CYCLE_1) | instskip(SKIP_3) | instid1(VALU_DEP_3)
	s_or_b32 exec_lo, exec_lo, s10
	v_lshrrev_b32_e32 v10, 24, v12
	v_bfe_u32 v14, v12, 24, 7
	v_cmp_gt_u32_e64 s11, 0x1000000, v12
	v_cmp_eq_u32_e64 s7, 0x80, v10
	s_delay_alu instid0(VALU_DEP_3) | instskip(NEXT) | instid1(VALU_DEP_2)
	v_cmp_eq_u32_e64 s10, 0x7f, v14
	v_cndmask_b32_e64 v15, 0x7f800001, v103, s7
	s_or_b32 s7, s7, s10
	s_delay_alu instid0(SALU_CYCLE_1) | instskip(NEXT) | instid1(VALU_DEP_1)
	s_nor_b32 s7, s11, s7
	v_cndmask_b32_e64 v15, v15, 0, s11
	s_and_saveexec_b32 s10, s7
	s_cbranch_execz .LBB2_1976
; %bb.1975:                             ;   in Loop: Header=BB2_1620 Depth=2
	v_and_b32_e32 v15, 7, v10
	v_cmp_gt_u32_e64 s7, 8, v14
	s_delay_alu instid0(VALU_DEP_2) | instskip(NEXT) | instid1(VALU_DEP_1)
	v_clz_i32_u32_e32 v38, v15
	v_min_u32_e32 v38, 32, v38
	s_delay_alu instid0(VALU_DEP_1) | instskip(SKIP_1) | instid1(VALU_DEP_2)
	v_subrev_nc_u32_e32 v86, 28, v38
	v_sub_nc_u32_e32 v38, 29, v38
	v_lshlrev_b64_e32 v[86:87], v86, v[10:11]
	v_lshlrev_b32_e32 v10, 24, v10
	v_lshrrev_b32_e32 v87, 3, v14
	s_delay_alu instid0(VALU_DEP_2) | instskip(NEXT) | instid1(VALU_DEP_4)
	v_and_b32_e32 v10, 0x80000000, v10
	v_and_b32_e32 v14, 7, v86
	s_delay_alu instid0(VALU_DEP_1) | instskip(NEXT) | instid1(VALU_DEP_4)
	v_cndmask_b32_e64 v14, v15, v14, s7
	v_cndmask_b32_e64 v38, v87, v38, s7
	s_delay_alu instid0(VALU_DEP_2) | instskip(NEXT) | instid1(VALU_DEP_2)
	v_lshlrev_b32_e32 v14, 20, v14
	v_lshl_add_u32 v15, v38, 23, 0x3c000000
	s_delay_alu instid0(VALU_DEP_1)
	v_or3_b32 v15, v14, v10, v15
.LBB2_1976:                             ;   in Loop: Header=BB2_1620 Depth=2
	s_or_b32 exec_lo, exec_lo, s10
	s_delay_alu instid0(VALU_DEP_1) | instskip(SKIP_1) | instid1(VALU_DEP_1)
	v_mul_f32_e32 v10, v11, v15
                                        ; implicit-def: $vgpr44
	s_mov_b32 s10, exec_lo
	v_and_b32_e32 v38, 0x7f800000, v10
	v_lshrrev_b32_e32 v11, 24, v10
	s_delay_alu instid0(VALU_DEP_2)
	v_cmpx_ne_u64_e32 0x7f800000, v[38:39]
	s_xor_b32 s11, exec_lo, s10
	s_cbranch_execz .LBB2_1990
; %bb.1977:                             ;   in Loop: Header=BB2_1620 Depth=2
	v_and_b32_e32 v38, 0x7fffffff, v10
	v_and_b32_e32 v86, 0x80, v11
                                        ; implicit-def: $vgpr44
	s_mov_b32 s10, exec_lo
	s_delay_alu instid0(VALU_DEP_2)
	v_cmpx_gt_u64_e32 0x43e00001, v[38:39]
	s_xor_b32 s28, exec_lo, s10
	s_cbranch_execz .LBB2_1987
; %bb.1978:                             ;   in Loop: Header=BB2_1620 Depth=2
	v_mov_b32_e32 v44, 0
	s_mov_b32 s29, exec_lo
	v_cmpx_ne_u32_e32 0, v10
	s_cbranch_execz .LBB2_1986
; %bb.1979:                             ;   in Loop: Header=BB2_1620 Depth=2
	v_bfe_u32 v87, v10, 23, 8
	v_and_b32_e32 v14, 0x7fffff, v10
	s_delay_alu instid0(VALU_DEP_2) | instskip(SKIP_1) | instid1(VALU_DEP_3)
	v_sub_nc_u32_e32 v11, 0x79, v87
	v_cmp_gt_u32_e64 s7, 0x7a, v87
	v_or_b32_e32 v15, 0x800000, v14
	s_delay_alu instid0(VALU_DEP_2) | instskip(SKIP_1) | instid1(VALU_DEP_1)
	v_cndmask_b32_e64 v11, 0, v11, s7
	v_cmp_eq_u32_e64 s7, 0, v87
	v_cndmask_b32_e64 v44, v11, 0x78, s7
	s_delay_alu instid0(VALU_DEP_1) | instskip(SKIP_1) | instid1(VALU_DEP_2)
	v_dual_cndmask_b32 v38, v15, v14, s7 :: v_dual_add_nc_u32 v45, 19, v44
	v_add_nc_u32_e32 v10, 20, v44
	v_lshlrev_b64_e64 v[14:15], v45, 1
	s_delay_alu instid0(VALU_DEP_2) | instskip(NEXT) | instid1(VALU_DEP_1)
	v_lshlrev_b64_e64 v[10:11], v10, -1
	v_bfi_b32 v47, v11, 0, 0
	s_delay_alu instid0(VALU_DEP_2) | instskip(SKIP_1) | instid1(VALU_DEP_2)
	v_bfi_b32 v46, v10, 0, v38
	v_lshrrev_b64 v[10:11], v44, v[38:39]
	v_cmp_eq_u64_e64 s10, v[46:47], v[14:15]
	s_delay_alu instid0(VALU_DEP_2)
	v_mov_b64_e32 v[14:15], v[10:11]
	s_and_saveexec_b32 s40, s10
; %bb.1980:                             ;   in Loop: Header=BB2_1620 Depth=2
	v_bfe_u32 v38, v10, 20, 1
	s_delay_alu instid0(VALU_DEP_1) | instskip(NEXT) | instid1(VALU_DEP_1)
	v_add_nc_u64_e32 v[14:15], v[10:11], v[38:39]
	v_add_nc_u64_e32 v[14:15], -1, v[14:15]
; %bb.1981:                             ;   in Loop: Header=BB2_1620 Depth=2
	s_or_b32 exec_lo, exec_lo, s40
	v_add_nc_u32_e32 v11, 0xffffff81, v87
	v_lshrrev_b32_e32 v15, 23, v10
	s_mov_b32 s10, exec_lo
	s_delay_alu instid0(VALU_DEP_2) | instskip(NEXT) | instid1(VALU_DEP_1)
	v_cndmask_b32_e64 v11, v11, 0xffffff82, s7
	v_add3_u32 v15, v44, v11, v15
	v_and_b32_e32 v11, 0xfffff, v14
                                        ; implicit-def: $vgpr14
	s_delay_alu instid0(VALU_DEP_1) | instskip(NEXT) | instid1(VALU_DEP_1)
	v_dual_add_nc_u32 v87, 6, v15 :: v_dual_add_nc_u32 v38, v11, v10
                                        ; implicit-def: $vgpr10_vgpr11
	v_cmpx_ne_u32_e32 0, v87
	s_xor_b32 s10, exec_lo, s10
; %bb.1982:                             ;   in Loop: Header=BB2_1620 Depth=2
	s_delay_alu instid0(VALU_DEP_2) | instskip(SKIP_1) | instid1(VALU_DEP_1)
	v_cmp_lt_u64_e64 s7, 0xffffff, v[38:39]
	v_add_nc_u32_e32 v10, 7, v15
	v_cndmask_b32_e64 v14, v87, v10, s7
	v_cndmask_b32_e64 v10, 0, 1, s7
	s_delay_alu instid0(VALU_DEP_1)
	v_lshrrev_b64 v[10:11], v10, v[38:39]
; %bb.1983:                             ;   in Loop: Header=BB2_1620 Depth=2
	s_and_not1_saveexec_b32 s7, s10
; %bb.1984:                             ;   in Loop: Header=BB2_1620 Depth=2
	v_mov_b64_e32 v[10:11], v[38:39]
	v_bfe_u32 v14, v38, 23, 1
; %bb.1985:                             ;   in Loop: Header=BB2_1620 Depth=2
	s_or_b32 exec_lo, exec_lo, s7
	s_delay_alu instid0(VALU_DEP_2) | instskip(NEXT) | instid1(VALU_DEP_2)
	v_lshrrev_b64 v[10:11], 20, v[10:11]
	v_cmp_gt_i32_e64 s7, 16, v14
	v_min_i32_e32 v15, 15, v14
	v_cmp_eq_u32_e64 s10, 0, v14
	s_delay_alu instid0(VALU_DEP_3) | instskip(NEXT) | instid1(VALU_DEP_3)
	v_cndmask_b32_e64 v11, 0, v11, s7
	v_dual_lshlrev_b32 v15, 3, v15 :: v_dual_cndmask_b32 v10, 7, v10, s7
	s_delay_alu instid0(VALU_DEP_1) | instskip(NEXT) | instid1(VALU_DEP_2)
	v_and_b32_e32 v15, 0xf8, v15
	v_cmp_eq_u64_e64 s7, 0, v[10:11]
	s_delay_alu instid0(VALU_DEP_2)
	v_and_or_b32 v10, v10, 7, v15
	s_and_b32 s7, s10, s7
	s_delay_alu instid0(VALU_DEP_1) | instid1(SALU_CYCLE_1)
	v_cndmask_b32_e64 v10, v10, 0, s7
	s_delay_alu instid0(VALU_DEP_1)
	v_or_b32_e32 v44, v10, v86
.LBB2_1986:                             ;   in Loop: Header=BB2_1620 Depth=2
	s_or_b32 exec_lo, exec_lo, s29
                                        ; implicit-def: $vgpr86
.LBB2_1987:                             ;   in Loop: Header=BB2_1620 Depth=2
	s_and_not1_saveexec_b32 s7, s28
; %bb.1988:                             ;   in Loop: Header=BB2_1620 Depth=2
	v_or_b32_e32 v44, 0x7e, v86
; %bb.1989:                             ;   in Loop: Header=BB2_1620 Depth=2
	s_or_b32 exec_lo, exec_lo, s7
                                        ; implicit-def: $vgpr11
.LBB2_1990:                             ;   in Loop: Header=BB2_1620 Depth=2
	s_and_not1_saveexec_b32 s7, s11
; %bb.1991:                             ;   in Loop: Header=BB2_1620 Depth=2
	v_or_b32_e32 v44, 0x7f, v11
; %bb.1992:                             ;   in Loop: Header=BB2_1620 Depth=2
	s_or_b32 exec_lo, exec_lo, s7
	v_and_b32_e32 v10, 0xff, v17
	v_dual_mov_b32 v38, v17 :: v_dual_mov_b32 v14, 0
	s_mov_b32 s10, exec_lo
	s_delay_alu instid0(VALU_DEP_2)
	v_cmpx_ne_u16_e32 0, v10
	s_cbranch_execz .LBB2_1998
; %bb.1993:                             ;   in Loop: Header=BB2_1620 Depth=2
	v_bfrev_b32_e32 v14, 1
	s_mov_b32 s11, exec_lo
	v_cmpx_ne_u16_e32 0x80, v10
	s_cbranch_execz .LBB2_1997
; %bb.1994:                             ;   in Loop: Header=BB2_1620 Depth=2
	v_and_b32_e32 v10, 0x7f, v17
	v_mov_b32_e32 v14, 0x7f800001
	s_mov_b32 s28, exec_lo
	s_delay_alu instid0(VALU_DEP_2)
	v_cmpx_ne_u32_e32 0x7f, v10
	s_cbranch_execz .LBB2_1996
; %bb.1995:                             ;   in Loop: Header=BB2_1620 Depth=2
	v_dual_lshrrev_b32 v14, 3, v10 :: v_dual_bitop2_b32 v11, 7, v17 bitop3:0x40
	v_cmp_gt_u32_e64 s7, 8, v10
	s_delay_alu instid0(VALU_DEP_2) | instskip(NEXT) | instid1(VALU_DEP_1)
	v_clz_i32_u32_e32 v11, v11
	v_min_u32_e32 v11, 32, v11
	s_delay_alu instid0(VALU_DEP_1) | instskip(SKIP_1) | instid1(VALU_DEP_2)
	v_subrev_nc_u32_e32 v15, 28, v11
	v_sub_nc_u32_e32 v11, 29, v11
	v_cndmask_b32_e64 v10, 0, v15, s7
	s_delay_alu instid0(VALU_DEP_2) | instskip(NEXT) | instid1(VALU_DEP_2)
	v_cndmask_b32_e64 v14, v14, v11, s7
	v_lshlrev_b64_e32 v[10:11], v10, v[38:39]
	v_lshlrev_b32_e32 v11, 24, v38
	s_delay_alu instid0(VALU_DEP_3) | instskip(NEXT) | instid1(VALU_DEP_2)
	v_lshl_add_u32 v14, v14, 23, 0x3c000000
	v_and_b32_e32 v11, 0x80000000, v11
	s_delay_alu instid0(VALU_DEP_4) | instskip(NEXT) | instid1(VALU_DEP_1)
	v_lshlrev_b32_e32 v10, 20, v10
	v_and_b32_e32 v10, 0x700000, v10
	s_delay_alu instid0(VALU_DEP_1)
	v_or3_b32 v14, v10, v11, v14
.LBB2_1996:                             ;   in Loop: Header=BB2_1620 Depth=2
	s_or_b32 exec_lo, exec_lo, s28
.LBB2_1997:                             ;   in Loop: Header=BB2_1620 Depth=2
	s_delay_alu instid0(SALU_CYCLE_1)
	s_or_b32 exec_lo, exec_lo, s11
.LBB2_1998:                             ;   in Loop: Header=BB2_1620 Depth=2
	s_delay_alu instid0(SALU_CYCLE_1) | instskip(SKIP_4) | instid1(VALU_DEP_2)
	s_or_b32 exec_lo, exec_lo, s10
	v_and_b32_e32 v11, 0xff, v13
	v_mov_b32_e32 v10, v13
	s_mov_b32 s10, 0
	s_mov_b32 s11, exec_lo
	v_cmpx_lt_i16_e32 0x7f, v11
	s_xor_b32 s11, exec_lo, s11
	s_cbranch_execz .LBB2_2033
; %bb.1999:                             ;   in Loop: Header=BB2_1620 Depth=2
	s_mov_b32 s10, -1
	s_mov_b32 s28, exec_lo
	v_cmpx_eq_u16_e32 0x80, v11
; %bb.2000:                             ;   in Loop: Header=BB2_1620 Depth=2
	s_xor_b32 s10, exec_lo, -1
; %bb.2001:                             ;   in Loop: Header=BB2_1620 Depth=2
	s_or_b32 exec_lo, exec_lo, s28
	s_delay_alu instid0(SALU_CYCLE_1)
	s_and_b32 s10, s10, exec_lo
                                        ; implicit-def: $vgpr11
	s_or_saveexec_b32 s11, s11
	v_bfrev_b32_e32 v15, 1
	s_xor_b32 exec_lo, exec_lo, s11
	s_cbranch_execnz .LBB2_2034
.LBB2_2002:                             ;   in Loop: Header=BB2_1620 Depth=2
	s_or_b32 exec_lo, exec_lo, s11
	v_mov_b32_e32 v11, v39
	s_and_saveexec_b32 s11, s10
	s_cbranch_execz .LBB2_2004
.LBB2_2003:                             ;   in Loop: Header=BB2_1620 Depth=2
	v_and_b32_e32 v45, 0x7f, v13
	v_bfe_u32 v86, v13, 3, 4
	s_delay_alu instid0(VALU_DEP_2) | instskip(SKIP_1) | instid1(VALU_DEP_1)
	v_cmp_gt_u32_e64 s7, 8, v45
	v_and_b32_e32 v15, 7, v13
	v_clz_i32_u32_e32 v15, v15
	s_delay_alu instid0(VALU_DEP_1) | instskip(NEXT) | instid1(VALU_DEP_1)
	v_min_u32_e32 v15, 32, v15
	v_subrev_nc_u32_e32 v87, 28, v15
	v_sub_nc_u32_e32 v15, 29, v15
	s_delay_alu instid0(VALU_DEP_1) | instskip(NEXT) | instid1(VALU_DEP_3)
	v_cndmask_b32_e64 v15, v86, v15, s7
	v_cndmask_b32_e64 v86, 0, v87, s7
	v_cmp_ne_u32_e64 s7, 0x7f, v45
	s_delay_alu instid0(VALU_DEP_2) | instskip(SKIP_1) | instid1(VALU_DEP_1)
	v_lshlrev_b64_e32 v[86:87], v86, v[10:11]
	v_lshlrev_b32_e32 v11, 24, v10
	v_and_b32_e32 v11, 0x80000000, v11
	s_delay_alu instid0(VALU_DEP_3) | instskip(SKIP_1) | instid1(VALU_DEP_2)
	v_lshlrev_b32_e32 v86, 20, v86
	v_lshl_add_u32 v15, v15, 23, 0x3c000000
	v_and_b32_e32 v86, 0x700000, v86
	s_delay_alu instid0(VALU_DEP_1) | instskip(NEXT) | instid1(VALU_DEP_1)
	v_or3_b32 v11, v86, v11, v15
	v_cndmask_b32_e64 v15, 0x7f800001, v11, s7
.LBB2_2004:                             ;   in Loop: Header=BB2_1620 Depth=2
	s_or_b32 exec_lo, exec_lo, s11
	s_delay_alu instid0(VALU_DEP_1) | instskip(NEXT) | instid1(VALU_DEP_1)
	v_dual_mul_f32 v14, v14, v15 :: v_dual_mov_b32 v87, v39
	v_and_b32_e32 v86, 0x7f800000, v14
	v_lshrrev_b32_e32 v11, 24, v14
	s_delay_alu instid0(VALU_DEP_2) | instskip(SKIP_1) | instid1(SALU_CYCLE_1)
	v_cmp_ne_u64_e64 s7, 0x7f800000, v[86:87]
                                        ; implicit-def: $vgpr86
	s_and_saveexec_b32 s10, s7
	s_xor_b32 s11, exec_lo, s10
	s_cbranch_execz .LBB2_2018
; %bb.2005:                             ;   in Loop: Header=BB2_1620 Depth=2
	v_and_b32_e32 v86, 0x7fffffff, v14
	v_mov_b32_e32 v87, v39
	v_and_b32_e32 v11, 0x80, v11
	s_delay_alu instid0(VALU_DEP_2) | instskip(SKIP_1) | instid1(SALU_CYCLE_1)
	v_cmp_gt_u64_e64 s7, 0x43e00001, v[86:87]
                                        ; implicit-def: $vgpr86
	s_and_saveexec_b32 s10, s7
	s_xor_b32 s28, exec_lo, s10
	s_cbranch_execz .LBB2_2015
; %bb.2006:                             ;   in Loop: Header=BB2_1620 Depth=2
	v_mov_b32_e32 v86, 0
	s_mov_b32 s29, exec_lo
	v_cmpx_ne_u32_e32 0, v14
	s_cbranch_execz .LBB2_2014
; %bb.2007:                             ;   in Loop: Header=BB2_1620 Depth=2
	v_bfe_u32 v45, v14, 23, 8
	v_and_b32_e32 v86, 0x7fffff, v14
	s_mov_b32 s40, exec_lo
	s_delay_alu instid0(VALU_DEP_2) | instskip(SKIP_1) | instid1(VALU_DEP_3)
	v_sub_nc_u32_e32 v15, 0x79, v45
	v_cmp_gt_u32_e64 s7, 0x7a, v45
	v_or_b32_e32 v87, 0x800000, v86
	s_delay_alu instid0(VALU_DEP_2) | instskip(SKIP_1) | instid1(VALU_DEP_1)
	v_cndmask_b32_e64 v15, 0, v15, s7
	v_cmp_eq_u32_e64 s7, 0, v45
	v_cndmask_b32_e64 v46, v15, 0x78, s7
	s_delay_alu instid0(VALU_DEP_4) | instskip(NEXT) | instid1(VALU_DEP_2)
	v_cndmask_b32_e64 v86, v87, v86, s7
	v_dual_mov_b32 v87, v39 :: v_dual_add_nc_u32 v47, 19, v46
	v_add_nc_u32_e32 v14, 20, v46
	s_delay_alu instid0(VALU_DEP_2) | instskip(NEXT) | instid1(VALU_DEP_2)
	v_lshlrev_b64_e64 v[56:57], v47, 1
	v_lshlrev_b64_e64 v[14:15], v14, -1
	s_delay_alu instid0(VALU_DEP_1) | instskip(NEXT) | instid1(VALU_DEP_2)
	v_bfi_b32 v59, v15, 0, 0
	v_bfi_b32 v58, v14, 0, v86
	v_lshrrev_b64 v[14:15], v46, v[86:87]
	s_delay_alu instid0(VALU_DEP_1) | instskip(NEXT) | instid1(VALU_DEP_3)
	v_mov_b64_e32 v[86:87], v[14:15]
	v_cmpx_eq_u64_e64 v[58:59], v[56:57]
; %bb.2008:                             ;   in Loop: Header=BB2_1620 Depth=2
	v_bfe_u32 v86, v14, 20, 1
	v_mov_b32_e32 v87, v39
	s_delay_alu instid0(VALU_DEP_1) | instskip(NEXT) | instid1(VALU_DEP_1)
	v_add_nc_u64_e32 v[86:87], v[14:15], v[86:87]
	v_add_nc_u64_e32 v[86:87], -1, v[86:87]
; %bb.2009:                             ;   in Loop: Header=BB2_1620 Depth=2
	s_or_b32 exec_lo, exec_lo, s40
	v_add_nc_u32_e32 v15, 0xffffff81, v45
	v_lshrrev_b32_e32 v87, 23, v14
	s_mov_b32 s10, exec_lo
	s_delay_alu instid0(VALU_DEP_2) | instskip(NEXT) | instid1(VALU_DEP_1)
	v_cndmask_b32_e64 v15, v15, 0xffffff82, s7
	v_add3_u32 v87, v46, v15, v87
	v_and_b32_e32 v15, 0xfffff, v86
                                        ; implicit-def: $vgpr86
	s_delay_alu instid0(VALU_DEP_1) | instskip(SKIP_1) | instid1(VALU_DEP_2)
	v_dual_add_nc_u32 v45, 6, v87 :: v_dual_add_nc_u32 v14, v15, v14
	v_mov_b32_e32 v15, v39
	v_cmpx_ne_u32_e32 0, v45
	s_xor_b32 s10, exec_lo, s10
; %bb.2010:                             ;   in Loop: Header=BB2_1620 Depth=2
	s_delay_alu instid0(VALU_DEP_2) | instskip(SKIP_1) | instid1(VALU_DEP_2)
	v_cmp_lt_u64_e64 s7, 0xffffff, v[14:15]
	v_add_nc_u32_e32 v86, 7, v87
	v_cndmask_b32_e64 v87, 0, 1, s7
	s_delay_alu instid0(VALU_DEP_2) | instskip(NEXT) | instid1(VALU_DEP_2)
	v_cndmask_b32_e64 v86, v45, v86, s7
	v_lshrrev_b64 v[14:15], v87, v[14:15]
; %bb.2011:                             ;   in Loop: Header=BB2_1620 Depth=2
	s_and_not1_saveexec_b32 s7, s10
; %bb.2012:                             ;   in Loop: Header=BB2_1620 Depth=2
	s_delay_alu instid0(VALU_DEP_1)
	v_bfe_u32 v86, v14, 23, 1
; %bb.2013:                             ;   in Loop: Header=BB2_1620 Depth=2
	s_or_b32 exec_lo, exec_lo, s7
	s_delay_alu instid0(VALU_DEP_2) | instskip(NEXT) | instid1(VALU_DEP_2)
	v_lshrrev_b64 v[14:15], 20, v[14:15]
	v_cmp_gt_i32_e64 s7, 16, v86
	v_min_i32_e32 v87, 15, v86
	v_cmp_eq_u32_e64 s10, 0, v86
	s_delay_alu instid0(VALU_DEP_3) | instskip(NEXT) | instid1(VALU_DEP_3)
	v_cndmask_b32_e64 v15, 0, v15, s7
	v_dual_lshlrev_b32 v87, 3, v87 :: v_dual_cndmask_b32 v14, 7, v14, s7
	s_delay_alu instid0(VALU_DEP_1) | instskip(NEXT) | instid1(VALU_DEP_2)
	v_and_b32_e32 v87, 0xf8, v87
	v_cmp_eq_u64_e64 s7, 0, v[14:15]
	s_delay_alu instid0(VALU_DEP_2)
	v_and_or_b32 v14, v14, 7, v87
	s_and_b32 s7, s10, s7
	s_delay_alu instid0(VALU_DEP_1) | instid1(SALU_CYCLE_1)
	v_cndmask_b32_e64 v14, v14, 0, s7
	s_delay_alu instid0(VALU_DEP_1)
	v_or_b32_e32 v86, v14, v11
.LBB2_2014:                             ;   in Loop: Header=BB2_1620 Depth=2
	s_or_b32 exec_lo, exec_lo, s29
                                        ; implicit-def: $vgpr11
.LBB2_2015:                             ;   in Loop: Header=BB2_1620 Depth=2
	s_and_not1_saveexec_b32 s7, s28
; %bb.2016:                             ;   in Loop: Header=BB2_1620 Depth=2
	v_or_b32_e32 v86, 0x7e, v11
; %bb.2017:                             ;   in Loop: Header=BB2_1620 Depth=2
	s_or_b32 exec_lo, exec_lo, s7
                                        ; implicit-def: $vgpr11
.LBB2_2018:                             ;   in Loop: Header=BB2_1620 Depth=2
	s_and_not1_saveexec_b32 s7, s11
; %bb.2019:                             ;   in Loop: Header=BB2_1620 Depth=2
	v_or_b32_e32 v86, 0x7f, v11
; %bb.2020:                             ;   in Loop: Header=BB2_1620 Depth=2
	s_or_b32 exec_lo, exec_lo, s7
	v_lshrrev_b16 v14, 8, v38
	v_mov_b32_e32 v11, 0
	s_mov_b32 s10, exec_lo
	s_delay_alu instid0(VALU_DEP_2)
	v_cmpx_ne_u16_e32 0, v14
	s_cbranch_execz .LBB2_2028
; %bb.2021:                             ;   in Loop: Header=BB2_1620 Depth=2
	v_bfrev_b32_e32 v11, 1
	s_mov_b32 s11, exec_lo
	v_cmpx_ne_u16_e32 0x80, v14
	s_cbranch_execz .LBB2_2027
; %bb.2022:                             ;   in Loop: Header=BB2_1620 Depth=2
	v_and_b32_e32 v14, 0xffff, v14
	v_mov_b32_e32 v11, 0x7f800001
	s_mov_b32 s28, exec_lo
	s_delay_alu instid0(VALU_DEP_2) | instskip(NEXT) | instid1(VALU_DEP_1)
	v_and_b32_e32 v87, 0x7f, v14
	v_cmpx_ne_u32_e32 0x7f, v87
	s_cbranch_execz .LBB2_2026
; %bb.2023:                             ;   in Loop: Header=BB2_1620 Depth=2
	v_dual_mov_b32 v15, v39 :: v_dual_bitop2_b32 v14, 7, v14 bitop3:0x40
	v_lshrrev_b32_e32 v11, 3, v87
	s_mov_b32 s29, exec_lo
	v_cmpx_gt_u32_e32 8, v87
; %bb.2024:                             ;   in Loop: Header=BB2_1620 Depth=2
	s_delay_alu instid0(VALU_DEP_3) | instskip(NEXT) | instid1(VALU_DEP_1)
	v_clz_i32_u32_e32 v11, v14
	v_min_u32_e32 v11, 32, v11
	s_delay_alu instid0(VALU_DEP_1) | instskip(NEXT) | instid1(VALU_DEP_1)
	v_subrev_nc_u32_e32 v87, 28, v11
	v_lshlrev_b64_e32 v[14:15], v87, v[14:15]
	s_delay_alu instid0(VALU_DEP_1)
	v_dual_sub_nc_u32 v11, 29, v11 :: v_dual_bitop2_b32 v14, 7, v14 bitop3:0x40
; %bb.2025:                             ;   in Loop: Header=BB2_1620 Depth=2
	s_or_b32 exec_lo, exec_lo, s29
	v_lshlrev_b32_e32 v15, 16, v38
	s_delay_alu instid0(VALU_DEP_2) | instskip(NEXT) | instid1(VALU_DEP_3)
	v_lshlrev_b32_e32 v14, 20, v14
	v_lshl_add_u32 v11, v11, 23, 0x3c000000
	s_delay_alu instid0(VALU_DEP_3) | instskip(NEXT) | instid1(VALU_DEP_1)
	v_and_b32_e32 v15, 0x80000000, v15
	v_or3_b32 v11, v14, v15, v11
.LBB2_2026:                             ;   in Loop: Header=BB2_1620 Depth=2
	s_or_b32 exec_lo, exec_lo, s28
.LBB2_2027:                             ;   in Loop: Header=BB2_1620 Depth=2
	s_delay_alu instid0(SALU_CYCLE_1)
	s_or_b32 exec_lo, exec_lo, s11
.LBB2_2028:                             ;   in Loop: Header=BB2_1620 Depth=2
	s_delay_alu instid0(SALU_CYCLE_1) | instskip(SKIP_3) | instid1(VALU_DEP_1)
	s_or_b32 exec_lo, exec_lo, s10
	v_lshrrev_b16 v14, 8, v10
	s_mov_b32 s11, 0
	s_mov_b32 s10, exec_lo
	v_cmpx_lt_i16_e32 0x7f, v14
	s_xor_b32 s10, exec_lo, s10
	s_cbranch_execz .LBB2_2035
; %bb.2029:                             ;   in Loop: Header=BB2_1620 Depth=2
	s_mov_b32 s11, -1
	s_mov_b32 s28, exec_lo
	v_cmpx_eq_u16_e32 0x80, v14
; %bb.2030:                             ;   in Loop: Header=BB2_1620 Depth=2
	s_xor_b32 s11, exec_lo, -1
; %bb.2031:                             ;   in Loop: Header=BB2_1620 Depth=2
	s_or_b32 exec_lo, exec_lo, s28
	s_delay_alu instid0(SALU_CYCLE_1)
	s_and_b32 s11, s11, exec_lo
	s_or_saveexec_b32 s10, s10
	v_bfrev_b32_e32 v15, 1
	s_xor_b32 exec_lo, exec_lo, s10
	s_cbranch_execnz .LBB2_2036
.LBB2_2032:                             ;   in Loop: Header=BB2_1620 Depth=2
	s_or_b32 exec_lo, exec_lo, s10
	s_and_saveexec_b32 s10, s11
	s_cbranch_execnz .LBB2_2037
	s_branch .LBB2_2040
.LBB2_2033:                             ;   in Loop: Header=BB2_1620 Depth=2
	s_or_saveexec_b32 s11, s11
	v_bfrev_b32_e32 v15, 1
	s_xor_b32 exec_lo, exec_lo, s11
	s_cbranch_execz .LBB2_2002
.LBB2_2034:                             ;   in Loop: Header=BB2_1620 Depth=2
	v_cmp_ne_u16_e64 s7, 0, v11
	v_mov_b32_e32 v15, 0
	s_and_not1_b32 s10, s10, exec_lo
	s_and_b32 s7, s7, exec_lo
	s_delay_alu instid0(SALU_CYCLE_1)
	s_or_b32 s10, s10, s7
	s_or_b32 exec_lo, exec_lo, s11
	v_mov_b32_e32 v11, v39
	s_and_saveexec_b32 s11, s10
	s_cbranch_execnz .LBB2_2003
	s_branch .LBB2_2004
.LBB2_2035:                             ;   in Loop: Header=BB2_1620 Depth=2
	s_or_saveexec_b32 s10, s10
	v_bfrev_b32_e32 v15, 1
	s_xor_b32 exec_lo, exec_lo, s10
	s_cbranch_execz .LBB2_2032
.LBB2_2036:                             ;   in Loop: Header=BB2_1620 Depth=2
	v_cmp_ne_u16_e64 s7, 0, v14
	v_mov_b32_e32 v15, 0
	s_and_not1_b32 s11, s11, exec_lo
	s_and_b32 s7, s7, exec_lo
	s_delay_alu instid0(SALU_CYCLE_1)
	s_or_b32 s11, s11, s7
	s_or_b32 exec_lo, exec_lo, s10
	s_and_saveexec_b32 s10, s11
	s_cbranch_execz .LBB2_2040
.LBB2_2037:                             ;   in Loop: Header=BB2_1620 Depth=2
	v_and_b32_e32 v10, 0xffff, v14
	v_mov_b32_e32 v15, 0x7f800001
	s_mov_b32 s11, exec_lo
	s_delay_alu instid0(VALU_DEP_2) | instskip(NEXT) | instid1(VALU_DEP_1)
	v_and_b32_e32 v38, 0x7f, v10
	v_cmpx_ne_u32_e32 0x7f, v38
	s_cbranch_execz .LBB2_2039
; %bb.2038:                             ;   in Loop: Header=BB2_1620 Depth=2
	v_and_b32_e32 v15, 7, v10
	v_cmp_gt_u32_e64 s7, 8, v38
	s_delay_alu instid0(VALU_DEP_2) | instskip(NEXT) | instid1(VALU_DEP_1)
	v_clz_i32_u32_e32 v87, v15
	v_min_u32_e32 v87, 32, v87
	s_delay_alu instid0(VALU_DEP_1) | instskip(SKIP_1) | instid1(VALU_DEP_2)
	v_subrev_nc_u32_e32 v45, 28, v87
	v_sub_nc_u32_e32 v87, 29, v87
	v_lshlrev_b64_e32 v[46:47], v45, v[10:11]
	v_lshrrev_b32_e32 v10, 3, v38
	s_delay_alu instid0(VALU_DEP_2) | instskip(NEXT) | instid1(VALU_DEP_1)
	v_and_b32_e32 v38, 7, v46
	v_cndmask_b32_e64 v15, v15, v38, s7
	s_delay_alu instid0(VALU_DEP_3) | instskip(NEXT) | instid1(VALU_DEP_2)
	v_dual_lshlrev_b32 v14, 24, v14 :: v_dual_cndmask_b32 v10, v10, v87, s7
	v_lshlrev_b32_e32 v15, 20, v15
	s_delay_alu instid0(VALU_DEP_2) | instskip(NEXT) | instid1(VALU_DEP_3)
	v_and_b32_e32 v14, 0x80000000, v14
	v_lshl_add_u32 v10, v10, 23, 0x3c000000
	s_delay_alu instid0(VALU_DEP_1)
	v_or3_b32 v15, v15, v14, v10
.LBB2_2039:                             ;   in Loop: Header=BB2_1620 Depth=2
	s_or_b32 exec_lo, exec_lo, s11
.LBB2_2040:                             ;   in Loop: Header=BB2_1620 Depth=2
	s_delay_alu instid0(SALU_CYCLE_1) | instskip(NEXT) | instid1(VALU_DEP_1)
	s_or_b32 exec_lo, exec_lo, s10
	v_mul_f32_e32 v10, v11, v15
                                        ; implicit-def: $vgpr87
	s_mov_b32 s10, exec_lo
	s_delay_alu instid0(VALU_DEP_1) | instskip(SKIP_1) | instid1(VALU_DEP_2)
	v_and_b32_e32 v38, 0x7f800000, v10
	v_lshrrev_b32_e32 v11, 24, v10
	v_cmpx_ne_u64_e32 0x7f800000, v[38:39]
	s_xor_b32 s11, exec_lo, s10
	s_cbranch_execz .LBB2_2054
; %bb.2041:                             ;   in Loop: Header=BB2_1620 Depth=2
	v_and_b32_e32 v38, 0x7fffffff, v10
	v_and_b32_e32 v45, 0x80, v11
                                        ; implicit-def: $vgpr87
	s_mov_b32 s10, exec_lo
	s_delay_alu instid0(VALU_DEP_2)
	v_cmpx_gt_u64_e32 0x43e00001, v[38:39]
	s_xor_b32 s28, exec_lo, s10
	s_cbranch_execz .LBB2_2051
; %bb.2042:                             ;   in Loop: Header=BB2_1620 Depth=2
	v_mov_b32_e32 v87, 0
	s_mov_b32 s29, exec_lo
	v_cmpx_ne_u32_e32 0, v10
	s_cbranch_execz .LBB2_2050
; %bb.2043:                             ;   in Loop: Header=BB2_1620 Depth=2
	v_bfe_u32 v87, v10, 23, 8
	v_and_b32_e32 v14, 0x7fffff, v10
	s_delay_alu instid0(VALU_DEP_2) | instskip(SKIP_1) | instid1(VALU_DEP_3)
	v_sub_nc_u32_e32 v11, 0x79, v87
	v_cmp_gt_u32_e64 s7, 0x7a, v87
	v_or_b32_e32 v15, 0x800000, v14
	s_delay_alu instid0(VALU_DEP_2) | instskip(SKIP_1) | instid1(VALU_DEP_1)
	v_cndmask_b32_e64 v11, 0, v11, s7
	v_cmp_eq_u32_e64 s7, 0, v87
	v_cndmask_b32_e64 v46, v11, 0x78, s7
	s_delay_alu instid0(VALU_DEP_4) | instskip(NEXT) | instid1(VALU_DEP_2)
	v_cndmask_b32_e64 v38, v15, v14, s7
	v_dual_add_nc_u32 v10, 20, v46 :: v_dual_add_nc_u32 v47, 19, v46
	s_delay_alu instid0(VALU_DEP_1) | instskip(NEXT) | instid1(VALU_DEP_2)
	v_lshlrev_b64_e64 v[10:11], v10, -1
	v_lshlrev_b64_e64 v[14:15], v47, 1
	s_delay_alu instid0(VALU_DEP_2) | instskip(NEXT) | instid1(VALU_DEP_3)
	v_bfi_b32 v57, v11, 0, 0
	v_bfi_b32 v56, v10, 0, v38
	v_lshrrev_b64 v[10:11], v46, v[38:39]
	s_delay_alu instid0(VALU_DEP_2) | instskip(NEXT) | instid1(VALU_DEP_2)
	v_cmp_eq_u64_e64 s10, v[56:57], v[14:15]
	v_mov_b64_e32 v[14:15], v[10:11]
	s_and_saveexec_b32 s40, s10
; %bb.2044:                             ;   in Loop: Header=BB2_1620 Depth=2
	v_bfe_u32 v38, v10, 20, 1
	s_delay_alu instid0(VALU_DEP_1) | instskip(NEXT) | instid1(VALU_DEP_1)
	v_add_nc_u64_e32 v[14:15], v[10:11], v[38:39]
	v_add_nc_u64_e32 v[14:15], -1, v[14:15]
; %bb.2045:                             ;   in Loop: Header=BB2_1620 Depth=2
	s_or_b32 exec_lo, exec_lo, s40
	v_add_nc_u32_e32 v11, 0xffffff81, v87
	v_lshrrev_b32_e32 v15, 23, v10
	s_mov_b32 s10, exec_lo
	s_delay_alu instid0(VALU_DEP_2) | instskip(NEXT) | instid1(VALU_DEP_1)
	v_cndmask_b32_e64 v11, v11, 0xffffff82, s7
	v_add3_u32 v15, v46, v11, v15
	v_and_b32_e32 v11, 0xfffff, v14
                                        ; implicit-def: $vgpr14
	s_delay_alu instid0(VALU_DEP_1) | instskip(NEXT) | instid1(VALU_DEP_1)
	v_dual_add_nc_u32 v87, 6, v15 :: v_dual_add_nc_u32 v38, v11, v10
                                        ; implicit-def: $vgpr10_vgpr11
	v_cmpx_ne_u32_e32 0, v87
	s_xor_b32 s10, exec_lo, s10
; %bb.2046:                             ;   in Loop: Header=BB2_1620 Depth=2
	s_delay_alu instid0(VALU_DEP_2) | instskip(SKIP_1) | instid1(VALU_DEP_1)
	v_cmp_lt_u64_e64 s7, 0xffffff, v[38:39]
	v_add_nc_u32_e32 v10, 7, v15
	v_cndmask_b32_e64 v14, v87, v10, s7
	v_cndmask_b32_e64 v10, 0, 1, s7
	s_delay_alu instid0(VALU_DEP_1)
	v_lshrrev_b64 v[10:11], v10, v[38:39]
; %bb.2047:                             ;   in Loop: Header=BB2_1620 Depth=2
	s_and_not1_saveexec_b32 s7, s10
; %bb.2048:                             ;   in Loop: Header=BB2_1620 Depth=2
	v_mov_b64_e32 v[10:11], v[38:39]
	v_bfe_u32 v14, v38, 23, 1
; %bb.2049:                             ;   in Loop: Header=BB2_1620 Depth=2
	s_or_b32 exec_lo, exec_lo, s7
	s_delay_alu instid0(VALU_DEP_2) | instskip(NEXT) | instid1(VALU_DEP_2)
	v_lshrrev_b64 v[10:11], 20, v[10:11]
	v_cmp_gt_i32_e64 s7, 16, v14
	v_min_i32_e32 v15, 15, v14
	v_cmp_eq_u32_e64 s10, 0, v14
	s_delay_alu instid0(VALU_DEP_3) | instskip(NEXT) | instid1(VALU_DEP_3)
	v_cndmask_b32_e64 v11, 0, v11, s7
	v_dual_lshlrev_b32 v15, 3, v15 :: v_dual_cndmask_b32 v10, 7, v10, s7
	s_delay_alu instid0(VALU_DEP_1) | instskip(NEXT) | instid1(VALU_DEP_2)
	v_and_b32_e32 v15, 0xf8, v15
	v_cmp_eq_u64_e64 s7, 0, v[10:11]
	s_delay_alu instid0(VALU_DEP_2)
	v_and_or_b32 v10, v10, 7, v15
	s_and_b32 s7, s10, s7
	s_delay_alu instid0(VALU_DEP_1) | instid1(SALU_CYCLE_1)
	v_cndmask_b32_e64 v10, v10, 0, s7
	s_delay_alu instid0(VALU_DEP_1)
	v_or_b32_e32 v87, v10, v45
.LBB2_2050:                             ;   in Loop: Header=BB2_1620 Depth=2
	s_or_b32 exec_lo, exec_lo, s29
                                        ; implicit-def: $vgpr45
.LBB2_2051:                             ;   in Loop: Header=BB2_1620 Depth=2
	s_and_not1_saveexec_b32 s7, s28
; %bb.2052:                             ;   in Loop: Header=BB2_1620 Depth=2
	v_or_b32_e32 v87, 0x7e, v45
; %bb.2053:                             ;   in Loop: Header=BB2_1620 Depth=2
	s_or_b32 exec_lo, exec_lo, s7
                                        ; implicit-def: $vgpr11
.LBB2_2054:                             ;   in Loop: Header=BB2_1620 Depth=2
	s_and_not1_saveexec_b32 s7, s11
; %bb.2055:                             ;   in Loop: Header=BB2_1620 Depth=2
	v_or_b32_e32 v87, 0x7f, v11
; %bb.2056:                             ;   in Loop: Header=BB2_1620 Depth=2
	s_or_b32 exec_lo, exec_lo, s7
	v_dual_mov_b32 v11, 0 :: v_dual_lshrrev_b32 v10, 16, v17
	s_mov_b32 s10, exec_lo
	s_delay_alu instid0(VALU_DEP_1) | instskip(NEXT) | instid1(VALU_DEP_1)
	v_and_b32_e32 v14, 0xff, v10
	v_cmpx_ne_u16_e32 0, v14
	s_cbranch_execz .LBB2_2064
; %bb.2057:                             ;   in Loop: Header=BB2_1620 Depth=2
	v_bfrev_b32_e32 v11, 1
	s_mov_b32 s11, exec_lo
	v_cmpx_ne_u16_e32 0x80, v14
	s_cbranch_execz .LBB2_2063
; %bb.2058:                             ;   in Loop: Header=BB2_1620 Depth=2
	v_bfe_u32 v14, v17, 16, 7
	v_mov_b32_e32 v11, 0x7f800001
	s_mov_b32 s28, exec_lo
	s_delay_alu instid0(VALU_DEP_2)
	v_cmpx_ne_u32_e32 0x7f, v14
	s_cbranch_execz .LBB2_2062
; %bb.2059:                             ;   in Loop: Header=BB2_1620 Depth=2
	v_and_b32_e32 v38, 7, v10
	v_lshrrev_b32_e32 v11, 3, v14
	s_mov_b32 s29, exec_lo
	v_cmpx_gt_u32_e32 8, v14
; %bb.2060:                             ;   in Loop: Header=BB2_1620 Depth=2
	s_delay_alu instid0(VALU_DEP_3) | instskip(NEXT) | instid1(VALU_DEP_1)
	v_clz_i32_u32_e32 v11, v38
	v_min_u32_e32 v11, 32, v11
	s_delay_alu instid0(VALU_DEP_1) | instskip(NEXT) | instid1(VALU_DEP_1)
	v_subrev_nc_u32_e32 v14, 28, v11
	v_lshlrev_b64_e32 v[14:15], v14, v[38:39]
	s_delay_alu instid0(VALU_DEP_1)
	v_dual_sub_nc_u32 v11, 29, v11 :: v_dual_bitop2_b32 v38, 7, v14 bitop3:0x40
; %bb.2061:                             ;   in Loop: Header=BB2_1620 Depth=2
	s_or_b32 exec_lo, exec_lo, s29
	v_lshlrev_b32_e32 v10, 24, v10
	s_delay_alu instid0(VALU_DEP_2) | instskip(NEXT) | instid1(VALU_DEP_3)
	v_lshlrev_b32_e32 v14, 20, v38
	v_lshl_add_u32 v11, v11, 23, 0x3c000000
	s_delay_alu instid0(VALU_DEP_3) | instskip(NEXT) | instid1(VALU_DEP_1)
	v_and_b32_e32 v10, 0x80000000, v10
	v_or3_b32 v11, v14, v10, v11
.LBB2_2062:                             ;   in Loop: Header=BB2_1620 Depth=2
	s_or_b32 exec_lo, exec_lo, s28
.LBB2_2063:                             ;   in Loop: Header=BB2_1620 Depth=2
	s_delay_alu instid0(SALU_CYCLE_1)
	s_or_b32 exec_lo, exec_lo, s11
.LBB2_2064:                             ;   in Loop: Header=BB2_1620 Depth=2
	s_delay_alu instid0(SALU_CYCLE_1) | instskip(SKIP_3) | instid1(VALU_DEP_1)
	s_or_b32 exec_lo, exec_lo, s10
	v_lshrrev_b32_e32 v10, 16, v13
	s_mov_b32 s11, 0
	s_mov_b32 s10, exec_lo
	v_and_b32_e32 v15, 0xff, v10
	s_delay_alu instid0(VALU_DEP_1)
	v_cmpx_lt_i16_e32 0x7f, v15
	s_xor_b32 s10, exec_lo, s10
	s_cbranch_execz .LBB2_2069
; %bb.2065:                             ;   in Loop: Header=BB2_1620 Depth=2
	s_mov_b32 s11, -1
	s_mov_b32 s28, exec_lo
	v_cmpx_eq_u16_e32 0x80, v15
; %bb.2066:                             ;   in Loop: Header=BB2_1620 Depth=2
	s_xor_b32 s11, exec_lo, -1
; %bb.2067:                             ;   in Loop: Header=BB2_1620 Depth=2
	s_or_b32 exec_lo, exec_lo, s28
	s_delay_alu instid0(SALU_CYCLE_1)
	s_and_b32 s11, s11, exec_lo
                                        ; implicit-def: $vgpr15
	s_or_saveexec_b32 s10, s10
	v_bfrev_b32_e32 v14, 1
	s_xor_b32 exec_lo, exec_lo, s10
	s_cbranch_execnz .LBB2_2070
.LBB2_2068:                             ;   in Loop: Header=BB2_1620 Depth=2
	s_or_b32 exec_lo, exec_lo, s10
	s_and_saveexec_b32 s10, s11
	s_cbranch_execnz .LBB2_2071
	s_branch .LBB2_2074
.LBB2_2069:                             ;   in Loop: Header=BB2_1620 Depth=2
	s_or_saveexec_b32 s10, s10
	v_bfrev_b32_e32 v14, 1
	s_xor_b32 exec_lo, exec_lo, s10
	s_cbranch_execz .LBB2_2068
.LBB2_2070:                             ;   in Loop: Header=BB2_1620 Depth=2
	v_cmp_ne_u16_e64 s7, 0, v15
	v_mov_b32_e32 v14, 0
	s_and_not1_b32 s11, s11, exec_lo
	s_and_b32 s7, s7, exec_lo
	s_delay_alu instid0(SALU_CYCLE_1)
	s_or_b32 s11, s11, s7
	s_or_b32 exec_lo, exec_lo, s10
	s_and_saveexec_b32 s10, s11
	s_cbranch_execz .LBB2_2074
.LBB2_2071:                             ;   in Loop: Header=BB2_1620 Depth=2
	v_and_b32_e32 v15, 0x7f, v10
	v_mov_b32_e32 v14, 0x7f800001
	s_mov_b32 s11, exec_lo
	s_delay_alu instid0(VALU_DEP_2)
	v_cmpx_ne_u32_e32 0x7f, v15
	s_cbranch_execz .LBB2_2073
; %bb.2072:                             ;   in Loop: Header=BB2_1620 Depth=2
	v_and_b32_e32 v14, 7, v10
	v_cmp_gt_u32_e64 s7, 8, v15
	s_delay_alu instid0(VALU_DEP_2) | instskip(NEXT) | instid1(VALU_DEP_1)
	v_clz_i32_u32_e32 v38, v14
	v_min_u32_e32 v38, 32, v38
	s_delay_alu instid0(VALU_DEP_1) | instskip(NEXT) | instid1(VALU_DEP_1)
	v_subrev_nc_u32_e32 v45, 28, v38
	v_lshlrev_b64_e32 v[46:47], v45, v[10:11]
	v_dual_lshrrev_b32 v45, 3, v15 :: v_dual_lshlrev_b32 v10, 24, v10
	s_delay_alu instid0(VALU_DEP_1) | instskip(NEXT) | instid1(VALU_DEP_3)
	v_and_b32_e32 v10, 0x80000000, v10
	v_and_b32_e32 v15, 7, v46
	s_delay_alu instid0(VALU_DEP_1) | instskip(NEXT) | instid1(VALU_DEP_1)
	v_dual_sub_nc_u32 v38, 29, v38 :: v_dual_cndmask_b32 v14, v14, v15, s7
	v_cndmask_b32_e64 v38, v45, v38, s7
	s_delay_alu instid0(VALU_DEP_2) | instskip(NEXT) | instid1(VALU_DEP_2)
	v_lshlrev_b32_e32 v14, 20, v14
	v_lshl_add_u32 v15, v38, 23, 0x3c000000
	s_delay_alu instid0(VALU_DEP_1)
	v_or3_b32 v14, v14, v10, v15
.LBB2_2073:                             ;   in Loop: Header=BB2_1620 Depth=2
	s_or_b32 exec_lo, exec_lo, s11
.LBB2_2074:                             ;   in Loop: Header=BB2_1620 Depth=2
	s_delay_alu instid0(SALU_CYCLE_1) | instskip(NEXT) | instid1(VALU_DEP_1)
	s_or_b32 exec_lo, exec_lo, s10
	v_mul_f32_e32 v10, v11, v14
                                        ; implicit-def: $vgpr14
	s_mov_b32 s10, exec_lo
	s_delay_alu instid0(VALU_DEP_1) | instskip(SKIP_1) | instid1(VALU_DEP_2)
	v_and_b32_e32 v38, 0x7f800000, v10
	v_lshrrev_b32_e32 v11, 24, v10
	v_cmpx_ne_u64_e32 0x7f800000, v[38:39]
	s_xor_b32 s11, exec_lo, s10
	s_cbranch_execz .LBB2_2088
; %bb.2075:                             ;   in Loop: Header=BB2_1620 Depth=2
	v_and_b32_e32 v38, 0x7fffffff, v10
	v_and_b32_e32 v45, 0x80, v11
                                        ; implicit-def: $vgpr14
	s_mov_b32 s10, exec_lo
	s_delay_alu instid0(VALU_DEP_2)
	v_cmpx_gt_u64_e32 0x43e00001, v[38:39]
	s_xor_b32 s28, exec_lo, s10
	s_cbranch_execz .LBB2_2085
; %bb.2076:                             ;   in Loop: Header=BB2_1620 Depth=2
	v_mov_b32_e32 v14, 0
	s_mov_b32 s29, exec_lo
	v_cmpx_ne_u32_e32 0, v10
	s_cbranch_execz .LBB2_2084
; %bb.2077:                             ;   in Loop: Header=BB2_1620 Depth=2
	v_bfe_u32 v46, v10, 23, 8
	v_and_b32_e32 v14, 0x7fffff, v10
	s_delay_alu instid0(VALU_DEP_2) | instskip(SKIP_1) | instid1(VALU_DEP_3)
	v_sub_nc_u32_e32 v11, 0x79, v46
	v_cmp_gt_u32_e64 s7, 0x7a, v46
	v_or_b32_e32 v15, 0x800000, v14
	s_delay_alu instid0(VALU_DEP_2) | instskip(SKIP_1) | instid1(VALU_DEP_1)
	v_cndmask_b32_e64 v11, 0, v11, s7
	v_cmp_eq_u32_e64 s7, 0, v46
	v_cndmask_b32_e64 v38, v15, v14, s7
	s_delay_alu instid0(VALU_DEP_3) | instskip(NEXT) | instid1(VALU_DEP_1)
	v_cndmask_b32_e64 v47, v11, 0x78, s7
	v_dual_add_nc_u32 v10, 20, v47 :: v_dual_add_nc_u32 v56, 19, v47
	s_delay_alu instid0(VALU_DEP_1) | instskip(NEXT) | instid1(VALU_DEP_2)
	v_lshlrev_b64_e64 v[10:11], v10, -1
	v_lshlrev_b64_e64 v[14:15], v56, 1
	s_delay_alu instid0(VALU_DEP_2) | instskip(NEXT) | instid1(VALU_DEP_3)
	v_bfi_b32 v57, v11, 0, 0
	v_bfi_b32 v56, v10, 0, v38
	v_lshrrev_b64 v[10:11], v47, v[38:39]
	s_delay_alu instid0(VALU_DEP_2) | instskip(NEXT) | instid1(VALU_DEP_2)
	v_cmp_eq_u64_e64 s10, v[56:57], v[14:15]
	v_mov_b64_e32 v[14:15], v[10:11]
	s_and_saveexec_b32 s40, s10
; %bb.2078:                             ;   in Loop: Header=BB2_1620 Depth=2
	v_bfe_u32 v38, v10, 20, 1
	s_delay_alu instid0(VALU_DEP_1) | instskip(NEXT) | instid1(VALU_DEP_1)
	v_add_nc_u64_e32 v[14:15], v[10:11], v[38:39]
	v_add_nc_u64_e32 v[14:15], -1, v[14:15]
; %bb.2079:                             ;   in Loop: Header=BB2_1620 Depth=2
	s_or_b32 exec_lo, exec_lo, s40
	v_add_nc_u32_e32 v11, 0xffffff81, v46
	v_lshrrev_b32_e32 v15, 23, v10
	s_mov_b32 s10, exec_lo
	s_delay_alu instid0(VALU_DEP_2) | instskip(NEXT) | instid1(VALU_DEP_1)
	v_cndmask_b32_e64 v11, v11, 0xffffff82, s7
	v_add3_u32 v15, v47, v11, v15
	v_and_b32_e32 v11, 0xfffff, v14
                                        ; implicit-def: $vgpr14
	s_delay_alu instid0(VALU_DEP_1) | instskip(NEXT) | instid1(VALU_DEP_1)
	v_dual_add_nc_u32 v46, 6, v15 :: v_dual_add_nc_u32 v38, v11, v10
                                        ; implicit-def: $vgpr10_vgpr11
	v_cmpx_ne_u32_e32 0, v46
	s_xor_b32 s10, exec_lo, s10
; %bb.2080:                             ;   in Loop: Header=BB2_1620 Depth=2
	s_delay_alu instid0(VALU_DEP_2) | instskip(SKIP_1) | instid1(VALU_DEP_1)
	v_cmp_lt_u64_e64 s7, 0xffffff, v[38:39]
	v_add_nc_u32_e32 v10, 7, v15
	v_cndmask_b32_e64 v14, v46, v10, s7
	v_cndmask_b32_e64 v10, 0, 1, s7
	s_delay_alu instid0(VALU_DEP_1)
	v_lshrrev_b64 v[10:11], v10, v[38:39]
; %bb.2081:                             ;   in Loop: Header=BB2_1620 Depth=2
	s_and_not1_saveexec_b32 s7, s10
; %bb.2082:                             ;   in Loop: Header=BB2_1620 Depth=2
	v_mov_b64_e32 v[10:11], v[38:39]
	v_bfe_u32 v14, v38, 23, 1
; %bb.2083:                             ;   in Loop: Header=BB2_1620 Depth=2
	s_or_b32 exec_lo, exec_lo, s7
	s_delay_alu instid0(VALU_DEP_2) | instskip(NEXT) | instid1(VALU_DEP_2)
	v_lshrrev_b64 v[10:11], 20, v[10:11]
	v_cmp_gt_i32_e64 s7, 16, v14
	v_min_i32_e32 v15, 15, v14
	v_cmp_eq_u32_e64 s10, 0, v14
	s_delay_alu instid0(VALU_DEP_3) | instskip(NEXT) | instid1(VALU_DEP_3)
	v_cndmask_b32_e64 v11, 0, v11, s7
	v_dual_lshlrev_b32 v15, 3, v15 :: v_dual_cndmask_b32 v10, 7, v10, s7
	s_delay_alu instid0(VALU_DEP_1) | instskip(NEXT) | instid1(VALU_DEP_2)
	v_and_b32_e32 v15, 0xf8, v15
	v_cmp_eq_u64_e64 s7, 0, v[10:11]
	s_delay_alu instid0(VALU_DEP_2)
	v_and_or_b32 v10, v10, 7, v15
	s_and_b32 s7, s10, s7
	s_delay_alu instid0(VALU_DEP_1) | instid1(SALU_CYCLE_1)
	v_cndmask_b32_e64 v10, v10, 0, s7
	s_delay_alu instid0(VALU_DEP_1)
	v_or_b32_e32 v14, v10, v45
.LBB2_2084:                             ;   in Loop: Header=BB2_1620 Depth=2
	s_or_b32 exec_lo, exec_lo, s29
                                        ; implicit-def: $vgpr45
.LBB2_2085:                             ;   in Loop: Header=BB2_1620 Depth=2
	s_and_not1_saveexec_b32 s7, s28
; %bb.2086:                             ;   in Loop: Header=BB2_1620 Depth=2
	v_or_b32_e32 v14, 0x7e, v45
; %bb.2087:                             ;   in Loop: Header=BB2_1620 Depth=2
	s_or_b32 exec_lo, exec_lo, s7
                                        ; implicit-def: $vgpr11
.LBB2_2088:                             ;   in Loop: Header=BB2_1620 Depth=2
	s_and_not1_saveexec_b32 s7, s11
; %bb.2089:                             ;   in Loop: Header=BB2_1620 Depth=2
	v_or_b32_e32 v14, 0x7f, v11
; %bb.2090:                             ;   in Loop: Header=BB2_1620 Depth=2
	s_or_b32 exec_lo, exec_lo, s7
	v_mov_b32_e32 v11, 0
	s_mov_b32 s10, exec_lo
	v_cmpx_lt_u64_e64 s[12:13], v[16:17]
	s_cbranch_execz .LBB2_2098
; %bb.2091:                             ;   in Loop: Header=BB2_1620 Depth=2
	v_lshrrev_b32_e32 v10, 24, v17
	v_bfrev_b32_e32 v11, 1
	s_mov_b32 s11, exec_lo
	s_delay_alu instid0(VALU_DEP_2)
	v_cmpx_ne_u32_e32 0x80, v10
	s_cbranch_execz .LBB2_2097
; %bb.2092:                             ;   in Loop: Header=BB2_1620 Depth=2
	v_bfe_u32 v15, v17, 24, 7
	v_mov_b32_e32 v11, 0x7f800001
	s_mov_b32 s28, exec_lo
	s_delay_alu instid0(VALU_DEP_2)
	v_cmpx_ne_u32_e32 0x7f, v15
	s_cbranch_execz .LBB2_2096
; %bb.2093:                             ;   in Loop: Header=BB2_1620 Depth=2
	v_dual_lshrrev_b32 v11, 3, v15 :: v_dual_bitop2_b32 v38, 7, v10 bitop3:0x40
	s_mov_b32 s29, exec_lo
	v_cmpx_gt_u32_e32 8, v15
; %bb.2094:                             ;   in Loop: Header=BB2_1620 Depth=2
	s_delay_alu instid0(VALU_DEP_2) | instskip(NEXT) | instid1(VALU_DEP_1)
	v_clz_i32_u32_e32 v11, v38
	v_min_u32_e32 v11, 32, v11
	s_delay_alu instid0(VALU_DEP_1) | instskip(NEXT) | instid1(VALU_DEP_1)
	v_subrev_nc_u32_e32 v15, 28, v11
	v_lshlrev_b64_e32 v[16:17], v15, v[38:39]
	s_delay_alu instid0(VALU_DEP_1)
	v_dual_sub_nc_u32 v11, 29, v11 :: v_dual_bitop2_b32 v38, 7, v16 bitop3:0x40
; %bb.2095:                             ;   in Loop: Header=BB2_1620 Depth=2
	s_or_b32 exec_lo, exec_lo, s29
	v_lshlrev_b32_e32 v10, 24, v10
	s_delay_alu instid0(VALU_DEP_2) | instskip(NEXT) | instid1(VALU_DEP_3)
	v_lshlrev_b32_e32 v15, 20, v38
	v_lshl_add_u32 v11, v11, 23, 0x3c000000
	s_delay_alu instid0(VALU_DEP_3) | instskip(NEXT) | instid1(VALU_DEP_1)
	v_and_b32_e32 v10, 0x80000000, v10
	v_or3_b32 v11, v15, v10, v11
.LBB2_2096:                             ;   in Loop: Header=BB2_1620 Depth=2
	s_or_b32 exec_lo, exec_lo, s28
.LBB2_2097:                             ;   in Loop: Header=BB2_1620 Depth=2
	s_delay_alu instid0(SALU_CYCLE_1)
	s_or_b32 exec_lo, exec_lo, s11
.LBB2_2098:                             ;   in Loop: Header=BB2_1620 Depth=2
	s_delay_alu instid0(SALU_CYCLE_1) | instskip(SKIP_3) | instid1(VALU_DEP_3)
	s_or_b32 exec_lo, exec_lo, s10
	v_lshrrev_b32_e32 v10, 24, v13
	v_bfe_u32 v15, v13, 24, 7
	v_cmp_gt_u64_e64 s11, s[14:15], v[12:13]
	v_cmp_eq_u32_e64 s10, 0x80, v10
	s_delay_alu instid0(VALU_DEP_3) | instskip(NEXT) | instid1(VALU_DEP_2)
	v_cmp_eq_u32_e64 s7, 0x7f, v15
	v_cndmask_b32_e64 v16, 0x7f800001, v103, s10
	s_or_b32 s7, s10, s7
	s_delay_alu instid0(SALU_CYCLE_1) | instskip(NEXT) | instid1(VALU_DEP_1)
	s_nor_b32 s7, s11, s7
	v_cndmask_b32_e64 v12, v16, 0, s11
	s_and_saveexec_b32 s10, s7
	s_cbranch_execz .LBB2_2100
; %bb.2099:                             ;   in Loop: Header=BB2_1620 Depth=2
	v_and_b32_e32 v16, 7, v10
	v_cmp_gt_u32_e64 s7, 8, v15
	s_delay_alu instid0(VALU_DEP_2) | instskip(NEXT) | instid1(VALU_DEP_1)
	v_clz_i32_u32_e32 v12, v16
	v_min_u32_e32 v17, 32, v12
	s_delay_alu instid0(VALU_DEP_1) | instskip(NEXT) | instid1(VALU_DEP_1)
	v_subrev_nc_u32_e32 v12, 28, v17
	v_lshlrev_b64_e32 v[12:13], v12, v[10:11]
	v_dual_lshrrev_b32 v13, 3, v15 :: v_dual_sub_nc_u32 v17, 29, v17
	s_delay_alu instid0(VALU_DEP_2) | instskip(NEXT) | instid1(VALU_DEP_1)
	v_dual_lshlrev_b32 v10, 24, v10 :: v_dual_bitop2_b32 v12, 7, v12 bitop3:0x40
	v_dual_cndmask_b32 v13, v13, v17, s7 :: v_dual_cndmask_b32 v12, v16, v12, s7
	s_delay_alu instid0(VALU_DEP_2) | instskip(NEXT) | instid1(VALU_DEP_2)
	v_and_b32_e32 v10, 0x80000000, v10
	v_lshl_add_u32 v13, v13, 23, 0x3c000000
	s_delay_alu instid0(VALU_DEP_3) | instskip(NEXT) | instid1(VALU_DEP_1)
	v_lshlrev_b32_e32 v12, 20, v12
	v_or3_b32 v12, v12, v10, v13
.LBB2_2100:                             ;   in Loop: Header=BB2_1620 Depth=2
	s_or_b32 exec_lo, exec_lo, s10
	s_delay_alu instid0(VALU_DEP_1) | instskip(SKIP_1) | instid1(VALU_DEP_1)
	v_mul_f32_e32 v11, v11, v12
                                        ; implicit-def: $vgpr10
	s_mov_b32 s10, exec_lo
	v_and_b32_e32 v38, 0x7f800000, v11
	v_lshrrev_b32_e32 v12, 24, v11
	s_delay_alu instid0(VALU_DEP_2)
	v_cmpx_ne_u64_e32 0x7f800000, v[38:39]
	s_xor_b32 s11, exec_lo, s10
	s_cbranch_execz .LBB2_2114
; %bb.2101:                             ;   in Loop: Header=BB2_1620 Depth=2
	v_and_b32_e32 v38, 0x7fffffff, v11
	v_and_b32_e32 v15, 0x80, v12
                                        ; implicit-def: $vgpr10
	s_mov_b32 s10, exec_lo
	s_delay_alu instid0(VALU_DEP_2)
	v_cmpx_gt_u64_e32 0x43e00001, v[38:39]
	s_xor_b32 s28, exec_lo, s10
	s_cbranch_execz .LBB2_2111
; %bb.2102:                             ;   in Loop: Header=BB2_1620 Depth=2
	v_mov_b32_e32 v10, 0
	s_mov_b32 s29, exec_lo
	v_cmpx_ne_u32_e32 0, v11
	s_cbranch_execz .LBB2_2110
; %bb.2103:                             ;   in Loop: Header=BB2_1620 Depth=2
	v_bfe_u32 v16, v11, 23, 8
	v_and_b32_e32 v12, 0x7fffff, v11
	s_delay_alu instid0(VALU_DEP_2) | instskip(SKIP_1) | instid1(VALU_DEP_3)
	v_sub_nc_u32_e32 v10, 0x79, v16
	v_cmp_gt_u32_e64 s7, 0x7a, v16
	v_or_b32_e32 v13, 0x800000, v12
	s_delay_alu instid0(VALU_DEP_2) | instskip(SKIP_1) | instid1(VALU_DEP_1)
	v_cndmask_b32_e64 v10, 0, v10, s7
	v_cmp_eq_u32_e64 s7, 0, v16
	v_cndmask_b32_e64 v17, v10, 0x78, s7
	s_delay_alu instid0(VALU_DEP_1) | instskip(SKIP_1) | instid1(VALU_DEP_2)
	v_dual_cndmask_b32 v38, v13, v12, s7 :: v_dual_add_nc_u32 v10, 20, v17
	v_add_nc_u32_e32 v45, 19, v17
	v_lshlrev_b64_e64 v[10:11], v10, -1
	s_delay_alu instid0(VALU_DEP_2) | instskip(NEXT) | instid1(VALU_DEP_2)
	v_lshlrev_b64_e64 v[12:13], v45, 1
	v_bfi_b32 v47, v11, 0, 0
	s_delay_alu instid0(VALU_DEP_3) | instskip(SKIP_1) | instid1(VALU_DEP_2)
	v_bfi_b32 v46, v10, 0, v38
	v_lshrrev_b64 v[10:11], v17, v[38:39]
	v_cmp_eq_u64_e64 s10, v[46:47], v[12:13]
	s_delay_alu instid0(VALU_DEP_2)
	v_mov_b64_e32 v[12:13], v[10:11]
	s_and_saveexec_b32 s40, s10
; %bb.2104:                             ;   in Loop: Header=BB2_1620 Depth=2
	v_bfe_u32 v38, v10, 20, 1
	s_delay_alu instid0(VALU_DEP_1) | instskip(NEXT) | instid1(VALU_DEP_1)
	v_add_nc_u64_e32 v[12:13], v[10:11], v[38:39]
	v_add_nc_u64_e32 v[12:13], -1, v[12:13]
; %bb.2105:                             ;   in Loop: Header=BB2_1620 Depth=2
	s_or_b32 exec_lo, exec_lo, s40
	v_add_nc_u32_e32 v11, 0xffffff81, v16
	v_lshrrev_b32_e32 v13, 23, v10
	s_mov_b32 s10, exec_lo
	s_delay_alu instid0(VALU_DEP_2) | instskip(NEXT) | instid1(VALU_DEP_1)
	v_cndmask_b32_e64 v11, v11, 0xffffff82, s7
	v_add3_u32 v13, v17, v11, v13
	v_and_b32_e32 v11, 0xfffff, v12
                                        ; implicit-def: $vgpr12
	s_delay_alu instid0(VALU_DEP_1) | instskip(NEXT) | instid1(VALU_DEP_1)
	v_dual_add_nc_u32 v16, 6, v13 :: v_dual_add_nc_u32 v38, v11, v10
                                        ; implicit-def: $vgpr10_vgpr11
	v_cmpx_ne_u32_e32 0, v16
	s_xor_b32 s10, exec_lo, s10
; %bb.2106:                             ;   in Loop: Header=BB2_1620 Depth=2
	s_delay_alu instid0(VALU_DEP_2) | instskip(SKIP_1) | instid1(VALU_DEP_1)
	v_cmp_lt_u64_e64 s7, 0xffffff, v[38:39]
	v_add_nc_u32_e32 v10, 7, v13
	v_cndmask_b32_e64 v12, v16, v10, s7
	v_cndmask_b32_e64 v10, 0, 1, s7
	s_delay_alu instid0(VALU_DEP_1)
	v_lshrrev_b64 v[10:11], v10, v[38:39]
; %bb.2107:                             ;   in Loop: Header=BB2_1620 Depth=2
	s_and_not1_saveexec_b32 s7, s10
; %bb.2108:                             ;   in Loop: Header=BB2_1620 Depth=2
	v_mov_b64_e32 v[10:11], v[38:39]
	v_bfe_u32 v12, v38, 23, 1
; %bb.2109:                             ;   in Loop: Header=BB2_1620 Depth=2
	s_or_b32 exec_lo, exec_lo, s7
	s_delay_alu instid0(VALU_DEP_2) | instskip(NEXT) | instid1(VALU_DEP_2)
	v_lshrrev_b64 v[10:11], 20, v[10:11]
	v_cmp_gt_i32_e64 s7, 16, v12
	v_min_i32_e32 v13, 15, v12
	v_cmp_eq_u32_e64 s10, 0, v12
	s_delay_alu instid0(VALU_DEP_2) | instskip(SKIP_1) | instid1(VALU_DEP_2)
	v_dual_cndmask_b32 v11, 0, v11, s7 :: v_dual_lshlrev_b32 v13, 3, v13
	v_cndmask_b32_e64 v10, 7, v10, s7
	v_and_b32_e32 v13, 0xf8, v13
	s_delay_alu instid0(VALU_DEP_2) | instskip(NEXT) | instid1(VALU_DEP_2)
	v_cmp_eq_u64_e64 s7, 0, v[10:11]
	v_and_or_b32 v10, v10, 7, v13
	s_and_b32 s7, s10, s7
	s_delay_alu instid0(VALU_DEP_1) | instid1(SALU_CYCLE_1)
	v_cndmask_b32_e64 v10, v10, 0, s7
	s_delay_alu instid0(VALU_DEP_1)
	v_or_b32_e32 v10, v10, v15
.LBB2_2110:                             ;   in Loop: Header=BB2_1620 Depth=2
	s_or_b32 exec_lo, exec_lo, s29
                                        ; implicit-def: $vgpr15
.LBB2_2111:                             ;   in Loop: Header=BB2_1620 Depth=2
	s_and_not1_saveexec_b32 s7, s28
; %bb.2112:                             ;   in Loop: Header=BB2_1620 Depth=2
	v_or_b32_e32 v10, 0x7e, v15
; %bb.2113:                             ;   in Loop: Header=BB2_1620 Depth=2
	s_or_b32 exec_lo, exec_lo, s7
                                        ; implicit-def: $vgpr12
.LBB2_2114:                             ;   in Loop: Header=BB2_1620 Depth=2
	s_and_not1_saveexec_b32 s7, s11
	s_cbranch_execz .LBB2_1619
; %bb.2115:                             ;   in Loop: Header=BB2_1620 Depth=2
	v_or_b32_e32 v10, 0x7f, v12
	s_branch .LBB2_1619
.LBB2_2116:                             ;   in Loop: Header=BB2_1545 Depth=1
	s_or_b32 exec_lo, exec_lo, s27
.LBB2_2117:                             ;   in Loop: Header=BB2_1545 Depth=1
	s_delay_alu instid0(SALU_CYCLE_1) | instskip(SKIP_3) | instid1(VALU_DEP_1)
	s_or_b32 exec_lo, exec_lo, s26
	v_and_b32_e32 v10, 15, v114
	s_mov_b32 s26, 0
	s_mov_b32 s11, exec_lo
                                        ; implicit-def: $vgpr30
	v_dual_cndmask_b32 v116, v115, v10 :: v_dual_mov_b32 v115, 0
	s_delay_alu instid0(VALU_DEP_1)
	v_cmpx_ne_u32_e32 0, v116
	s_cbranch_execz .LBB2_2619
; %bb.2118:                             ;   in Loop: Header=BB2_1545 Depth=1
	v_cmp_lt_i32_e64 s7, 0, v117
	s_mov_b32 s26, exec_lo
	v_cndmask_b32_e64 v10, 0, v36, s7
	s_delay_alu instid0(VALU_DEP_1) | instskip(NEXT) | instid1(VALU_DEP_1)
	v_sub_nc_u32_e32 v10, v10, v117
	v_lshl_add_u32 v10, v10, 5, v100
	s_delay_alu instid0(VALU_DEP_1) | instskip(NEXT) | instid1(VALU_DEP_1)
	v_ashrrev_i32_e32 v11, 31, v10
	v_lshrrev_b32_e32 v11, 27, v11
	s_delay_alu instid0(VALU_DEP_1) | instskip(NEXT) | instid1(VALU_DEP_1)
	v_add_nc_u32_e32 v11, v10, v11
	v_and_b32_e32 v12, 0xffffffe0, v11
	s_delay_alu instid0(VALU_DEP_1) | instskip(SKIP_1) | instid1(VALU_DEP_2)
	v_sub_nc_u32_e32 v117, v10, v12
	v_and_b32_e32 v12, 0x1f0, v114
	v_dual_lshlrev_b32 v10, 4, v117 :: v_dual_ashrrev_i32 v11, 5, v11
	s_delay_alu instid0(VALU_DEP_1) | instskip(NEXT) | instid1(VALU_DEP_3)
	v_lshl_add_u32 v10, v11, 9, v10
	v_dual_cndmask_b32 v12, 0, v12, vcc_lo :: v_dual_sub_nc_u32 v118, 0, v11
	s_delay_alu instid0(VALU_DEP_2) | instskip(NEXT) | instid1(VALU_DEP_2)
	v_sub_nc_u32_e32 v119, v116, v10
	v_and_or_b32 v115, 0x3ffffe00, v114, v12
	s_delay_alu instid0(VALU_DEP_2)
	v_cmpx_lt_i32_e32 15, v119
	s_cbranch_execz .LBB2_2618
; %bb.2119:                             ;   in Loop: Header=BB2_1545 Depth=1
	s_trap 2
	ds_load_b64 v[12:13], v0
	v_add_nc_u32_e32 v10, v10, v115
	s_mov_b32 s27, 0
	s_delay_alu instid0(VALU_DEP_1) | instskip(NEXT) | instid1(VALU_DEP_1)
	v_ashrrev_i32_e32 v11, 31, v10
	v_add_nc_u64_e32 v[80:81], v[10:11], v[68:69]
	v_add_nc_u64_e32 v[84:85], v[10:11], v[70:71]
	s_wait_dscnt 0x0
	v_add_nc_u64_e32 v[82:83], v[12:13], v[10:11]
	s_branch .LBB2_2121
.LBB2_2120:                             ;   in Loop: Header=BB2_2121 Depth=2
	s_or_b32 exec_lo, exec_lo, s7
	v_lshl_or_b32 v11, v99, 8, v98
	v_dual_lshlrev_b32 v12, 16, v30 :: v_dual_lshlrev_b32 v13, 24, v96
	v_lshl_or_b32 v15, v41, 8, v40
	v_dual_lshlrev_b32 v16, 16, v42 :: v_dual_lshlrev_b32 v17, 24, v43
	;; [unrolled: 2-line block ×3, first 2 shown]
	v_dual_lshlrev_b32 v97, 24, v10 :: v_dual_sub_nc_u32 v118, v118, v36
	v_lshlrev_b32_e32 v14, 16, v14
	v_lshl_or_b32 v86, v87, 8, v86
	v_or3_b32 v11, v11, v12, v13
	v_or3_b32 v10, v15, v16, v17
	v_or3_b32 v12, v30, v38, v96
	v_sub_nc_u32_e32 v119, v119, v50
	v_or3_b32 v13, v86, v14, v97
	v_add_nc_u64_e32 v[80:81], v[80:81], v[50:51]
	v_add_nc_u64_e32 v[82:83], v[82:83], v[50:51]
	s_delay_alu instid0(VALU_DEP_4) | instskip(SKIP_4) | instid1(SALU_CYCLE_1)
	v_cmp_gt_i32_e32 vcc_lo, 16, v119
	global_store_b128 v[84:85], v[10:13], off th:TH_STORE_NT
	s_wait_xcnt 0x0
	v_add_nc_u64_e32 v[84:85], v[84:85], v[50:51]
	s_or_b32 s27, vcc_lo, s27
	s_and_not1_b32 exec_lo, exec_lo, s27
	s_cbranch_execz .LBB2_2617
.LBB2_2121:                             ;   Parent Loop BB2_1545 Depth=1
                                        ; =>  This Inner Loop Header: Depth=2
	global_load_b128 v[14:17], v[80:81], off th:TH_LOAD_NT
	global_load_b128 v[10:13], v[82:83], off th:TH_LOAD_NT
	v_mov_b32_e32 v30, 0
	s_mov_b32 s7, exec_lo
	s_wait_loadcnt 0x1
	v_and_b32_e32 v38, 0xff, v14
	s_wait_xcnt 0x0
	s_delay_alu instid0(VALU_DEP_1)
	v_cmpx_ne_u16_e32 0, v38
	s_cbranch_execz .LBB2_2127
; %bb.2122:                             ;   in Loop: Header=BB2_2121 Depth=2
	v_bfrev_b32_e32 v30, 1
	s_mov_b32 s10, exec_lo
	v_cmpx_ne_u16_e32 0x80, v38
	s_cbranch_execz .LBB2_2126
; %bb.2123:                             ;   in Loop: Header=BB2_2121 Depth=2
	v_and_b32_e32 v38, 0x7f, v14
	v_mov_b32_e32 v30, 0x7f800001
	s_mov_b32 s28, exec_lo
	s_delay_alu instid0(VALU_DEP_2)
	v_cmpx_ne_u32_e32 0x7f, v38
	s_cbranch_execz .LBB2_2125
; %bb.2124:                             ;   in Loop: Header=BB2_2121 Depth=2
	v_cmp_gt_u32_e32 vcc_lo, 8, v38
	v_and_b32_e32 v30, 7, v14
	v_lshrrev_b32_e32 v86, 3, v38
	s_delay_alu instid0(VALU_DEP_2) | instskip(NEXT) | instid1(VALU_DEP_1)
	v_clz_i32_u32_e32 v30, v30
	v_min_u32_e32 v30, 32, v30
	s_delay_alu instid0(VALU_DEP_1) | instskip(NEXT) | instid1(VALU_DEP_1)
	v_subrev_nc_u32_e32 v87, 28, v30
	v_dual_sub_nc_u32 v30, 29, v30 :: v_dual_cndmask_b32 v38, 0, v87, vcc_lo
	s_delay_alu instid0(VALU_DEP_1) | instskip(NEXT) | instid1(VALU_DEP_2)
	v_cndmask_b32_e32 v30, v86, v30, vcc_lo
	v_lshlrev_b64_e32 v[86:87], v38, v[14:15]
	v_lshlrev_b32_e32 v38, 24, v14
	s_delay_alu instid0(VALU_DEP_3) | instskip(NEXT) | instid1(VALU_DEP_2)
	v_lshl_add_u32 v30, v30, 23, 0x3c000000
	v_and_b32_e32 v38, 0x80000000, v38
	s_delay_alu instid0(VALU_DEP_4) | instskip(NEXT) | instid1(VALU_DEP_1)
	v_lshlrev_b32_e32 v86, 20, v86
	v_and_b32_e32 v86, 0x700000, v86
	s_delay_alu instid0(VALU_DEP_1)
	v_or3_b32 v30, v86, v38, v30
.LBB2_2125:                             ;   in Loop: Header=BB2_2121 Depth=2
	s_or_b32 exec_lo, exec_lo, s28
.LBB2_2126:                             ;   in Loop: Header=BB2_2121 Depth=2
	s_delay_alu instid0(SALU_CYCLE_1)
	s_or_b32 exec_lo, exec_lo, s10
.LBB2_2127:                             ;   in Loop: Header=BB2_2121 Depth=2
	s_delay_alu instid0(SALU_CYCLE_1) | instskip(SKIP_4) | instid1(VALU_DEP_1)
	s_or_b32 exec_lo, exec_lo, s7
	s_wait_loadcnt 0x0
	v_and_b32_e32 v86, 0xff, v10
	s_mov_b32 s7, 0
	s_mov_b32 s10, exec_lo
	v_cmpx_lt_i16_e32 0x7f, v86
	s_xor_b32 s10, exec_lo, s10
	s_cbranch_execz .LBB2_2162
; %bb.2128:                             ;   in Loop: Header=BB2_2121 Depth=2
	s_mov_b32 s7, -1
	s_mov_b32 s28, exec_lo
	v_cmpx_eq_u16_e32 0x80, v86
; %bb.2129:                             ;   in Loop: Header=BB2_2121 Depth=2
	s_xor_b32 s7, exec_lo, -1
; %bb.2130:                             ;   in Loop: Header=BB2_2121 Depth=2
	s_or_b32 exec_lo, exec_lo, s28
	s_delay_alu instid0(SALU_CYCLE_1)
	s_and_b32 s7, s7, exec_lo
                                        ; implicit-def: $vgpr86
	s_or_saveexec_b32 s10, s10
	v_bfrev_b32_e32 v38, 1
	s_xor_b32 exec_lo, exec_lo, s10
	s_cbranch_execnz .LBB2_2163
.LBB2_2131:                             ;   in Loop: Header=BB2_2121 Depth=2
	s_or_b32 exec_lo, exec_lo, s10
	s_and_saveexec_b32 s10, s7
	s_cbranch_execz .LBB2_2133
.LBB2_2132:                             ;   in Loop: Header=BB2_2121 Depth=2
	v_and_b32_e32 v96, 0x7f, v10
	v_bfe_u32 v86, v10, 3, 4
	s_delay_alu instid0(VALU_DEP_2) | instskip(SKIP_1) | instid1(VALU_DEP_1)
	v_cmp_gt_u32_e32 vcc_lo, 8, v96
	v_and_b32_e32 v38, 7, v10
	v_clz_i32_u32_e32 v38, v38
	s_delay_alu instid0(VALU_DEP_1) | instskip(NEXT) | instid1(VALU_DEP_1)
	v_min_u32_e32 v38, 32, v38
	v_subrev_nc_u32_e32 v87, 28, v38
	v_sub_nc_u32_e32 v38, 29, v38
	s_delay_alu instid0(VALU_DEP_1) | instskip(SKIP_1) | instid1(VALU_DEP_2)
	v_dual_cndmask_b32 v38, v86, v38, vcc_lo :: v_dual_cndmask_b32 v86, 0, v87, vcc_lo
	v_cmp_ne_u32_e32 vcc_lo, 0x7f, v96
	v_lshl_add_u32 v38, v38, 23, 0x3c000000
	s_delay_alu instid0(VALU_DEP_3) | instskip(SKIP_1) | instid1(VALU_DEP_1)
	v_lshlrev_b64_e32 v[86:87], v86, v[10:11]
	v_lshlrev_b32_e32 v87, 24, v10
	v_and_b32_e32 v87, 0x80000000, v87
	s_delay_alu instid0(VALU_DEP_3) | instskip(NEXT) | instid1(VALU_DEP_1)
	v_lshlrev_b32_e32 v86, 20, v86
	v_and_b32_e32 v86, 0x700000, v86
	s_delay_alu instid0(VALU_DEP_1) | instskip(NEXT) | instid1(VALU_DEP_1)
	v_or3_b32 v38, v86, v87, v38
	v_cndmask_b32_e32 v38, 0x7f800001, v38, vcc_lo
.LBB2_2133:                             ;   in Loop: Header=BB2_2121 Depth=2
	s_or_b32 exec_lo, exec_lo, s10
	s_delay_alu instid0(VALU_DEP_1) | instskip(SKIP_1) | instid1(VALU_DEP_1)
	v_mul_f32_e32 v86, v30, v38
                                        ; implicit-def: $vgpr40
	s_mov_b32 s7, exec_lo
	v_and_b32_e32 v38, 0x7f800000, v86
	v_lshrrev_b32_e32 v30, 24, v86
	s_delay_alu instid0(VALU_DEP_2)
	v_cmpx_ne_u64_e32 0x7f800000, v[38:39]
	s_xor_b32 s10, exec_lo, s7
	s_cbranch_execz .LBB2_2147
; %bb.2134:                             ;   in Loop: Header=BB2_2121 Depth=2
	v_and_b32_e32 v38, 0x7fffffff, v86
	v_and_b32_e32 v30, 0x80, v30
                                        ; implicit-def: $vgpr40
	s_mov_b32 s7, exec_lo
	s_delay_alu instid0(VALU_DEP_2)
	v_cmpx_gt_u64_e32 0x43e00001, v[38:39]
	s_xor_b32 s28, exec_lo, s7
	s_cbranch_execz .LBB2_2144
; %bb.2135:                             ;   in Loop: Header=BB2_2121 Depth=2
	v_mov_b32_e32 v40, 0
	s_mov_b32 s29, exec_lo
	v_cmpx_ne_u32_e32 0, v86
	s_cbranch_execz .LBB2_2143
; %bb.2136:                             ;   in Loop: Header=BB2_2121 Depth=2
	v_bfe_u32 v98, v86, 23, 8
	s_delay_alu instid0(VALU_DEP_1) | instskip(SKIP_1) | instid1(VALU_DEP_2)
	v_sub_nc_u32_e32 v38, 0x79, v98
	v_cmp_gt_u32_e32 vcc_lo, 0x7a, v98
	v_cndmask_b32_e32 v38, 0, v38, vcc_lo
	v_cmp_eq_u32_e32 vcc_lo, 0, v98
	s_delay_alu instid0(VALU_DEP_2) | instskip(SKIP_1) | instid1(VALU_DEP_2)
	v_cndmask_b32_e64 v99, v38, 0x78, vcc_lo
	v_and_b32_e32 v38, 0x7fffff, v86
	v_add_nc_u32_e32 v86, 20, v99
	s_delay_alu instid0(VALU_DEP_2) | instskip(SKIP_1) | instid1(VALU_DEP_3)
	v_or_b32_e32 v96, 0x800000, v38
	v_add_nc_u32_e32 v97, 19, v99
	v_lshlrev_b64_e64 v[86:87], v86, -1
	s_delay_alu instid0(VALU_DEP_3) | instskip(NEXT) | instid1(VALU_DEP_3)
	v_cndmask_b32_e32 v38, v96, v38, vcc_lo
	v_lshlrev_b64_e64 v[96:97], v97, 1
	s_delay_alu instid0(VALU_DEP_3) | instskip(NEXT) | instid1(VALU_DEP_3)
	v_bfi_b32 v41, v87, 0, 0
	v_bfi_b32 v40, v86, 0, v38
	v_lshrrev_b64 v[86:87], v99, v[38:39]
	s_delay_alu instid0(VALU_DEP_2) | instskip(NEXT) | instid1(VALU_DEP_2)
	v_cmp_eq_u64_e64 s7, v[40:41], v[96:97]
	v_mov_b64_e32 v[96:97], v[86:87]
	s_and_saveexec_b32 s40, s7
; %bb.2137:                             ;   in Loop: Header=BB2_2121 Depth=2
	v_bfe_u32 v38, v86, 20, 1
	s_delay_alu instid0(VALU_DEP_1) | instskip(NEXT) | instid1(VALU_DEP_1)
	v_add_nc_u64_e32 v[96:97], v[86:87], v[38:39]
	v_add_nc_u64_e32 v[96:97], -1, v[96:97]
; %bb.2138:                             ;   in Loop: Header=BB2_2121 Depth=2
	s_or_b32 exec_lo, exec_lo, s40
	v_add_nc_u32_e32 v38, 0xffffff81, v98
	v_lshrrev_b32_e32 v87, 23, v86
	s_mov_b32 s7, exec_lo
	s_delay_alu instid0(VALU_DEP_2) | instskip(NEXT) | instid1(VALU_DEP_1)
	v_cndmask_b32_e64 v38, v38, 0xffffff82, vcc_lo
	v_add3_u32 v97, v99, v38, v87
	v_and_b32_e32 v38, 0xfffff, v96
                                        ; implicit-def: $vgpr96
	s_delay_alu instid0(VALU_DEP_1) | instskip(NEXT) | instid1(VALU_DEP_1)
	v_dual_add_nc_u32 v98, 6, v97 :: v_dual_add_nc_u32 v38, v38, v86
                                        ; implicit-def: $vgpr86_vgpr87
	v_cmpx_ne_u32_e32 0, v98
	s_xor_b32 s7, exec_lo, s7
; %bb.2139:                             ;   in Loop: Header=BB2_2121 Depth=2
	s_delay_alu instid0(VALU_DEP_2) | instskip(SKIP_1) | instid1(VALU_DEP_1)
	v_cmp_lt_u64_e32 vcc_lo, 0xffffff, v[38:39]
	v_add_nc_u32_e32 v86, 7, v97
	v_cndmask_b32_e32 v96, v98, v86, vcc_lo
	v_cndmask_b32_e64 v86, 0, 1, vcc_lo
	s_delay_alu instid0(VALU_DEP_1)
	v_lshrrev_b64 v[86:87], v86, v[38:39]
; %bb.2140:                             ;   in Loop: Header=BB2_2121 Depth=2
	s_and_not1_saveexec_b32 s7, s7
; %bb.2141:                             ;   in Loop: Header=BB2_2121 Depth=2
	v_mov_b64_e32 v[86:87], v[38:39]
	v_bfe_u32 v96, v38, 23, 1
; %bb.2142:                             ;   in Loop: Header=BB2_2121 Depth=2
	s_or_b32 exec_lo, exec_lo, s7
	s_delay_alu instid0(VALU_DEP_2) | instskip(NEXT) | instid1(VALU_DEP_2)
	v_lshrrev_b64 v[86:87], 20, v[86:87]
	v_cmp_gt_i32_e32 vcc_lo, 16, v96
	v_min_i32_e32 v38, 15, v96
	v_cmp_eq_u32_e64 s7, 0, v96
	s_delay_alu instid0(VALU_DEP_2) | instskip(SKIP_1) | instid1(VALU_DEP_2)
	v_dual_cndmask_b32 v87, 0, v87 :: v_dual_lshlrev_b32 v38, 3, v38
	v_cndmask_b32_e32 v86, 7, v86, vcc_lo
	v_and_b32_e32 v38, 0xf8, v38
	s_delay_alu instid0(VALU_DEP_2) | instskip(NEXT) | instid1(VALU_DEP_2)
	v_cmp_eq_u64_e32 vcc_lo, 0, v[86:87]
	v_and_or_b32 v38, v86, 7, v38
	s_and_b32 s7, s7, vcc_lo
	s_delay_alu instid0(VALU_DEP_1) | instid1(SALU_CYCLE_1)
	v_cndmask_b32_e64 v38, v38, 0, s7
	s_delay_alu instid0(VALU_DEP_1)
	v_or_b32_e32 v40, v38, v30
.LBB2_2143:                             ;   in Loop: Header=BB2_2121 Depth=2
	s_or_b32 exec_lo, exec_lo, s29
                                        ; implicit-def: $vgpr30
.LBB2_2144:                             ;   in Loop: Header=BB2_2121 Depth=2
	s_and_not1_saveexec_b32 s7, s28
; %bb.2145:                             ;   in Loop: Header=BB2_2121 Depth=2
	v_or_b32_e32 v40, 0x7e, v30
; %bb.2146:                             ;   in Loop: Header=BB2_2121 Depth=2
	s_or_b32 exec_lo, exec_lo, s7
                                        ; implicit-def: $vgpr30
.LBB2_2147:                             ;   in Loop: Header=BB2_2121 Depth=2
	s_and_not1_saveexec_b32 s7, s10
; %bb.2148:                             ;   in Loop: Header=BB2_2121 Depth=2
	v_or_b32_e32 v40, 0x7f, v30
; %bb.2149:                             ;   in Loop: Header=BB2_2121 Depth=2
	s_or_b32 exec_lo, exec_lo, s7
	v_lshrrev_b16 v30, 8, v14
	v_mov_b32_e32 v38, 0
	s_mov_b32 s7, exec_lo
	s_delay_alu instid0(VALU_DEP_2)
	v_cmpx_ne_u16_e32 0, v30
	s_cbranch_execz .LBB2_2157
; %bb.2150:                             ;   in Loop: Header=BB2_2121 Depth=2
	v_bfrev_b32_e32 v38, 1
	s_mov_b32 s10, exec_lo
	v_cmpx_ne_u16_e32 0x80, v30
	s_cbranch_execz .LBB2_2156
; %bb.2151:                             ;   in Loop: Header=BB2_2121 Depth=2
	v_and_b32_e32 v30, 0xffff, v30
	v_mov_b32_e32 v38, 0x7f800001
	s_mov_b32 s28, exec_lo
	s_delay_alu instid0(VALU_DEP_2) | instskip(NEXT) | instid1(VALU_DEP_1)
	v_and_b32_e32 v86, 0x7f, v30
	v_cmpx_ne_u32_e32 0x7f, v86
	s_cbranch_execz .LBB2_2155
; %bb.2152:                             ;   in Loop: Header=BB2_2121 Depth=2
	v_and_b32_e32 v38, 7, v30
	v_lshrrev_b32_e32 v30, 3, v86
	s_mov_b32 s29, exec_lo
	v_cmpx_gt_u32_e32 8, v86
; %bb.2153:                             ;   in Loop: Header=BB2_2121 Depth=2
	s_delay_alu instid0(VALU_DEP_3) | instskip(NEXT) | instid1(VALU_DEP_1)
	v_clz_i32_u32_e32 v30, v38
	v_min_u32_e32 v30, 32, v30
	s_delay_alu instid0(VALU_DEP_1) | instskip(SKIP_1) | instid1(VALU_DEP_2)
	v_subrev_nc_u32_e32 v86, 28, v30
	v_sub_nc_u32_e32 v30, 29, v30
	v_lshlrev_b64_e32 v[86:87], v86, v[38:39]
	s_delay_alu instid0(VALU_DEP_1)
	v_and_b32_e32 v38, 7, v86
; %bb.2154:                             ;   in Loop: Header=BB2_2121 Depth=2
	s_or_b32 exec_lo, exec_lo, s29
	v_lshlrev_b32_e32 v86, 16, v14
	s_delay_alu instid0(VALU_DEP_2) | instskip(SKIP_1) | instid1(VALU_DEP_3)
	v_lshlrev_b32_e32 v38, 20, v38
	v_lshl_add_u32 v30, v30, 23, 0x3c000000
	v_and_b32_e32 v86, 0x80000000, v86
	s_delay_alu instid0(VALU_DEP_1)
	v_or3_b32 v38, v38, v86, v30
.LBB2_2155:                             ;   in Loop: Header=BB2_2121 Depth=2
	s_or_b32 exec_lo, exec_lo, s28
.LBB2_2156:                             ;   in Loop: Header=BB2_2121 Depth=2
	s_delay_alu instid0(SALU_CYCLE_1)
	s_or_b32 exec_lo, exec_lo, s10
.LBB2_2157:                             ;   in Loop: Header=BB2_2121 Depth=2
	s_delay_alu instid0(SALU_CYCLE_1) | instskip(SKIP_3) | instid1(VALU_DEP_1)
	s_or_b32 exec_lo, exec_lo, s7
	v_lshrrev_b16 v86, 8, v10
	s_mov_b32 s10, 0
	s_mov_b32 s7, exec_lo
	v_cmpx_lt_i16_e32 0x7f, v86
	s_xor_b32 s7, exec_lo, s7
	s_cbranch_execz .LBB2_2164
; %bb.2158:                             ;   in Loop: Header=BB2_2121 Depth=2
	s_mov_b32 s10, -1
	s_mov_b32 s28, exec_lo
	v_cmpx_eq_u16_e32 0x80, v86
; %bb.2159:                             ;   in Loop: Header=BB2_2121 Depth=2
	s_xor_b32 s10, exec_lo, -1
; %bb.2160:                             ;   in Loop: Header=BB2_2121 Depth=2
	s_or_b32 exec_lo, exec_lo, s28
	s_delay_alu instid0(SALU_CYCLE_1)
	s_and_b32 s10, s10, exec_lo
	s_or_saveexec_b32 s7, s7
	v_bfrev_b32_e32 v87, 1
	s_xor_b32 exec_lo, exec_lo, s7
	s_cbranch_execnz .LBB2_2165
.LBB2_2161:                             ;   in Loop: Header=BB2_2121 Depth=2
	s_or_b32 exec_lo, exec_lo, s7
	s_and_saveexec_b32 s7, s10
	s_cbranch_execnz .LBB2_2166
	s_branch .LBB2_2169
.LBB2_2162:                             ;   in Loop: Header=BB2_2121 Depth=2
	s_or_saveexec_b32 s10, s10
	v_bfrev_b32_e32 v38, 1
	s_xor_b32 exec_lo, exec_lo, s10
	s_cbranch_execz .LBB2_2131
.LBB2_2163:                             ;   in Loop: Header=BB2_2121 Depth=2
	v_cmp_ne_u16_e32 vcc_lo, 0, v86
	v_mov_b32_e32 v38, 0
	s_and_not1_b32 s7, s7, exec_lo
	s_and_b32 s28, vcc_lo, exec_lo
	s_delay_alu instid0(SALU_CYCLE_1)
	s_or_b32 s7, s7, s28
	s_or_b32 exec_lo, exec_lo, s10
	s_and_saveexec_b32 s10, s7
	s_cbranch_execnz .LBB2_2132
	s_branch .LBB2_2133
.LBB2_2164:                             ;   in Loop: Header=BB2_2121 Depth=2
	s_or_saveexec_b32 s7, s7
	v_bfrev_b32_e32 v87, 1
	s_xor_b32 exec_lo, exec_lo, s7
	s_cbranch_execz .LBB2_2161
.LBB2_2165:                             ;   in Loop: Header=BB2_2121 Depth=2
	v_cmp_ne_u16_e32 vcc_lo, 0, v86
	v_mov_b32_e32 v87, 0
	s_and_not1_b32 s10, s10, exec_lo
	s_and_b32 s28, vcc_lo, exec_lo
	s_delay_alu instid0(SALU_CYCLE_1)
	s_or_b32 s10, s10, s28
	s_or_b32 exec_lo, exec_lo, s7
	s_and_saveexec_b32 s7, s10
	s_cbranch_execz .LBB2_2169
.LBB2_2166:                             ;   in Loop: Header=BB2_2121 Depth=2
	v_and_b32_e32 v30, 0xffff, v86
	v_mov_b32_e32 v87, 0x7f800001
	s_mov_b32 s10, exec_lo
	s_delay_alu instid0(VALU_DEP_2) | instskip(NEXT) | instid1(VALU_DEP_1)
	v_and_b32_e32 v96, 0x7f, v30
	v_cmpx_ne_u32_e32 0x7f, v96
	s_cbranch_execz .LBB2_2168
; %bb.2167:                             ;   in Loop: Header=BB2_2121 Depth=2
	v_and_b32_e32 v87, 7, v30
	v_cmp_gt_u32_e32 vcc_lo, 8, v96
	s_delay_alu instid0(VALU_DEP_2) | instskip(NEXT) | instid1(VALU_DEP_1)
	v_clz_i32_u32_e32 v97, v87
	v_min_u32_e32 v97, 32, v97
	s_delay_alu instid0(VALU_DEP_1) | instskip(NEXT) | instid1(VALU_DEP_1)
	v_subrev_nc_u32_e32 v98, 28, v97
	v_lshlrev_b64_e32 v[98:99], v98, v[30:31]
	v_dual_lshrrev_b32 v30, 3, v96 :: v_dual_sub_nc_u32 v97, 29, v97
	s_delay_alu instid0(VALU_DEP_2) | instskip(NEXT) | instid1(VALU_DEP_2)
	v_and_b32_e32 v96, 7, v98
	v_dual_lshlrev_b32 v86, 24, v86 :: v_dual_cndmask_b32 v30, v30, v97, vcc_lo
	s_delay_alu instid0(VALU_DEP_2) | instskip(NEXT) | instid1(VALU_DEP_2)
	v_cndmask_b32_e32 v87, v87, v96, vcc_lo
	v_and_b32_e32 v86, 0x80000000, v86
	s_delay_alu instid0(VALU_DEP_3) | instskip(NEXT) | instid1(VALU_DEP_3)
	v_lshl_add_u32 v30, v30, 23, 0x3c000000
	v_lshlrev_b32_e32 v87, 20, v87
	s_delay_alu instid0(VALU_DEP_1)
	v_or3_b32 v87, v87, v86, v30
.LBB2_2168:                             ;   in Loop: Header=BB2_2121 Depth=2
	s_or_b32 exec_lo, exec_lo, s10
.LBB2_2169:                             ;   in Loop: Header=BB2_2121 Depth=2
	s_delay_alu instid0(SALU_CYCLE_1) | instskip(NEXT) | instid1(VALU_DEP_1)
	s_or_b32 exec_lo, exec_lo, s7
	v_mul_f32_e32 v86, v38, v87
                                        ; implicit-def: $vgpr41
	s_mov_b32 s7, exec_lo
	s_delay_alu instid0(VALU_DEP_1) | instskip(SKIP_1) | instid1(VALU_DEP_2)
	v_and_b32_e32 v38, 0x7f800000, v86
	v_lshrrev_b32_e32 v30, 24, v86
	v_cmpx_ne_u64_e32 0x7f800000, v[38:39]
	s_xor_b32 s10, exec_lo, s7
	s_cbranch_execz .LBB2_2183
; %bb.2170:                             ;   in Loop: Header=BB2_2121 Depth=2
	v_and_b32_e32 v38, 0x7fffffff, v86
	v_and_b32_e32 v30, 0x80, v30
                                        ; implicit-def: $vgpr41
	s_mov_b32 s7, exec_lo
	s_delay_alu instid0(VALU_DEP_2)
	v_cmpx_gt_u64_e32 0x43e00001, v[38:39]
	s_xor_b32 s28, exec_lo, s7
	s_cbranch_execz .LBB2_2180
; %bb.2171:                             ;   in Loop: Header=BB2_2121 Depth=2
	v_mov_b32_e32 v41, 0
	s_mov_b32 s29, exec_lo
	v_cmpx_ne_u32_e32 0, v86
	s_cbranch_execz .LBB2_2179
; %bb.2172:                             ;   in Loop: Header=BB2_2121 Depth=2
	v_bfe_u32 v98, v86, 23, 8
	s_delay_alu instid0(VALU_DEP_1) | instskip(SKIP_1) | instid1(VALU_DEP_2)
	v_sub_nc_u32_e32 v38, 0x79, v98
	v_cmp_gt_u32_e32 vcc_lo, 0x7a, v98
	v_cndmask_b32_e32 v38, 0, v38, vcc_lo
	v_cmp_eq_u32_e32 vcc_lo, 0, v98
	s_delay_alu instid0(VALU_DEP_2) | instskip(SKIP_1) | instid1(VALU_DEP_2)
	v_cndmask_b32_e64 v99, v38, 0x78, vcc_lo
	v_and_b32_e32 v38, 0x7fffff, v86
	v_add_nc_u32_e32 v86, 20, v99
	s_delay_alu instid0(VALU_DEP_2) | instskip(SKIP_1) | instid1(VALU_DEP_3)
	v_or_b32_e32 v96, 0x800000, v38
	v_add_nc_u32_e32 v97, 19, v99
	v_lshlrev_b64_e64 v[86:87], v86, -1
	s_delay_alu instid0(VALU_DEP_3) | instskip(NEXT) | instid1(VALU_DEP_3)
	v_cndmask_b32_e32 v38, v96, v38, vcc_lo
	v_lshlrev_b64_e64 v[96:97], v97, 1
	s_delay_alu instid0(VALU_DEP_3) | instskip(NEXT) | instid1(VALU_DEP_3)
	v_bfi_b32 v43, v87, 0, 0
	v_bfi_b32 v42, v86, 0, v38
	v_lshrrev_b64 v[86:87], v99, v[38:39]
	s_delay_alu instid0(VALU_DEP_2) | instskip(NEXT) | instid1(VALU_DEP_2)
	v_cmp_eq_u64_e64 s7, v[42:43], v[96:97]
	v_mov_b64_e32 v[96:97], v[86:87]
	s_and_saveexec_b32 s40, s7
; %bb.2173:                             ;   in Loop: Header=BB2_2121 Depth=2
	v_bfe_u32 v38, v86, 20, 1
	s_delay_alu instid0(VALU_DEP_1) | instskip(NEXT) | instid1(VALU_DEP_1)
	v_add_nc_u64_e32 v[96:97], v[86:87], v[38:39]
	v_add_nc_u64_e32 v[96:97], -1, v[96:97]
; %bb.2174:                             ;   in Loop: Header=BB2_2121 Depth=2
	s_or_b32 exec_lo, exec_lo, s40
	v_add_nc_u32_e32 v38, 0xffffff81, v98
	v_lshrrev_b32_e32 v87, 23, v86
	s_mov_b32 s7, exec_lo
	s_delay_alu instid0(VALU_DEP_2) | instskip(NEXT) | instid1(VALU_DEP_1)
	v_cndmask_b32_e64 v38, v38, 0xffffff82, vcc_lo
	v_add3_u32 v97, v99, v38, v87
	v_and_b32_e32 v38, 0xfffff, v96
                                        ; implicit-def: $vgpr96
	s_delay_alu instid0(VALU_DEP_1) | instskip(NEXT) | instid1(VALU_DEP_1)
	v_dual_add_nc_u32 v98, 6, v97 :: v_dual_add_nc_u32 v38, v38, v86
                                        ; implicit-def: $vgpr86_vgpr87
	v_cmpx_ne_u32_e32 0, v98
	s_xor_b32 s7, exec_lo, s7
; %bb.2175:                             ;   in Loop: Header=BB2_2121 Depth=2
	s_delay_alu instid0(VALU_DEP_2) | instskip(SKIP_1) | instid1(VALU_DEP_1)
	v_cmp_lt_u64_e32 vcc_lo, 0xffffff, v[38:39]
	v_add_nc_u32_e32 v86, 7, v97
	v_cndmask_b32_e32 v96, v98, v86, vcc_lo
	v_cndmask_b32_e64 v86, 0, 1, vcc_lo
	s_delay_alu instid0(VALU_DEP_1)
	v_lshrrev_b64 v[86:87], v86, v[38:39]
; %bb.2176:                             ;   in Loop: Header=BB2_2121 Depth=2
	s_and_not1_saveexec_b32 s7, s7
; %bb.2177:                             ;   in Loop: Header=BB2_2121 Depth=2
	v_mov_b64_e32 v[86:87], v[38:39]
	v_bfe_u32 v96, v38, 23, 1
; %bb.2178:                             ;   in Loop: Header=BB2_2121 Depth=2
	s_or_b32 exec_lo, exec_lo, s7
	s_delay_alu instid0(VALU_DEP_2) | instskip(NEXT) | instid1(VALU_DEP_2)
	v_lshrrev_b64 v[86:87], 20, v[86:87]
	v_cmp_gt_i32_e32 vcc_lo, 16, v96
	v_min_i32_e32 v38, 15, v96
	v_cmp_eq_u32_e64 s7, 0, v96
	s_delay_alu instid0(VALU_DEP_2) | instskip(SKIP_1) | instid1(VALU_DEP_2)
	v_dual_cndmask_b32 v87, 0, v87 :: v_dual_lshlrev_b32 v38, 3, v38
	v_cndmask_b32_e32 v86, 7, v86, vcc_lo
	v_and_b32_e32 v38, 0xf8, v38
	s_delay_alu instid0(VALU_DEP_2) | instskip(NEXT) | instid1(VALU_DEP_2)
	v_cmp_eq_u64_e32 vcc_lo, 0, v[86:87]
	v_and_or_b32 v38, v86, 7, v38
	s_and_b32 s7, s7, vcc_lo
	s_delay_alu instid0(VALU_DEP_1) | instid1(SALU_CYCLE_1)
	v_cndmask_b32_e64 v38, v38, 0, s7
	s_delay_alu instid0(VALU_DEP_1)
	v_or_b32_e32 v41, v38, v30
.LBB2_2179:                             ;   in Loop: Header=BB2_2121 Depth=2
	s_or_b32 exec_lo, exec_lo, s29
                                        ; implicit-def: $vgpr30
.LBB2_2180:                             ;   in Loop: Header=BB2_2121 Depth=2
	s_and_not1_saveexec_b32 s7, s28
; %bb.2181:                             ;   in Loop: Header=BB2_2121 Depth=2
	v_or_b32_e32 v41, 0x7e, v30
; %bb.2182:                             ;   in Loop: Header=BB2_2121 Depth=2
	s_or_b32 exec_lo, exec_lo, s7
                                        ; implicit-def: $vgpr30
.LBB2_2183:                             ;   in Loop: Header=BB2_2121 Depth=2
	s_and_not1_saveexec_b32 s7, s10
; %bb.2184:                             ;   in Loop: Header=BB2_2121 Depth=2
	v_or_b32_e32 v41, 0x7f, v30
; %bb.2185:                             ;   in Loop: Header=BB2_2121 Depth=2
	s_or_b32 exec_lo, exec_lo, s7
	v_dual_lshrrev_b32 v30, 16, v14 :: v_dual_mov_b32 v38, 0
	s_mov_b32 s7, exec_lo
	s_delay_alu instid0(VALU_DEP_1) | instskip(NEXT) | instid1(VALU_DEP_1)
	v_and_b32_e32 v86, 0xff, v30
	v_cmpx_ne_u16_e32 0, v86
	s_cbranch_execz .LBB2_2193
; %bb.2186:                             ;   in Loop: Header=BB2_2121 Depth=2
	v_bfrev_b32_e32 v38, 1
	s_mov_b32 s10, exec_lo
	v_cmpx_ne_u16_e32 0x80, v86
	s_cbranch_execz .LBB2_2192
; %bb.2187:                             ;   in Loop: Header=BB2_2121 Depth=2
	v_bfe_u32 v87, v14, 16, 7
	v_mov_b32_e32 v38, 0x7f800001
	s_mov_b32 s28, exec_lo
	s_delay_alu instid0(VALU_DEP_2)
	v_cmpx_ne_u32_e32 0x7f, v87
	s_cbranch_execz .LBB2_2191
; %bb.2188:                             ;   in Loop: Header=BB2_2121 Depth=2
	v_dual_lshrrev_b32 v86, 3, v87 :: v_dual_bitop2_b32 v38, 7, v30 bitop3:0x40
	s_mov_b32 s29, exec_lo
	v_cmpx_gt_u32_e32 8, v87
; %bb.2189:                             ;   in Loop: Header=BB2_2121 Depth=2
	s_delay_alu instid0(VALU_DEP_2) | instskip(NEXT) | instid1(VALU_DEP_1)
	v_clz_i32_u32_e32 v86, v38
	v_min_u32_e32 v86, 32, v86
	s_delay_alu instid0(VALU_DEP_1) | instskip(NEXT) | instid1(VALU_DEP_1)
	v_subrev_nc_u32_e32 v87, 28, v86
	v_lshlrev_b64_e32 v[96:97], v87, v[38:39]
	s_delay_alu instid0(VALU_DEP_1)
	v_dual_sub_nc_u32 v86, 29, v86 :: v_dual_bitop2_b32 v38, 7, v96 bitop3:0x40
; %bb.2190:                             ;   in Loop: Header=BB2_2121 Depth=2
	s_or_b32 exec_lo, exec_lo, s29
	v_lshlrev_b32_e32 v30, 24, v30
	s_delay_alu instid0(VALU_DEP_2) | instskip(NEXT) | instid1(VALU_DEP_3)
	v_lshlrev_b32_e32 v38, 20, v38
	v_lshl_add_u32 v86, v86, 23, 0x3c000000
	s_delay_alu instid0(VALU_DEP_3) | instskip(NEXT) | instid1(VALU_DEP_1)
	v_and_b32_e32 v30, 0x80000000, v30
	v_or3_b32 v38, v38, v30, v86
.LBB2_2191:                             ;   in Loop: Header=BB2_2121 Depth=2
	s_or_b32 exec_lo, exec_lo, s28
.LBB2_2192:                             ;   in Loop: Header=BB2_2121 Depth=2
	s_delay_alu instid0(SALU_CYCLE_1)
	s_or_b32 exec_lo, exec_lo, s10
.LBB2_2193:                             ;   in Loop: Header=BB2_2121 Depth=2
	s_delay_alu instid0(SALU_CYCLE_1) | instskip(SKIP_3) | instid1(VALU_DEP_1)
	s_or_b32 exec_lo, exec_lo, s7
	v_lshrrev_b32_e32 v30, 16, v10
	s_mov_b32 s10, 0
	s_mov_b32 s7, exec_lo
	v_and_b32_e32 v87, 0xff, v30
	s_delay_alu instid0(VALU_DEP_1)
	v_cmpx_lt_i16_e32 0x7f, v87
	s_xor_b32 s7, exec_lo, s7
	s_cbranch_execz .LBB2_2198
; %bb.2194:                             ;   in Loop: Header=BB2_2121 Depth=2
	s_mov_b32 s10, -1
	s_mov_b32 s28, exec_lo
	v_cmpx_eq_u16_e32 0x80, v87
; %bb.2195:                             ;   in Loop: Header=BB2_2121 Depth=2
	s_xor_b32 s10, exec_lo, -1
; %bb.2196:                             ;   in Loop: Header=BB2_2121 Depth=2
	s_or_b32 exec_lo, exec_lo, s28
	s_delay_alu instid0(SALU_CYCLE_1)
	s_and_b32 s10, s10, exec_lo
                                        ; implicit-def: $vgpr87
	s_or_saveexec_b32 s7, s7
	v_bfrev_b32_e32 v86, 1
	s_xor_b32 exec_lo, exec_lo, s7
	s_cbranch_execnz .LBB2_2199
.LBB2_2197:                             ;   in Loop: Header=BB2_2121 Depth=2
	s_or_b32 exec_lo, exec_lo, s7
	s_and_saveexec_b32 s7, s10
	s_cbranch_execnz .LBB2_2200
	s_branch .LBB2_2203
.LBB2_2198:                             ;   in Loop: Header=BB2_2121 Depth=2
	s_or_saveexec_b32 s7, s7
	v_bfrev_b32_e32 v86, 1
	s_xor_b32 exec_lo, exec_lo, s7
	s_cbranch_execz .LBB2_2197
.LBB2_2199:                             ;   in Loop: Header=BB2_2121 Depth=2
	v_cmp_ne_u16_e32 vcc_lo, 0, v87
	v_mov_b32_e32 v86, 0
	s_and_not1_b32 s10, s10, exec_lo
	s_and_b32 s28, vcc_lo, exec_lo
	s_delay_alu instid0(SALU_CYCLE_1)
	s_or_b32 s10, s10, s28
	s_or_b32 exec_lo, exec_lo, s7
	s_and_saveexec_b32 s7, s10
	s_cbranch_execz .LBB2_2203
.LBB2_2200:                             ;   in Loop: Header=BB2_2121 Depth=2
	v_and_b32_e32 v87, 0x7f, v30
	v_mov_b32_e32 v86, 0x7f800001
	s_mov_b32 s10, exec_lo
	s_delay_alu instid0(VALU_DEP_2)
	v_cmpx_ne_u32_e32 0x7f, v87
	s_cbranch_execz .LBB2_2202
; %bb.2201:                             ;   in Loop: Header=BB2_2121 Depth=2
	v_and_b32_e32 v86, 7, v30
	v_cmp_gt_u32_e32 vcc_lo, 8, v87
	s_delay_alu instid0(VALU_DEP_2) | instskip(NEXT) | instid1(VALU_DEP_1)
	v_clz_i32_u32_e32 v96, v86
	v_min_u32_e32 v98, 32, v96
	s_delay_alu instid0(VALU_DEP_1) | instskip(NEXT) | instid1(VALU_DEP_1)
	v_subrev_nc_u32_e32 v96, 28, v98
	v_lshlrev_b64_e32 v[96:97], v96, v[30:31]
	v_dual_lshrrev_b32 v97, 3, v87 :: v_dual_sub_nc_u32 v98, 29, v98
	s_delay_alu instid0(VALU_DEP_2) | instskip(NEXT) | instid1(VALU_DEP_1)
	v_dual_lshlrev_b32 v30, 24, v30 :: v_dual_bitop2_b32 v87, 7, v96 bitop3:0x40
	v_dual_cndmask_b32 v96, v97, v98, vcc_lo :: v_dual_cndmask_b32 v86, v86, v87, vcc_lo
	s_delay_alu instid0(VALU_DEP_2) | instskip(NEXT) | instid1(VALU_DEP_2)
	v_and_b32_e32 v30, 0x80000000, v30
	v_lshl_add_u32 v87, v96, 23, 0x3c000000
	s_delay_alu instid0(VALU_DEP_3) | instskip(NEXT) | instid1(VALU_DEP_1)
	v_lshlrev_b32_e32 v86, 20, v86
	v_or3_b32 v86, v86, v30, v87
.LBB2_2202:                             ;   in Loop: Header=BB2_2121 Depth=2
	s_or_b32 exec_lo, exec_lo, s10
.LBB2_2203:                             ;   in Loop: Header=BB2_2121 Depth=2
	s_delay_alu instid0(SALU_CYCLE_1) | instskip(NEXT) | instid1(VALU_DEP_1)
	s_or_b32 exec_lo, exec_lo, s7
	v_mul_f32_e32 v86, v38, v86
                                        ; implicit-def: $vgpr42
	s_mov_b32 s7, exec_lo
	s_delay_alu instid0(VALU_DEP_1) | instskip(SKIP_1) | instid1(VALU_DEP_2)
	v_and_b32_e32 v38, 0x7f800000, v86
	v_lshrrev_b32_e32 v30, 24, v86
	v_cmpx_ne_u64_e32 0x7f800000, v[38:39]
	s_xor_b32 s10, exec_lo, s7
	s_cbranch_execz .LBB2_2217
; %bb.2204:                             ;   in Loop: Header=BB2_2121 Depth=2
	v_and_b32_e32 v38, 0x7fffffff, v86
	v_and_b32_e32 v30, 0x80, v30
                                        ; implicit-def: $vgpr42
	s_mov_b32 s7, exec_lo
	s_delay_alu instid0(VALU_DEP_2)
	v_cmpx_gt_u64_e32 0x43e00001, v[38:39]
	s_xor_b32 s28, exec_lo, s7
	s_cbranch_execz .LBB2_2214
; %bb.2205:                             ;   in Loop: Header=BB2_2121 Depth=2
	v_mov_b32_e32 v42, 0
	s_mov_b32 s29, exec_lo
	v_cmpx_ne_u32_e32 0, v86
	s_cbranch_execz .LBB2_2213
; %bb.2206:                             ;   in Loop: Header=BB2_2121 Depth=2
	v_bfe_u32 v98, v86, 23, 8
	s_delay_alu instid0(VALU_DEP_1) | instskip(SKIP_1) | instid1(VALU_DEP_2)
	v_sub_nc_u32_e32 v38, 0x79, v98
	v_cmp_gt_u32_e32 vcc_lo, 0x7a, v98
	v_cndmask_b32_e32 v38, 0, v38, vcc_lo
	v_cmp_eq_u32_e32 vcc_lo, 0, v98
	s_delay_alu instid0(VALU_DEP_2) | instskip(SKIP_1) | instid1(VALU_DEP_2)
	v_cndmask_b32_e64 v99, v38, 0x78, vcc_lo
	v_and_b32_e32 v38, 0x7fffff, v86
	v_add_nc_u32_e32 v86, 20, v99
	s_delay_alu instid0(VALU_DEP_2) | instskip(SKIP_1) | instid1(VALU_DEP_3)
	v_or_b32_e32 v96, 0x800000, v38
	v_add_nc_u32_e32 v97, 19, v99
	v_lshlrev_b64_e64 v[86:87], v86, -1
	s_delay_alu instid0(VALU_DEP_3) | instskip(NEXT) | instid1(VALU_DEP_3)
	v_cndmask_b32_e32 v38, v96, v38, vcc_lo
	v_lshlrev_b64_e64 v[96:97], v97, 1
	s_delay_alu instid0(VALU_DEP_3) | instskip(NEXT) | instid1(VALU_DEP_3)
	v_bfi_b32 v43, v87, 0, 0
	v_bfi_b32 v42, v86, 0, v38
	v_lshrrev_b64 v[86:87], v99, v[38:39]
	s_delay_alu instid0(VALU_DEP_2) | instskip(NEXT) | instid1(VALU_DEP_2)
	v_cmp_eq_u64_e64 s7, v[42:43], v[96:97]
	v_mov_b64_e32 v[96:97], v[86:87]
	s_and_saveexec_b32 s40, s7
; %bb.2207:                             ;   in Loop: Header=BB2_2121 Depth=2
	v_bfe_u32 v38, v86, 20, 1
	s_delay_alu instid0(VALU_DEP_1) | instskip(NEXT) | instid1(VALU_DEP_1)
	v_add_nc_u64_e32 v[96:97], v[86:87], v[38:39]
	v_add_nc_u64_e32 v[96:97], -1, v[96:97]
; %bb.2208:                             ;   in Loop: Header=BB2_2121 Depth=2
	s_or_b32 exec_lo, exec_lo, s40
	v_add_nc_u32_e32 v38, 0xffffff81, v98
	v_lshrrev_b32_e32 v87, 23, v86
	s_mov_b32 s7, exec_lo
	s_delay_alu instid0(VALU_DEP_2) | instskip(NEXT) | instid1(VALU_DEP_1)
	v_cndmask_b32_e64 v38, v38, 0xffffff82, vcc_lo
	v_add3_u32 v97, v99, v38, v87
	v_and_b32_e32 v38, 0xfffff, v96
                                        ; implicit-def: $vgpr96
	s_delay_alu instid0(VALU_DEP_1) | instskip(NEXT) | instid1(VALU_DEP_1)
	v_dual_add_nc_u32 v98, 6, v97 :: v_dual_add_nc_u32 v38, v38, v86
                                        ; implicit-def: $vgpr86_vgpr87
	v_cmpx_ne_u32_e32 0, v98
	s_xor_b32 s7, exec_lo, s7
; %bb.2209:                             ;   in Loop: Header=BB2_2121 Depth=2
	s_delay_alu instid0(VALU_DEP_2) | instskip(SKIP_1) | instid1(VALU_DEP_1)
	v_cmp_lt_u64_e32 vcc_lo, 0xffffff, v[38:39]
	v_add_nc_u32_e32 v86, 7, v97
	v_cndmask_b32_e32 v96, v98, v86, vcc_lo
	v_cndmask_b32_e64 v86, 0, 1, vcc_lo
	s_delay_alu instid0(VALU_DEP_1)
	v_lshrrev_b64 v[86:87], v86, v[38:39]
; %bb.2210:                             ;   in Loop: Header=BB2_2121 Depth=2
	s_and_not1_saveexec_b32 s7, s7
; %bb.2211:                             ;   in Loop: Header=BB2_2121 Depth=2
	v_mov_b64_e32 v[86:87], v[38:39]
	v_bfe_u32 v96, v38, 23, 1
; %bb.2212:                             ;   in Loop: Header=BB2_2121 Depth=2
	s_or_b32 exec_lo, exec_lo, s7
	s_delay_alu instid0(VALU_DEP_2) | instskip(NEXT) | instid1(VALU_DEP_2)
	v_lshrrev_b64 v[86:87], 20, v[86:87]
	v_cmp_gt_i32_e32 vcc_lo, 16, v96
	v_min_i32_e32 v38, 15, v96
	v_cmp_eq_u32_e64 s7, 0, v96
	s_delay_alu instid0(VALU_DEP_2) | instskip(SKIP_1) | instid1(VALU_DEP_2)
	v_dual_cndmask_b32 v87, 0, v87 :: v_dual_lshlrev_b32 v38, 3, v38
	v_cndmask_b32_e32 v86, 7, v86, vcc_lo
	v_and_b32_e32 v38, 0xf8, v38
	s_delay_alu instid0(VALU_DEP_2) | instskip(NEXT) | instid1(VALU_DEP_2)
	v_cmp_eq_u64_e32 vcc_lo, 0, v[86:87]
	v_and_or_b32 v38, v86, 7, v38
	s_and_b32 s7, s7, vcc_lo
	s_delay_alu instid0(VALU_DEP_1) | instid1(SALU_CYCLE_1)
	v_cndmask_b32_e64 v38, v38, 0, s7
	s_delay_alu instid0(VALU_DEP_1)
	v_or_b32_e32 v42, v38, v30
.LBB2_2213:                             ;   in Loop: Header=BB2_2121 Depth=2
	s_or_b32 exec_lo, exec_lo, s29
                                        ; implicit-def: $vgpr30
.LBB2_2214:                             ;   in Loop: Header=BB2_2121 Depth=2
	s_and_not1_saveexec_b32 s7, s28
; %bb.2215:                             ;   in Loop: Header=BB2_2121 Depth=2
	v_or_b32_e32 v42, 0x7e, v30
; %bb.2216:                             ;   in Loop: Header=BB2_2121 Depth=2
	s_or_b32 exec_lo, exec_lo, s7
                                        ; implicit-def: $vgpr30
.LBB2_2217:                             ;   in Loop: Header=BB2_2121 Depth=2
	s_and_not1_saveexec_b32 s7, s10
; %bb.2218:                             ;   in Loop: Header=BB2_2121 Depth=2
	v_or_b32_e32 v42, 0x7f, v30
; %bb.2219:                             ;   in Loop: Header=BB2_2121 Depth=2
	s_or_b32 exec_lo, exec_lo, s7
	v_mov_b32_e32 v38, 0
	s_mov_b32 s7, exec_lo
	v_cmpx_lt_u32_e32 0xffffff, v14
	s_cbranch_execz .LBB2_2227
; %bb.2220:                             ;   in Loop: Header=BB2_2121 Depth=2
	v_lshrrev_b32_e32 v30, 24, v14
	v_bfrev_b32_e32 v38, 1
	s_mov_b32 s10, exec_lo
	s_delay_alu instid0(VALU_DEP_2)
	v_cmpx_ne_u32_e32 0x80, v30
	s_cbranch_execz .LBB2_2226
; %bb.2221:                             ;   in Loop: Header=BB2_2121 Depth=2
	v_bfe_u32 v87, v14, 24, 7
	v_mov_b32_e32 v38, 0x7f800001
	s_mov_b32 s28, exec_lo
	s_delay_alu instid0(VALU_DEP_2)
	v_cmpx_ne_u32_e32 0x7f, v87
	s_cbranch_execz .LBB2_2225
; %bb.2222:                             ;   in Loop: Header=BB2_2121 Depth=2
	v_dual_lshrrev_b32 v86, 3, v87 :: v_dual_bitop2_b32 v38, 7, v30 bitop3:0x40
	s_mov_b32 s29, exec_lo
	v_cmpx_gt_u32_e32 8, v87
; %bb.2223:                             ;   in Loop: Header=BB2_2121 Depth=2
	s_delay_alu instid0(VALU_DEP_2) | instskip(NEXT) | instid1(VALU_DEP_1)
	v_clz_i32_u32_e32 v86, v38
	v_min_u32_e32 v86, 32, v86
	s_delay_alu instid0(VALU_DEP_1) | instskip(NEXT) | instid1(VALU_DEP_1)
	v_subrev_nc_u32_e32 v87, 28, v86
	v_lshlrev_b64_e32 v[96:97], v87, v[38:39]
	s_delay_alu instid0(VALU_DEP_1)
	v_dual_sub_nc_u32 v86, 29, v86 :: v_dual_bitop2_b32 v38, 7, v96 bitop3:0x40
; %bb.2224:                             ;   in Loop: Header=BB2_2121 Depth=2
	s_or_b32 exec_lo, exec_lo, s29
	v_lshlrev_b32_e32 v30, 24, v30
	s_delay_alu instid0(VALU_DEP_2) | instskip(NEXT) | instid1(VALU_DEP_3)
	v_lshlrev_b32_e32 v38, 20, v38
	v_lshl_add_u32 v86, v86, 23, 0x3c000000
	s_delay_alu instid0(VALU_DEP_3) | instskip(NEXT) | instid1(VALU_DEP_1)
	v_and_b32_e32 v30, 0x80000000, v30
	v_or3_b32 v38, v38, v30, v86
.LBB2_2225:                             ;   in Loop: Header=BB2_2121 Depth=2
	s_or_b32 exec_lo, exec_lo, s28
.LBB2_2226:                             ;   in Loop: Header=BB2_2121 Depth=2
	s_delay_alu instid0(SALU_CYCLE_1)
	s_or_b32 exec_lo, exec_lo, s10
.LBB2_2227:                             ;   in Loop: Header=BB2_2121 Depth=2
	s_delay_alu instid0(SALU_CYCLE_1) | instskip(SKIP_3) | instid1(VALU_DEP_3)
	s_or_b32 exec_lo, exec_lo, s7
	v_lshrrev_b32_e32 v30, 24, v10
	v_bfe_u32 v86, v10, 24, 7
	v_cmp_gt_u32_e64 s10, 0x1000000, v10
	v_cmp_eq_u32_e32 vcc_lo, 0x80, v30
	s_delay_alu instid0(VALU_DEP_3) | instskip(SKIP_2) | instid1(VALU_DEP_1)
	v_cmp_eq_u32_e64 s7, 0x7f, v86
	v_cndmask_b32_e32 v87, 0x7f800001, v103, vcc_lo
	s_or_b32 s7, vcc_lo, s7
	v_cndmask_b32_e64 v87, v87, 0, s10
	s_nor_b32 s10, s10, s7
	s_delay_alu instid0(SALU_CYCLE_1)
	s_and_saveexec_b32 s7, s10
	s_cbranch_execz .LBB2_2229
; %bb.2228:                             ;   in Loop: Header=BB2_2121 Depth=2
	v_and_b32_e32 v87, 7, v30
	v_cmp_gt_u32_e32 vcc_lo, 8, v86
	s_delay_alu instid0(VALU_DEP_2) | instskip(NEXT) | instid1(VALU_DEP_1)
	v_clz_i32_u32_e32 v96, v87
	v_min_u32_e32 v98, 32, v96
	s_delay_alu instid0(VALU_DEP_1) | instskip(SKIP_1) | instid1(VALU_DEP_2)
	v_subrev_nc_u32_e32 v96, 28, v98
	v_sub_nc_u32_e32 v98, 29, v98
	v_lshlrev_b64_e32 v[96:97], v96, v[30:31]
	v_lshrrev_b32_e32 v97, 3, v86
	v_lshlrev_b32_e32 v30, 24, v30
	s_delay_alu instid0(VALU_DEP_1) | instskip(NEXT) | instid1(VALU_DEP_3)
	v_and_b32_e32 v30, 0x80000000, v30
	v_dual_cndmask_b32 v96, v97, v98, vcc_lo :: v_dual_bitop2_b32 v86, 7, v96 bitop3:0x40
	s_delay_alu instid0(VALU_DEP_1) | instskip(NEXT) | instid1(VALU_DEP_2)
	v_cndmask_b32_e32 v86, v87, v86, vcc_lo
	v_lshl_add_u32 v87, v96, 23, 0x3c000000
	s_delay_alu instid0(VALU_DEP_2) | instskip(NEXT) | instid1(VALU_DEP_1)
	v_lshlrev_b32_e32 v86, 20, v86
	v_or3_b32 v87, v86, v30, v87
.LBB2_2229:                             ;   in Loop: Header=BB2_2121 Depth=2
	s_or_b32 exec_lo, exec_lo, s7
	s_delay_alu instid0(VALU_DEP_1) | instskip(SKIP_1) | instid1(VALU_DEP_1)
	v_mul_f32_e32 v86, v38, v87
                                        ; implicit-def: $vgpr43
	s_mov_b32 s7, exec_lo
	v_and_b32_e32 v38, 0x7f800000, v86
	v_lshrrev_b32_e32 v30, 24, v86
	s_delay_alu instid0(VALU_DEP_2)
	v_cmpx_ne_u64_e32 0x7f800000, v[38:39]
	s_xor_b32 s10, exec_lo, s7
	s_cbranch_execz .LBB2_2243
; %bb.2230:                             ;   in Loop: Header=BB2_2121 Depth=2
	v_and_b32_e32 v38, 0x7fffffff, v86
	v_and_b32_e32 v30, 0x80, v30
                                        ; implicit-def: $vgpr43
	s_mov_b32 s7, exec_lo
	s_delay_alu instid0(VALU_DEP_2)
	v_cmpx_gt_u64_e32 0x43e00001, v[38:39]
	s_xor_b32 s28, exec_lo, s7
	s_cbranch_execz .LBB2_2240
; %bb.2231:                             ;   in Loop: Header=BB2_2121 Depth=2
	v_mov_b32_e32 v43, 0
	s_mov_b32 s29, exec_lo
	v_cmpx_ne_u32_e32 0, v86
	s_cbranch_execz .LBB2_2239
; %bb.2232:                             ;   in Loop: Header=BB2_2121 Depth=2
	v_bfe_u32 v98, v86, 23, 8
	s_delay_alu instid0(VALU_DEP_1) | instskip(SKIP_1) | instid1(VALU_DEP_2)
	v_sub_nc_u32_e32 v38, 0x79, v98
	v_cmp_gt_u32_e32 vcc_lo, 0x7a, v98
	v_cndmask_b32_e32 v38, 0, v38, vcc_lo
	v_cmp_eq_u32_e32 vcc_lo, 0, v98
	s_delay_alu instid0(VALU_DEP_2) | instskip(SKIP_1) | instid1(VALU_DEP_2)
	v_cndmask_b32_e64 v99, v38, 0x78, vcc_lo
	v_and_b32_e32 v38, 0x7fffff, v86
	v_add_nc_u32_e32 v86, 20, v99
	s_delay_alu instid0(VALU_DEP_2) | instskip(SKIP_1) | instid1(VALU_DEP_3)
	v_or_b32_e32 v96, 0x800000, v38
	v_add_nc_u32_e32 v97, 19, v99
	v_lshlrev_b64_e64 v[86:87], v86, -1
	s_delay_alu instid0(VALU_DEP_3) | instskip(NEXT) | instid1(VALU_DEP_3)
	v_cndmask_b32_e32 v38, v96, v38, vcc_lo
	v_lshlrev_b64_e64 v[96:97], v97, 1
	s_delay_alu instid0(VALU_DEP_3) | instskip(NEXT) | instid1(VALU_DEP_3)
	v_bfi_b32 v45, v87, 0, 0
	v_bfi_b32 v44, v86, 0, v38
	v_lshrrev_b64 v[86:87], v99, v[38:39]
	s_delay_alu instid0(VALU_DEP_2) | instskip(NEXT) | instid1(VALU_DEP_2)
	v_cmp_eq_u64_e64 s7, v[44:45], v[96:97]
	v_mov_b64_e32 v[96:97], v[86:87]
	s_and_saveexec_b32 s40, s7
; %bb.2233:                             ;   in Loop: Header=BB2_2121 Depth=2
	v_bfe_u32 v38, v86, 20, 1
	s_delay_alu instid0(VALU_DEP_1) | instskip(NEXT) | instid1(VALU_DEP_1)
	v_add_nc_u64_e32 v[96:97], v[86:87], v[38:39]
	v_add_nc_u64_e32 v[96:97], -1, v[96:97]
; %bb.2234:                             ;   in Loop: Header=BB2_2121 Depth=2
	s_or_b32 exec_lo, exec_lo, s40
	v_add_nc_u32_e32 v38, 0xffffff81, v98
	v_lshrrev_b32_e32 v87, 23, v86
	s_mov_b32 s7, exec_lo
	s_delay_alu instid0(VALU_DEP_2) | instskip(NEXT) | instid1(VALU_DEP_1)
	v_cndmask_b32_e64 v38, v38, 0xffffff82, vcc_lo
	v_add3_u32 v97, v99, v38, v87
	v_and_b32_e32 v38, 0xfffff, v96
                                        ; implicit-def: $vgpr96
	s_delay_alu instid0(VALU_DEP_1) | instskip(NEXT) | instid1(VALU_DEP_1)
	v_dual_add_nc_u32 v98, 6, v97 :: v_dual_add_nc_u32 v38, v38, v86
                                        ; implicit-def: $vgpr86_vgpr87
	v_cmpx_ne_u32_e32 0, v98
	s_xor_b32 s7, exec_lo, s7
; %bb.2235:                             ;   in Loop: Header=BB2_2121 Depth=2
	s_delay_alu instid0(VALU_DEP_2) | instskip(SKIP_1) | instid1(VALU_DEP_1)
	v_cmp_lt_u64_e32 vcc_lo, 0xffffff, v[38:39]
	v_add_nc_u32_e32 v86, 7, v97
	v_cndmask_b32_e32 v96, v98, v86, vcc_lo
	v_cndmask_b32_e64 v86, 0, 1, vcc_lo
	s_delay_alu instid0(VALU_DEP_1)
	v_lshrrev_b64 v[86:87], v86, v[38:39]
; %bb.2236:                             ;   in Loop: Header=BB2_2121 Depth=2
	s_and_not1_saveexec_b32 s7, s7
; %bb.2237:                             ;   in Loop: Header=BB2_2121 Depth=2
	v_mov_b64_e32 v[86:87], v[38:39]
	v_bfe_u32 v96, v38, 23, 1
; %bb.2238:                             ;   in Loop: Header=BB2_2121 Depth=2
	s_or_b32 exec_lo, exec_lo, s7
	s_delay_alu instid0(VALU_DEP_2) | instskip(NEXT) | instid1(VALU_DEP_2)
	v_lshrrev_b64 v[86:87], 20, v[86:87]
	v_cmp_gt_i32_e32 vcc_lo, 16, v96
	v_min_i32_e32 v38, 15, v96
	v_cmp_eq_u32_e64 s7, 0, v96
	s_delay_alu instid0(VALU_DEP_2) | instskip(SKIP_1) | instid1(VALU_DEP_2)
	v_dual_cndmask_b32 v87, 0, v87 :: v_dual_lshlrev_b32 v38, 3, v38
	v_cndmask_b32_e32 v86, 7, v86, vcc_lo
	v_and_b32_e32 v38, 0xf8, v38
	s_delay_alu instid0(VALU_DEP_2) | instskip(NEXT) | instid1(VALU_DEP_2)
	v_cmp_eq_u64_e32 vcc_lo, 0, v[86:87]
	v_and_or_b32 v38, v86, 7, v38
	s_and_b32 s7, s7, vcc_lo
	s_delay_alu instid0(VALU_DEP_1) | instid1(SALU_CYCLE_1)
	v_cndmask_b32_e64 v38, v38, 0, s7
	s_delay_alu instid0(VALU_DEP_1)
	v_or_b32_e32 v43, v38, v30
.LBB2_2239:                             ;   in Loop: Header=BB2_2121 Depth=2
	s_or_b32 exec_lo, exec_lo, s29
                                        ; implicit-def: $vgpr30
.LBB2_2240:                             ;   in Loop: Header=BB2_2121 Depth=2
	s_and_not1_saveexec_b32 s7, s28
; %bb.2241:                             ;   in Loop: Header=BB2_2121 Depth=2
	v_or_b32_e32 v43, 0x7e, v30
; %bb.2242:                             ;   in Loop: Header=BB2_2121 Depth=2
	s_or_b32 exec_lo, exec_lo, s7
                                        ; implicit-def: $vgpr30
.LBB2_2243:                             ;   in Loop: Header=BB2_2121 Depth=2
	s_and_not1_saveexec_b32 s7, s10
; %bb.2244:                             ;   in Loop: Header=BB2_2121 Depth=2
	v_or_b32_e32 v43, 0x7f, v30
; %bb.2245:                             ;   in Loop: Header=BB2_2121 Depth=2
	s_or_b32 exec_lo, exec_lo, s7
	v_and_b32_e32 v86, 0xff, v15
	v_dual_mov_b32 v38, v15 :: v_dual_mov_b32 v30, 0
	s_mov_b32 s7, exec_lo
	s_delay_alu instid0(VALU_DEP_2)
	v_cmpx_ne_u16_e32 0, v86
	s_cbranch_execz .LBB2_2251
; %bb.2246:                             ;   in Loop: Header=BB2_2121 Depth=2
	v_bfrev_b32_e32 v30, 1
	s_mov_b32 s10, exec_lo
	v_cmpx_ne_u16_e32 0x80, v86
	s_cbranch_execz .LBB2_2250
; %bb.2247:                             ;   in Loop: Header=BB2_2121 Depth=2
	v_and_b32_e32 v86, 0x7f, v15
	v_mov_b32_e32 v30, 0x7f800001
	s_mov_b32 s28, exec_lo
	s_delay_alu instid0(VALU_DEP_2)
	v_cmpx_ne_u32_e32 0x7f, v86
	s_cbranch_execz .LBB2_2249
; %bb.2248:                             ;   in Loop: Header=BB2_2121 Depth=2
	v_dual_lshrrev_b32 v87, 3, v86 :: v_dual_bitop2_b32 v30, 7, v15 bitop3:0x40
	v_cmp_gt_u32_e32 vcc_lo, 8, v86
	s_delay_alu instid0(VALU_DEP_2) | instskip(NEXT) | instid1(VALU_DEP_1)
	v_clz_i32_u32_e32 v30, v30
	v_min_u32_e32 v30, 32, v30
	s_delay_alu instid0(VALU_DEP_1) | instskip(NEXT) | instid1(VALU_DEP_1)
	v_subrev_nc_u32_e32 v96, 28, v30
	v_dual_sub_nc_u32 v30, 29, v30 :: v_dual_cndmask_b32 v86, 0, v96, vcc_lo
	s_delay_alu instid0(VALU_DEP_1) | instskip(NEXT) | instid1(VALU_DEP_2)
	v_cndmask_b32_e32 v30, v87, v30, vcc_lo
	v_lshlrev_b64_e32 v[86:87], v86, v[38:39]
	v_lshlrev_b32_e32 v87, 24, v38
	s_delay_alu instid0(VALU_DEP_3) | instskip(NEXT) | instid1(VALU_DEP_2)
	v_lshl_add_u32 v30, v30, 23, 0x3c000000
	v_and_b32_e32 v87, 0x80000000, v87
	s_delay_alu instid0(VALU_DEP_4) | instskip(NEXT) | instid1(VALU_DEP_1)
	v_lshlrev_b32_e32 v86, 20, v86
	v_and_b32_e32 v86, 0x700000, v86
	s_delay_alu instid0(VALU_DEP_1)
	v_or3_b32 v30, v86, v87, v30
.LBB2_2249:                             ;   in Loop: Header=BB2_2121 Depth=2
	s_or_b32 exec_lo, exec_lo, s28
.LBB2_2250:                             ;   in Loop: Header=BB2_2121 Depth=2
	s_delay_alu instid0(SALU_CYCLE_1)
	s_or_b32 exec_lo, exec_lo, s10
.LBB2_2251:                             ;   in Loop: Header=BB2_2121 Depth=2
	s_delay_alu instid0(SALU_CYCLE_1) | instskip(SKIP_4) | instid1(VALU_DEP_2)
	s_or_b32 exec_lo, exec_lo, s7
	v_and_b32_e32 v87, 0xff, v11
	v_mov_b32_e32 v86, v11
	s_mov_b32 s7, 0
	s_mov_b32 s10, exec_lo
	v_cmpx_lt_i16_e32 0x7f, v87
	s_xor_b32 s10, exec_lo, s10
	s_cbranch_execz .LBB2_2286
; %bb.2252:                             ;   in Loop: Header=BB2_2121 Depth=2
	s_mov_b32 s7, -1
	s_mov_b32 s28, exec_lo
	v_cmpx_eq_u16_e32 0x80, v87
; %bb.2253:                             ;   in Loop: Header=BB2_2121 Depth=2
	s_xor_b32 s7, exec_lo, -1
; %bb.2254:                             ;   in Loop: Header=BB2_2121 Depth=2
	s_or_b32 exec_lo, exec_lo, s28
	s_delay_alu instid0(SALU_CYCLE_1)
	s_and_b32 s7, s7, exec_lo
                                        ; implicit-def: $vgpr87
	s_or_saveexec_b32 s10, s10
	v_bfrev_b32_e32 v96, 1
	s_xor_b32 exec_lo, exec_lo, s10
	s_cbranch_execnz .LBB2_2287
.LBB2_2255:                             ;   in Loop: Header=BB2_2121 Depth=2
	s_or_b32 exec_lo, exec_lo, s10
	v_mov_b32_e32 v87, v39
	s_and_saveexec_b32 s10, s7
	s_cbranch_execz .LBB2_2257
.LBB2_2256:                             ;   in Loop: Header=BB2_2121 Depth=2
	v_and_b32_e32 v96, 7, v11
	v_and_b32_e32 v98, 0x7f, v11
	v_bfe_u32 v97, v11, 3, 4
	s_delay_alu instid0(VALU_DEP_3) | instskip(NEXT) | instid1(VALU_DEP_3)
	v_clz_i32_u32_e32 v96, v96
	v_cmp_gt_u32_e32 vcc_lo, 8, v98
	s_delay_alu instid0(VALU_DEP_2) | instskip(NEXT) | instid1(VALU_DEP_1)
	v_min_u32_e32 v96, 32, v96
	v_subrev_nc_u32_e32 v99, 28, v96
	v_sub_nc_u32_e32 v96, 29, v96
	s_delay_alu instid0(VALU_DEP_1) | instskip(SKIP_1) | instid1(VALU_DEP_2)
	v_dual_cndmask_b32 v44, v97, v96, vcc_lo :: v_dual_cndmask_b32 v96, 0, v99, vcc_lo
	v_cmp_ne_u32_e32 vcc_lo, 0x7f, v98
	v_lshlrev_b64_e32 v[96:97], v96, v[86:87]
	v_lshlrev_b32_e32 v87, 24, v86
	s_delay_alu instid0(VALU_DEP_4) | instskip(NEXT) | instid1(VALU_DEP_2)
	v_lshl_add_u32 v97, v44, 23, 0x3c000000
	v_and_b32_e32 v87, 0x80000000, v87
	s_delay_alu instid0(VALU_DEP_4) | instskip(NEXT) | instid1(VALU_DEP_1)
	v_lshlrev_b32_e32 v96, 20, v96
	v_and_b32_e32 v96, 0x700000, v96
	s_delay_alu instid0(VALU_DEP_1) | instskip(NEXT) | instid1(VALU_DEP_1)
	v_or3_b32 v87, v96, v87, v97
	v_cndmask_b32_e32 v96, 0x7f800001, v87, vcc_lo
.LBB2_2257:                             ;   in Loop: Header=BB2_2121 Depth=2
	s_or_b32 exec_lo, exec_lo, s10
	s_delay_alu instid0(VALU_DEP_1) | instskip(SKIP_1) | instid1(VALU_DEP_1)
	v_dual_mul_f32 v87, v30, v96 :: v_dual_mov_b32 v97, v39
                                        ; implicit-def: $vgpr98
	s_mov_b32 s7, exec_lo
	v_and_b32_e32 v96, 0x7f800000, v87
	v_lshrrev_b32_e32 v30, 24, v87
	s_delay_alu instid0(VALU_DEP_2)
	v_cmpx_ne_u64_e32 0x7f800000, v[96:97]
	s_xor_b32 s10, exec_lo, s7
	s_cbranch_execz .LBB2_2271
; %bb.2258:                             ;   in Loop: Header=BB2_2121 Depth=2
	v_and_b32_e32 v96, 0x7fffffff, v87
	v_mov_b32_e32 v97, v39
	v_and_b32_e32 v30, 0x80, v30
                                        ; implicit-def: $vgpr98
	s_mov_b32 s7, exec_lo
	s_delay_alu instid0(VALU_DEP_2)
	v_cmpx_gt_u64_e32 0x43e00001, v[96:97]
	s_xor_b32 s28, exec_lo, s7
	s_cbranch_execz .LBB2_2268
; %bb.2259:                             ;   in Loop: Header=BB2_2121 Depth=2
	v_mov_b32_e32 v98, 0
	s_mov_b32 s29, exec_lo
	v_cmpx_ne_u32_e32 0, v87
	s_cbranch_execz .LBB2_2267
; %bb.2260:                             ;   in Loop: Header=BB2_2121 Depth=2
	v_bfe_u32 v44, v87, 23, 8
	v_and_b32_e32 v87, 0x7fffff, v87
	s_mov_b32 s40, exec_lo
	s_delay_alu instid0(VALU_DEP_2) | instskip(SKIP_1) | instid1(VALU_DEP_3)
	v_dual_mov_b32 v99, v39 :: v_dual_sub_nc_u32 v96, 0x79, v44
	v_cmp_gt_u32_e32 vcc_lo, 0x7a, v44
	v_or_b32_e32 v98, 0x800000, v87
	s_delay_alu instid0(VALU_DEP_3) | instskip(SKIP_1) | instid1(VALU_DEP_2)
	v_cndmask_b32_e32 v96, 0, v96, vcc_lo
	v_cmp_eq_u32_e32 vcc_lo, 0, v44
	v_cndmask_b32_e64 v45, v96, 0x78, vcc_lo
	s_delay_alu instid0(VALU_DEP_1) | instskip(SKIP_1) | instid1(VALU_DEP_2)
	v_dual_cndmask_b32 v98, v98, v87, vcc_lo :: v_dual_add_nc_u32 v96, 20, v45
	v_add_nc_u32_e32 v46, 19, v45
	v_lshlrev_b64_e64 v[96:97], v96, -1
	s_delay_alu instid0(VALU_DEP_2) | instskip(NEXT) | instid1(VALU_DEP_2)
	v_lshlrev_b64_e64 v[46:47], v46, 1
	v_bfi_b32 v57, v97, 0, 0
	s_delay_alu instid0(VALU_DEP_3) | instskip(SKIP_1) | instid1(VALU_DEP_1)
	v_bfi_b32 v56, v96, 0, v98
	v_lshrrev_b64 v[96:97], v45, v[98:99]
	v_mov_b64_e32 v[98:99], v[96:97]
	s_delay_alu instid0(VALU_DEP_3)
	v_cmpx_eq_u64_e64 v[56:57], v[46:47]
; %bb.2261:                             ;   in Loop: Header=BB2_2121 Depth=2
	v_bfe_u32 v98, v96, 20, 1
	v_mov_b32_e32 v99, v39
	s_delay_alu instid0(VALU_DEP_1) | instskip(NEXT) | instid1(VALU_DEP_1)
	v_add_nc_u64_e32 v[98:99], v[96:97], v[98:99]
	v_add_nc_u64_e32 v[98:99], -1, v[98:99]
; %bb.2262:                             ;   in Loop: Header=BB2_2121 Depth=2
	s_or_b32 exec_lo, exec_lo, s40
	v_add_nc_u32_e32 v87, 0xffffff81, v44
	v_lshrrev_b32_e32 v97, 23, v96
	s_mov_b32 s7, exec_lo
	s_delay_alu instid0(VALU_DEP_2) | instskip(NEXT) | instid1(VALU_DEP_1)
	v_cndmask_b32_e64 v87, v87, 0xffffff82, vcc_lo
	v_add3_u32 v99, v45, v87, v97
	v_and_b32_e32 v87, 0xfffff, v98
	s_delay_alu instid0(VALU_DEP_2) | instskip(NEXT) | instid1(VALU_DEP_2)
	v_dual_mov_b32 v97, v39 :: v_dual_add_nc_u32 v98, 6, v99
	v_add_nc_u32_e32 v96, v87, v96
                                        ; implicit-def: $vgpr87
	s_delay_alu instid0(VALU_DEP_2)
	v_cmpx_ne_u32_e32 0, v98
	s_xor_b32 s7, exec_lo, s7
; %bb.2263:                             ;   in Loop: Header=BB2_2121 Depth=2
	s_delay_alu instid0(VALU_DEP_2) | instskip(SKIP_1) | instid1(VALU_DEP_1)
	v_cmp_lt_u64_e32 vcc_lo, 0xffffff, v[96:97]
	v_add_nc_u32_e32 v87, 7, v99
	v_cndmask_b32_e32 v87, v98, v87, vcc_lo
	v_cndmask_b32_e64 v98, 0, 1, vcc_lo
	s_delay_alu instid0(VALU_DEP_1)
	v_lshrrev_b64 v[96:97], v98, v[96:97]
; %bb.2264:                             ;   in Loop: Header=BB2_2121 Depth=2
	s_and_not1_saveexec_b32 s7, s7
; %bb.2265:                             ;   in Loop: Header=BB2_2121 Depth=2
	s_delay_alu instid0(VALU_DEP_1)
	v_bfe_u32 v87, v96, 23, 1
; %bb.2266:                             ;   in Loop: Header=BB2_2121 Depth=2
	s_or_b32 exec_lo, exec_lo, s7
	s_delay_alu instid0(VALU_DEP_2) | instskip(NEXT) | instid1(VALU_DEP_2)
	v_lshrrev_b64 v[96:97], 20, v[96:97]
	v_cmp_gt_i32_e32 vcc_lo, 16, v87
	v_min_i32_e32 v98, 15, v87
	v_cmp_eq_u32_e64 s7, 0, v87
	s_delay_alu instid0(VALU_DEP_2) | instskip(SKIP_1) | instid1(VALU_DEP_2)
	v_dual_cndmask_b32 v97, 0, v97 :: v_dual_lshlrev_b32 v98, 3, v98
	v_cndmask_b32_e32 v96, 7, v96, vcc_lo
	v_and_b32_e32 v98, 0xf8, v98
	s_delay_alu instid0(VALU_DEP_2) | instskip(NEXT) | instid1(VALU_DEP_2)
	v_cmp_eq_u64_e32 vcc_lo, 0, v[96:97]
	v_and_or_b32 v87, v96, 7, v98
	s_and_b32 s7, s7, vcc_lo
	s_delay_alu instid0(VALU_DEP_1) | instid1(SALU_CYCLE_1)
	v_cndmask_b32_e64 v87, v87, 0, s7
	s_delay_alu instid0(VALU_DEP_1)
	v_or_b32_e32 v98, v87, v30
.LBB2_2267:                             ;   in Loop: Header=BB2_2121 Depth=2
	s_or_b32 exec_lo, exec_lo, s29
                                        ; implicit-def: $vgpr30
.LBB2_2268:                             ;   in Loop: Header=BB2_2121 Depth=2
	s_and_not1_saveexec_b32 s7, s28
; %bb.2269:                             ;   in Loop: Header=BB2_2121 Depth=2
	v_or_b32_e32 v98, 0x7e, v30
; %bb.2270:                             ;   in Loop: Header=BB2_2121 Depth=2
	s_or_b32 exec_lo, exec_lo, s7
                                        ; implicit-def: $vgpr30
.LBB2_2271:                             ;   in Loop: Header=BB2_2121 Depth=2
	s_and_not1_saveexec_b32 s7, s10
; %bb.2272:                             ;   in Loop: Header=BB2_2121 Depth=2
	v_or_b32_e32 v98, 0x7f, v30
; %bb.2273:                             ;   in Loop: Header=BB2_2121 Depth=2
	s_or_b32 exec_lo, exec_lo, s7
	v_lshrrev_b16 v30, 8, v38
	v_mov_b32_e32 v87, 0
	s_mov_b32 s7, exec_lo
	s_delay_alu instid0(VALU_DEP_2)
	v_cmpx_ne_u16_e32 0, v30
	s_cbranch_execz .LBB2_2281
; %bb.2274:                             ;   in Loop: Header=BB2_2121 Depth=2
	v_bfrev_b32_e32 v87, 1
	s_mov_b32 s10, exec_lo
	v_cmpx_ne_u16_e32 0x80, v30
	s_cbranch_execz .LBB2_2280
; %bb.2275:                             ;   in Loop: Header=BB2_2121 Depth=2
	v_and_b32_e32 v30, 0xffff, v30
	v_mov_b32_e32 v87, 0x7f800001
	s_mov_b32 s28, exec_lo
	s_delay_alu instid0(VALU_DEP_2) | instskip(NEXT) | instid1(VALU_DEP_1)
	v_and_b32_e32 v99, 0x7f, v30
	v_cmpx_ne_u32_e32 0x7f, v99
	s_cbranch_execz .LBB2_2279
; %bb.2276:                             ;   in Loop: Header=BB2_2121 Depth=2
	v_dual_mov_b32 v97, v39 :: v_dual_bitop2_b32 v96, 7, v30 bitop3:0x40
	v_lshrrev_b32_e32 v30, 3, v99
	s_mov_b32 s29, exec_lo
	v_cmpx_gt_u32_e32 8, v99
; %bb.2277:                             ;   in Loop: Header=BB2_2121 Depth=2
	s_delay_alu instid0(VALU_DEP_3) | instskip(NEXT) | instid1(VALU_DEP_1)
	v_clz_i32_u32_e32 v30, v96
	v_min_u32_e32 v30, 32, v30
	s_delay_alu instid0(VALU_DEP_1) | instskip(NEXT) | instid1(VALU_DEP_1)
	v_subrev_nc_u32_e32 v87, 28, v30
	v_lshlrev_b64_e32 v[96:97], v87, v[96:97]
	s_delay_alu instid0(VALU_DEP_1)
	v_dual_sub_nc_u32 v30, 29, v30 :: v_dual_bitop2_b32 v96, 7, v96 bitop3:0x40
; %bb.2278:                             ;   in Loop: Header=BB2_2121 Depth=2
	s_or_b32 exec_lo, exec_lo, s29
	s_delay_alu instid0(VALU_DEP_1) | instskip(NEXT) | instid1(VALU_DEP_2)
	v_dual_lshlrev_b32 v38, 16, v38 :: v_dual_lshlrev_b32 v87, 20, v96
	v_lshl_add_u32 v30, v30, 23, 0x3c000000
	s_delay_alu instid0(VALU_DEP_2) | instskip(NEXT) | instid1(VALU_DEP_1)
	v_and_b32_e32 v38, 0x80000000, v38
	v_or3_b32 v87, v87, v38, v30
.LBB2_2279:                             ;   in Loop: Header=BB2_2121 Depth=2
	s_or_b32 exec_lo, exec_lo, s28
.LBB2_2280:                             ;   in Loop: Header=BB2_2121 Depth=2
	s_delay_alu instid0(SALU_CYCLE_1)
	s_or_b32 exec_lo, exec_lo, s10
.LBB2_2281:                             ;   in Loop: Header=BB2_2121 Depth=2
	s_delay_alu instid0(SALU_CYCLE_1) | instskip(SKIP_3) | instid1(VALU_DEP_1)
	s_or_b32 exec_lo, exec_lo, s7
	v_lshrrev_b16 v38, 8, v86
	s_mov_b32 s10, 0
	s_mov_b32 s7, exec_lo
	v_cmpx_lt_i16_e32 0x7f, v38
	s_xor_b32 s7, exec_lo, s7
	s_cbranch_execz .LBB2_2288
; %bb.2282:                             ;   in Loop: Header=BB2_2121 Depth=2
	s_mov_b32 s10, -1
	s_mov_b32 s28, exec_lo
	v_cmpx_eq_u16_e32 0x80, v38
; %bb.2283:                             ;   in Loop: Header=BB2_2121 Depth=2
	s_xor_b32 s10, exec_lo, -1
; %bb.2284:                             ;   in Loop: Header=BB2_2121 Depth=2
	s_or_b32 exec_lo, exec_lo, s28
	s_delay_alu instid0(SALU_CYCLE_1)
	s_and_b32 s10, s10, exec_lo
	s_or_saveexec_b32 s7, s7
	v_bfrev_b32_e32 v86, 1
	s_xor_b32 exec_lo, exec_lo, s7
	s_cbranch_execnz .LBB2_2289
.LBB2_2285:                             ;   in Loop: Header=BB2_2121 Depth=2
	s_or_b32 exec_lo, exec_lo, s7
	s_and_saveexec_b32 s7, s10
	s_cbranch_execnz .LBB2_2290
	s_branch .LBB2_2293
.LBB2_2286:                             ;   in Loop: Header=BB2_2121 Depth=2
	s_or_saveexec_b32 s10, s10
	v_bfrev_b32_e32 v96, 1
	s_xor_b32 exec_lo, exec_lo, s10
	s_cbranch_execz .LBB2_2255
.LBB2_2287:                             ;   in Loop: Header=BB2_2121 Depth=2
	v_cmp_ne_u16_e32 vcc_lo, 0, v87
	v_mov_b32_e32 v96, 0
	s_and_not1_b32 s7, s7, exec_lo
	s_and_b32 s28, vcc_lo, exec_lo
	s_delay_alu instid0(SALU_CYCLE_1)
	s_or_b32 s7, s7, s28
	s_or_b32 exec_lo, exec_lo, s10
	v_mov_b32_e32 v87, v39
	s_and_saveexec_b32 s10, s7
	s_cbranch_execnz .LBB2_2256
	s_branch .LBB2_2257
.LBB2_2288:                             ;   in Loop: Header=BB2_2121 Depth=2
	s_or_saveexec_b32 s7, s7
	v_bfrev_b32_e32 v86, 1
	s_xor_b32 exec_lo, exec_lo, s7
	s_cbranch_execz .LBB2_2285
.LBB2_2289:                             ;   in Loop: Header=BB2_2121 Depth=2
	v_cmp_ne_u16_e32 vcc_lo, 0, v38
	v_mov_b32_e32 v86, 0
	s_and_not1_b32 s10, s10, exec_lo
	s_and_b32 s28, vcc_lo, exec_lo
	s_delay_alu instid0(SALU_CYCLE_1)
	s_or_b32 s10, s10, s28
	s_or_b32 exec_lo, exec_lo, s7
	s_and_saveexec_b32 s7, s10
	s_cbranch_execz .LBB2_2293
.LBB2_2290:                             ;   in Loop: Header=BB2_2121 Depth=2
	v_and_b32_e32 v30, 0xffff, v38
	v_mov_b32_e32 v86, 0x7f800001
	s_mov_b32 s10, exec_lo
	s_delay_alu instid0(VALU_DEP_2) | instskip(NEXT) | instid1(VALU_DEP_1)
	v_and_b32_e32 v96, 0x7f, v30
	v_cmpx_ne_u32_e32 0x7f, v96
	s_cbranch_execz .LBB2_2292
; %bb.2291:                             ;   in Loop: Header=BB2_2121 Depth=2
	v_and_b32_e32 v86, 7, v30
	v_cmp_gt_u32_e32 vcc_lo, 8, v96
	s_delay_alu instid0(VALU_DEP_2) | instskip(NEXT) | instid1(VALU_DEP_1)
	v_clz_i32_u32_e32 v97, v86
	v_min_u32_e32 v97, 32, v97
	s_delay_alu instid0(VALU_DEP_1) | instskip(NEXT) | instid1(VALU_DEP_1)
	v_subrev_nc_u32_e32 v99, 28, v97
	v_lshlrev_b64_e32 v[44:45], v99, v[30:31]
	v_dual_lshrrev_b32 v30, 3, v96 :: v_dual_sub_nc_u32 v97, 29, v97
	s_delay_alu instid0(VALU_DEP_2) | instskip(NEXT) | instid1(VALU_DEP_2)
	v_dual_lshlrev_b32 v38, 24, v38 :: v_dual_bitop2_b32 v96, 7, v44 bitop3:0x40
	v_cndmask_b32_e32 v30, v30, v97, vcc_lo
	s_delay_alu instid0(VALU_DEP_2) | instskip(NEXT) | instid1(VALU_DEP_3)
	v_cndmask_b32_e32 v86, v86, v96, vcc_lo
	v_and_b32_e32 v38, 0x80000000, v38
	s_delay_alu instid0(VALU_DEP_3) | instskip(NEXT) | instid1(VALU_DEP_3)
	v_lshl_add_u32 v30, v30, 23, 0x3c000000
	v_lshlrev_b32_e32 v86, 20, v86
	s_delay_alu instid0(VALU_DEP_1)
	v_or3_b32 v86, v86, v38, v30
.LBB2_2292:                             ;   in Loop: Header=BB2_2121 Depth=2
	s_or_b32 exec_lo, exec_lo, s10
.LBB2_2293:                             ;   in Loop: Header=BB2_2121 Depth=2
	s_delay_alu instid0(SALU_CYCLE_1) | instskip(NEXT) | instid1(VALU_DEP_1)
	s_or_b32 exec_lo, exec_lo, s7
	v_mul_f32_e32 v86, v87, v86
                                        ; implicit-def: $vgpr99
	s_mov_b32 s7, exec_lo
	s_delay_alu instid0(VALU_DEP_1) | instskip(SKIP_1) | instid1(VALU_DEP_2)
	v_and_b32_e32 v38, 0x7f800000, v86
	v_lshrrev_b32_e32 v30, 24, v86
	v_cmpx_ne_u64_e32 0x7f800000, v[38:39]
	s_xor_b32 s10, exec_lo, s7
	s_cbranch_execz .LBB2_2307
; %bb.2294:                             ;   in Loop: Header=BB2_2121 Depth=2
	v_and_b32_e32 v38, 0x7fffffff, v86
	v_and_b32_e32 v30, 0x80, v30
                                        ; implicit-def: $vgpr99
	s_mov_b32 s7, exec_lo
	s_delay_alu instid0(VALU_DEP_2)
	v_cmpx_gt_u64_e32 0x43e00001, v[38:39]
	s_xor_b32 s28, exec_lo, s7
	s_cbranch_execz .LBB2_2304
; %bb.2295:                             ;   in Loop: Header=BB2_2121 Depth=2
	v_mov_b32_e32 v99, 0
	s_mov_b32 s29, exec_lo
	v_cmpx_ne_u32_e32 0, v86
	s_cbranch_execz .LBB2_2303
; %bb.2296:                             ;   in Loop: Header=BB2_2121 Depth=2
	v_bfe_u32 v99, v86, 23, 8
	s_delay_alu instid0(VALU_DEP_1) | instskip(SKIP_1) | instid1(VALU_DEP_2)
	v_sub_nc_u32_e32 v38, 0x79, v99
	v_cmp_gt_u32_e32 vcc_lo, 0x7a, v99
	v_cndmask_b32_e32 v38, 0, v38, vcc_lo
	v_cmp_eq_u32_e32 vcc_lo, 0, v99
	s_delay_alu instid0(VALU_DEP_2) | instskip(SKIP_1) | instid1(VALU_DEP_2)
	v_cndmask_b32_e64 v44, v38, 0x78, vcc_lo
	v_and_b32_e32 v38, 0x7fffff, v86
	v_add_nc_u32_e32 v86, 20, v44
	s_delay_alu instid0(VALU_DEP_2) | instskip(SKIP_1) | instid1(VALU_DEP_3)
	v_or_b32_e32 v96, 0x800000, v38
	v_add_nc_u32_e32 v97, 19, v44
	v_lshlrev_b64_e64 v[86:87], v86, -1
	s_delay_alu instid0(VALU_DEP_3) | instskip(NEXT) | instid1(VALU_DEP_3)
	v_cndmask_b32_e32 v38, v96, v38, vcc_lo
	v_lshlrev_b64_e64 v[96:97], v97, 1
	s_delay_alu instid0(VALU_DEP_3) | instskip(NEXT) | instid1(VALU_DEP_3)
	v_bfi_b32 v47, v87, 0, 0
	v_bfi_b32 v46, v86, 0, v38
	v_lshrrev_b64 v[86:87], v44, v[38:39]
	s_delay_alu instid0(VALU_DEP_2) | instskip(NEXT) | instid1(VALU_DEP_2)
	v_cmp_eq_u64_e64 s7, v[46:47], v[96:97]
	v_mov_b64_e32 v[96:97], v[86:87]
	s_and_saveexec_b32 s40, s7
; %bb.2297:                             ;   in Loop: Header=BB2_2121 Depth=2
	v_bfe_u32 v38, v86, 20, 1
	s_delay_alu instid0(VALU_DEP_1) | instskip(NEXT) | instid1(VALU_DEP_1)
	v_add_nc_u64_e32 v[96:97], v[86:87], v[38:39]
	v_add_nc_u64_e32 v[96:97], -1, v[96:97]
; %bb.2298:                             ;   in Loop: Header=BB2_2121 Depth=2
	s_or_b32 exec_lo, exec_lo, s40
	v_add_nc_u32_e32 v38, 0xffffff81, v99
	v_lshrrev_b32_e32 v87, 23, v86
	s_mov_b32 s7, exec_lo
	s_delay_alu instid0(VALU_DEP_2) | instskip(NEXT) | instid1(VALU_DEP_1)
	v_cndmask_b32_e64 v38, v38, 0xffffff82, vcc_lo
	v_add3_u32 v97, v44, v38, v87
	v_and_b32_e32 v38, 0xfffff, v96
                                        ; implicit-def: $vgpr96
	s_delay_alu instid0(VALU_DEP_1) | instskip(NEXT) | instid1(VALU_DEP_1)
	v_dual_add_nc_u32 v99, 6, v97 :: v_dual_add_nc_u32 v38, v38, v86
                                        ; implicit-def: $vgpr86_vgpr87
	v_cmpx_ne_u32_e32 0, v99
	s_xor_b32 s7, exec_lo, s7
; %bb.2299:                             ;   in Loop: Header=BB2_2121 Depth=2
	s_delay_alu instid0(VALU_DEP_2) | instskip(SKIP_1) | instid1(VALU_DEP_1)
	v_cmp_lt_u64_e32 vcc_lo, 0xffffff, v[38:39]
	v_add_nc_u32_e32 v86, 7, v97
	v_cndmask_b32_e32 v96, v99, v86, vcc_lo
	v_cndmask_b32_e64 v86, 0, 1, vcc_lo
	s_delay_alu instid0(VALU_DEP_1)
	v_lshrrev_b64 v[86:87], v86, v[38:39]
; %bb.2300:                             ;   in Loop: Header=BB2_2121 Depth=2
	s_and_not1_saveexec_b32 s7, s7
; %bb.2301:                             ;   in Loop: Header=BB2_2121 Depth=2
	v_mov_b64_e32 v[86:87], v[38:39]
	v_bfe_u32 v96, v38, 23, 1
; %bb.2302:                             ;   in Loop: Header=BB2_2121 Depth=2
	s_or_b32 exec_lo, exec_lo, s7
	s_delay_alu instid0(VALU_DEP_2) | instskip(NEXT) | instid1(VALU_DEP_2)
	v_lshrrev_b64 v[86:87], 20, v[86:87]
	v_cmp_gt_i32_e32 vcc_lo, 16, v96
	v_min_i32_e32 v38, 15, v96
	v_cmp_eq_u32_e64 s7, 0, v96
	s_delay_alu instid0(VALU_DEP_2) | instskip(SKIP_1) | instid1(VALU_DEP_2)
	v_dual_cndmask_b32 v87, 0, v87 :: v_dual_lshlrev_b32 v38, 3, v38
	v_cndmask_b32_e32 v86, 7, v86, vcc_lo
	v_and_b32_e32 v38, 0xf8, v38
	s_delay_alu instid0(VALU_DEP_2) | instskip(NEXT) | instid1(VALU_DEP_2)
	v_cmp_eq_u64_e32 vcc_lo, 0, v[86:87]
	v_and_or_b32 v38, v86, 7, v38
	s_and_b32 s7, s7, vcc_lo
	s_delay_alu instid0(VALU_DEP_1) | instid1(SALU_CYCLE_1)
	v_cndmask_b32_e64 v38, v38, 0, s7
	s_delay_alu instid0(VALU_DEP_1)
	v_or_b32_e32 v99, v38, v30
.LBB2_2303:                             ;   in Loop: Header=BB2_2121 Depth=2
	s_or_b32 exec_lo, exec_lo, s29
                                        ; implicit-def: $vgpr30
.LBB2_2304:                             ;   in Loop: Header=BB2_2121 Depth=2
	s_and_not1_saveexec_b32 s7, s28
; %bb.2305:                             ;   in Loop: Header=BB2_2121 Depth=2
	v_or_b32_e32 v99, 0x7e, v30
; %bb.2306:                             ;   in Loop: Header=BB2_2121 Depth=2
	s_or_b32 exec_lo, exec_lo, s7
                                        ; implicit-def: $vgpr30
.LBB2_2307:                             ;   in Loop: Header=BB2_2121 Depth=2
	s_and_not1_saveexec_b32 s7, s10
; %bb.2308:                             ;   in Loop: Header=BB2_2121 Depth=2
	v_or_b32_e32 v99, 0x7f, v30
; %bb.2309:                             ;   in Loop: Header=BB2_2121 Depth=2
	s_or_b32 exec_lo, exec_lo, s7
	v_dual_lshrrev_b32 v30, 16, v15 :: v_dual_mov_b32 v38, 0
	s_mov_b32 s7, exec_lo
	s_delay_alu instid0(VALU_DEP_1) | instskip(NEXT) | instid1(VALU_DEP_1)
	v_and_b32_e32 v86, 0xff, v30
	v_cmpx_ne_u16_e32 0, v86
	s_cbranch_execz .LBB2_2317
; %bb.2310:                             ;   in Loop: Header=BB2_2121 Depth=2
	v_bfrev_b32_e32 v38, 1
	s_mov_b32 s10, exec_lo
	v_cmpx_ne_u16_e32 0x80, v86
	s_cbranch_execz .LBB2_2316
; %bb.2311:                             ;   in Loop: Header=BB2_2121 Depth=2
	v_bfe_u32 v87, v15, 16, 7
	v_mov_b32_e32 v38, 0x7f800001
	s_mov_b32 s28, exec_lo
	s_delay_alu instid0(VALU_DEP_2)
	v_cmpx_ne_u32_e32 0x7f, v87
	s_cbranch_execz .LBB2_2315
; %bb.2312:                             ;   in Loop: Header=BB2_2121 Depth=2
	v_dual_lshrrev_b32 v86, 3, v87 :: v_dual_bitop2_b32 v38, 7, v30 bitop3:0x40
	s_mov_b32 s29, exec_lo
	v_cmpx_gt_u32_e32 8, v87
; %bb.2313:                             ;   in Loop: Header=BB2_2121 Depth=2
	s_delay_alu instid0(VALU_DEP_2) | instskip(NEXT) | instid1(VALU_DEP_1)
	v_clz_i32_u32_e32 v86, v38
	v_min_u32_e32 v86, 32, v86
	s_delay_alu instid0(VALU_DEP_1) | instskip(NEXT) | instid1(VALU_DEP_1)
	v_subrev_nc_u32_e32 v87, 28, v86
	v_lshlrev_b64_e32 v[96:97], v87, v[38:39]
	s_delay_alu instid0(VALU_DEP_1)
	v_dual_sub_nc_u32 v86, 29, v86 :: v_dual_bitop2_b32 v38, 7, v96 bitop3:0x40
; %bb.2314:                             ;   in Loop: Header=BB2_2121 Depth=2
	s_or_b32 exec_lo, exec_lo, s29
	v_lshlrev_b32_e32 v30, 24, v30
	s_delay_alu instid0(VALU_DEP_2) | instskip(NEXT) | instid1(VALU_DEP_3)
	v_lshlrev_b32_e32 v38, 20, v38
	v_lshl_add_u32 v86, v86, 23, 0x3c000000
	s_delay_alu instid0(VALU_DEP_3) | instskip(NEXT) | instid1(VALU_DEP_1)
	v_and_b32_e32 v30, 0x80000000, v30
	v_or3_b32 v38, v38, v30, v86
.LBB2_2315:                             ;   in Loop: Header=BB2_2121 Depth=2
	s_or_b32 exec_lo, exec_lo, s28
.LBB2_2316:                             ;   in Loop: Header=BB2_2121 Depth=2
	s_delay_alu instid0(SALU_CYCLE_1)
	s_or_b32 exec_lo, exec_lo, s10
.LBB2_2317:                             ;   in Loop: Header=BB2_2121 Depth=2
	s_delay_alu instid0(SALU_CYCLE_1) | instskip(SKIP_3) | instid1(VALU_DEP_1)
	s_or_b32 exec_lo, exec_lo, s7
	v_lshrrev_b32_e32 v30, 16, v11
	s_mov_b32 s10, 0
	s_mov_b32 s7, exec_lo
	v_and_b32_e32 v87, 0xff, v30
	s_delay_alu instid0(VALU_DEP_1)
	v_cmpx_lt_i16_e32 0x7f, v87
	s_xor_b32 s7, exec_lo, s7
	s_cbranch_execz .LBB2_2322
; %bb.2318:                             ;   in Loop: Header=BB2_2121 Depth=2
	s_mov_b32 s10, -1
	s_mov_b32 s28, exec_lo
	v_cmpx_eq_u16_e32 0x80, v87
; %bb.2319:                             ;   in Loop: Header=BB2_2121 Depth=2
	s_xor_b32 s10, exec_lo, -1
; %bb.2320:                             ;   in Loop: Header=BB2_2121 Depth=2
	s_or_b32 exec_lo, exec_lo, s28
	s_delay_alu instid0(SALU_CYCLE_1)
	s_and_b32 s10, s10, exec_lo
                                        ; implicit-def: $vgpr87
	s_or_saveexec_b32 s7, s7
	v_bfrev_b32_e32 v86, 1
	s_xor_b32 exec_lo, exec_lo, s7
	s_cbranch_execnz .LBB2_2323
.LBB2_2321:                             ;   in Loop: Header=BB2_2121 Depth=2
	s_or_b32 exec_lo, exec_lo, s7
	s_and_saveexec_b32 s7, s10
	s_cbranch_execnz .LBB2_2324
	s_branch .LBB2_2327
.LBB2_2322:                             ;   in Loop: Header=BB2_2121 Depth=2
	s_or_saveexec_b32 s7, s7
	v_bfrev_b32_e32 v86, 1
	s_xor_b32 exec_lo, exec_lo, s7
	s_cbranch_execz .LBB2_2321
.LBB2_2323:                             ;   in Loop: Header=BB2_2121 Depth=2
	v_cmp_ne_u16_e32 vcc_lo, 0, v87
	v_mov_b32_e32 v86, 0
	s_and_not1_b32 s10, s10, exec_lo
	s_and_b32 s28, vcc_lo, exec_lo
	s_delay_alu instid0(SALU_CYCLE_1)
	s_or_b32 s10, s10, s28
	s_or_b32 exec_lo, exec_lo, s7
	s_and_saveexec_b32 s7, s10
	s_cbranch_execz .LBB2_2327
.LBB2_2324:                             ;   in Loop: Header=BB2_2121 Depth=2
	v_and_b32_e32 v87, 0x7f, v30
	v_mov_b32_e32 v86, 0x7f800001
	s_mov_b32 s10, exec_lo
	s_delay_alu instid0(VALU_DEP_2)
	v_cmpx_ne_u32_e32 0x7f, v87
	s_cbranch_execz .LBB2_2326
; %bb.2325:                             ;   in Loop: Header=BB2_2121 Depth=2
	v_and_b32_e32 v86, 7, v30
	v_cmp_gt_u32_e32 vcc_lo, 8, v87
	s_delay_alu instid0(VALU_DEP_2) | instskip(NEXT) | instid1(VALU_DEP_1)
	v_clz_i32_u32_e32 v96, v86
	v_min_u32_e32 v44, 32, v96
	s_delay_alu instid0(VALU_DEP_1) | instskip(SKIP_1) | instid1(VALU_DEP_2)
	v_subrev_nc_u32_e32 v96, 28, v44
	v_sub_nc_u32_e32 v44, 29, v44
	v_lshlrev_b64_e32 v[96:97], v96, v[30:31]
	v_dual_lshrrev_b32 v97, 3, v87 :: v_dual_lshlrev_b32 v30, 24, v30
	s_delay_alu instid0(VALU_DEP_1) | instskip(NEXT) | instid1(VALU_DEP_3)
	v_and_b32_e32 v30, 0x80000000, v30
	v_and_b32_e32 v87, 7, v96
	s_delay_alu instid0(VALU_DEP_1) | instskip(NEXT) | instid1(VALU_DEP_1)
	v_dual_cndmask_b32 v96, v97, v44, vcc_lo :: v_dual_cndmask_b32 v86, v86, v87, vcc_lo
	v_lshl_add_u32 v87, v96, 23, 0x3c000000
	s_delay_alu instid0(VALU_DEP_2) | instskip(NEXT) | instid1(VALU_DEP_1)
	v_lshlrev_b32_e32 v86, 20, v86
	v_or3_b32 v86, v86, v30, v87
.LBB2_2326:                             ;   in Loop: Header=BB2_2121 Depth=2
	s_or_b32 exec_lo, exec_lo, s10
.LBB2_2327:                             ;   in Loop: Header=BB2_2121 Depth=2
	s_delay_alu instid0(SALU_CYCLE_1) | instskip(NEXT) | instid1(VALU_DEP_1)
	s_or_b32 exec_lo, exec_lo, s7
	v_mul_f32_e32 v86, v38, v86
                                        ; implicit-def: $vgpr30
	s_mov_b32 s7, exec_lo
	s_delay_alu instid0(VALU_DEP_1) | instskip(SKIP_1) | instid1(VALU_DEP_2)
	v_and_b32_e32 v38, 0x7f800000, v86
	v_lshrrev_b32_e32 v87, 24, v86
	v_cmpx_ne_u64_e32 0x7f800000, v[38:39]
	s_xor_b32 s10, exec_lo, s7
	s_cbranch_execz .LBB2_2341
; %bb.2328:                             ;   in Loop: Header=BB2_2121 Depth=2
	v_and_b32_e32 v38, 0x7fffffff, v86
	v_and_b32_e32 v44, 0x80, v87
                                        ; implicit-def: $vgpr30
	s_mov_b32 s7, exec_lo
	s_delay_alu instid0(VALU_DEP_2)
	v_cmpx_gt_u64_e32 0x43e00001, v[38:39]
	s_xor_b32 s28, exec_lo, s7
	s_cbranch_execz .LBB2_2338
; %bb.2329:                             ;   in Loop: Header=BB2_2121 Depth=2
	v_mov_b32_e32 v30, 0
	s_mov_b32 s29, exec_lo
	v_cmpx_ne_u32_e32 0, v86
	s_cbranch_execz .LBB2_2337
; %bb.2330:                             ;   in Loop: Header=BB2_2121 Depth=2
	v_bfe_u32 v30, v86, 23, 8
	s_delay_alu instid0(VALU_DEP_1) | instskip(SKIP_1) | instid1(VALU_DEP_2)
	v_sub_nc_u32_e32 v38, 0x79, v30
	v_cmp_gt_u32_e32 vcc_lo, 0x7a, v30
	v_cndmask_b32_e32 v38, 0, v38, vcc_lo
	v_cmp_eq_u32_e32 vcc_lo, 0, v30
	s_delay_alu instid0(VALU_DEP_2) | instskip(SKIP_1) | instid1(VALU_DEP_2)
	v_cndmask_b32_e64 v45, v38, 0x78, vcc_lo
	v_and_b32_e32 v38, 0x7fffff, v86
	v_add_nc_u32_e32 v86, 20, v45
	s_delay_alu instid0(VALU_DEP_2) | instskip(SKIP_1) | instid1(VALU_DEP_3)
	v_or_b32_e32 v96, 0x800000, v38
	v_add_nc_u32_e32 v97, 19, v45
	v_lshlrev_b64_e64 v[86:87], v86, -1
	s_delay_alu instid0(VALU_DEP_3) | instskip(NEXT) | instid1(VALU_DEP_3)
	v_cndmask_b32_e32 v38, v96, v38, vcc_lo
	v_lshlrev_b64_e64 v[96:97], v97, 1
	s_delay_alu instid0(VALU_DEP_3) | instskip(NEXT) | instid1(VALU_DEP_3)
	v_bfi_b32 v47, v87, 0, 0
	v_bfi_b32 v46, v86, 0, v38
	v_lshrrev_b64 v[86:87], v45, v[38:39]
	s_delay_alu instid0(VALU_DEP_2) | instskip(NEXT) | instid1(VALU_DEP_2)
	v_cmp_eq_u64_e64 s7, v[46:47], v[96:97]
	v_mov_b64_e32 v[96:97], v[86:87]
	s_and_saveexec_b32 s40, s7
; %bb.2331:                             ;   in Loop: Header=BB2_2121 Depth=2
	v_bfe_u32 v38, v86, 20, 1
	s_delay_alu instid0(VALU_DEP_1) | instskip(NEXT) | instid1(VALU_DEP_1)
	v_add_nc_u64_e32 v[96:97], v[86:87], v[38:39]
	v_add_nc_u64_e32 v[96:97], -1, v[96:97]
; %bb.2332:                             ;   in Loop: Header=BB2_2121 Depth=2
	s_or_b32 exec_lo, exec_lo, s40
	v_add_nc_u32_e32 v30, 0xffffff81, v30
	v_lshrrev_b32_e32 v38, 23, v86
	s_mov_b32 s7, exec_lo
	s_delay_alu instid0(VALU_DEP_2) | instskip(NEXT) | instid1(VALU_DEP_1)
	v_cndmask_b32_e64 v30, v30, 0xffffff82, vcc_lo
	v_add3_u32 v97, v45, v30, v38
	v_and_b32_e32 v30, 0xfffff, v96
	s_delay_alu instid0(VALU_DEP_1) | instskip(NEXT) | instid1(VALU_DEP_1)
	v_dual_add_nc_u32 v96, 6, v97 :: v_dual_add_nc_u32 v38, v30, v86
                                        ; implicit-def: $vgpr86_vgpr87
                                        ; implicit-def: $vgpr30
	v_cmpx_ne_u32_e32 0, v96
	s_xor_b32 s7, exec_lo, s7
; %bb.2333:                             ;   in Loop: Header=BB2_2121 Depth=2
	s_delay_alu instid0(VALU_DEP_2) | instskip(SKIP_2) | instid1(VALU_DEP_2)
	v_cmp_lt_u64_e32 vcc_lo, 0xffffff, v[38:39]
	v_add_nc_u32_e32 v30, 7, v97
	v_cndmask_b32_e64 v86, 0, 1, vcc_lo
	v_cndmask_b32_e32 v30, v96, v30, vcc_lo
	s_delay_alu instid0(VALU_DEP_2)
	v_lshrrev_b64 v[86:87], v86, v[38:39]
; %bb.2334:                             ;   in Loop: Header=BB2_2121 Depth=2
	s_and_not1_saveexec_b32 s7, s7
; %bb.2335:                             ;   in Loop: Header=BB2_2121 Depth=2
	v_mov_b64_e32 v[86:87], v[38:39]
	v_bfe_u32 v30, v38, 23, 1
; %bb.2336:                             ;   in Loop: Header=BB2_2121 Depth=2
	s_or_b32 exec_lo, exec_lo, s7
	s_delay_alu instid0(VALU_DEP_2) | instskip(NEXT) | instid1(VALU_DEP_2)
	v_lshrrev_b64 v[86:87], 20, v[86:87]
	v_cmp_gt_i32_e32 vcc_lo, 16, v30
	v_min_i32_e32 v38, 15, v30
	v_cmp_eq_u32_e64 s7, 0, v30
	s_delay_alu instid0(VALU_DEP_2) | instskip(SKIP_1) | instid1(VALU_DEP_2)
	v_dual_cndmask_b32 v87, 0, v87 :: v_dual_lshlrev_b32 v38, 3, v38
	v_cndmask_b32_e32 v86, 7, v86, vcc_lo
	v_and_b32_e32 v38, 0xf8, v38
	s_delay_alu instid0(VALU_DEP_2) | instskip(NEXT) | instid1(VALU_DEP_2)
	v_cmp_eq_u64_e32 vcc_lo, 0, v[86:87]
	v_and_or_b32 v30, v86, 7, v38
	s_and_b32 s7, s7, vcc_lo
	s_delay_alu instid0(VALU_DEP_1) | instid1(SALU_CYCLE_1)
	v_cndmask_b32_e64 v30, v30, 0, s7
	s_delay_alu instid0(VALU_DEP_1)
	v_or_b32_e32 v30, v30, v44
.LBB2_2337:                             ;   in Loop: Header=BB2_2121 Depth=2
	s_or_b32 exec_lo, exec_lo, s29
                                        ; implicit-def: $vgpr44
.LBB2_2338:                             ;   in Loop: Header=BB2_2121 Depth=2
	s_and_not1_saveexec_b32 s7, s28
; %bb.2339:                             ;   in Loop: Header=BB2_2121 Depth=2
	v_or_b32_e32 v30, 0x7e, v44
; %bb.2340:                             ;   in Loop: Header=BB2_2121 Depth=2
	s_or_b32 exec_lo, exec_lo, s7
                                        ; implicit-def: $vgpr87
.LBB2_2341:                             ;   in Loop: Header=BB2_2121 Depth=2
	s_and_not1_saveexec_b32 s7, s10
; %bb.2342:                             ;   in Loop: Header=BB2_2121 Depth=2
	v_or_b32_e32 v30, 0x7f, v87
; %bb.2343:                             ;   in Loop: Header=BB2_2121 Depth=2
	s_or_b32 exec_lo, exec_lo, s7
	v_mov_b32_e32 v38, 0
	s_mov_b32 s7, exec_lo
	v_cmpx_lt_u64_e64 s[12:13], v[14:15]
	s_cbranch_execz .LBB2_2351
; %bb.2344:                             ;   in Loop: Header=BB2_2121 Depth=2
	v_lshrrev_b32_e32 v14, 24, v15
	v_bfrev_b32_e32 v38, 1
	s_mov_b32 s10, exec_lo
	s_delay_alu instid0(VALU_DEP_2)
	v_cmpx_ne_u32_e32 0x80, v14
	s_cbranch_execz .LBB2_2350
; %bb.2345:                             ;   in Loop: Header=BB2_2121 Depth=2
	v_bfe_u32 v86, v15, 24, 7
	v_mov_b32_e32 v38, 0x7f800001
	s_mov_b32 s28, exec_lo
	s_delay_alu instid0(VALU_DEP_2)
	v_cmpx_ne_u32_e32 0x7f, v86
	s_cbranch_execz .LBB2_2349
; %bb.2346:                             ;   in Loop: Header=BB2_2121 Depth=2
	v_and_b32_e32 v38, 7, v14
	v_lshrrev_b32_e32 v15, 3, v86
	s_mov_b32 s29, exec_lo
	v_cmpx_gt_u32_e32 8, v86
; %bb.2347:                             ;   in Loop: Header=BB2_2121 Depth=2
	s_delay_alu instid0(VALU_DEP_3) | instskip(NEXT) | instid1(VALU_DEP_1)
	v_clz_i32_u32_e32 v15, v38
	v_min_u32_e32 v15, 32, v15
	s_delay_alu instid0(VALU_DEP_1) | instskip(NEXT) | instid1(VALU_DEP_1)
	v_subrev_nc_u32_e32 v86, 28, v15
	v_lshlrev_b64_e32 v[86:87], v86, v[38:39]
	s_delay_alu instid0(VALU_DEP_1)
	v_dual_sub_nc_u32 v15, 29, v15 :: v_dual_bitop2_b32 v38, 7, v86 bitop3:0x40
; %bb.2348:                             ;   in Loop: Header=BB2_2121 Depth=2
	s_or_b32 exec_lo, exec_lo, s29
	v_lshlrev_b32_e32 v14, 24, v14
	s_delay_alu instid0(VALU_DEP_2) | instskip(NEXT) | instid1(VALU_DEP_3)
	v_lshlrev_b32_e32 v38, 20, v38
	v_lshl_add_u32 v15, v15, 23, 0x3c000000
	s_delay_alu instid0(VALU_DEP_3) | instskip(NEXT) | instid1(VALU_DEP_1)
	v_and_b32_e32 v14, 0x80000000, v14
	v_or3_b32 v38, v38, v14, v15
.LBB2_2349:                             ;   in Loop: Header=BB2_2121 Depth=2
	s_or_b32 exec_lo, exec_lo, s28
.LBB2_2350:                             ;   in Loop: Header=BB2_2121 Depth=2
	s_delay_alu instid0(SALU_CYCLE_1)
	s_or_b32 exec_lo, exec_lo, s10
.LBB2_2351:                             ;   in Loop: Header=BB2_2121 Depth=2
	s_delay_alu instid0(SALU_CYCLE_1) | instskip(SKIP_3) | instid1(VALU_DEP_3)
	s_or_b32 exec_lo, exec_lo, s7
	v_lshrrev_b32_e32 v14, 24, v11
	v_bfe_u32 v15, v11, 24, 7
	v_cmp_gt_u64_e64 s10, s[14:15], v[10:11]
	v_cmp_eq_u32_e64 s7, 0x80, v14
	s_delay_alu instid0(VALU_DEP_3) | instskip(NEXT) | instid1(VALU_DEP_2)
	v_cmp_eq_u32_e32 vcc_lo, 0x7f, v15
	v_cndmask_b32_e64 v86, 0x7f800001, v103, s7
	s_or_b32 s7, s7, vcc_lo
	s_delay_alu instid0(VALU_DEP_1) | instskip(SKIP_1) | instid1(SALU_CYCLE_1)
	v_cndmask_b32_e64 v10, v86, 0, s10
	s_nor_b32 s10, s10, s7
	s_and_saveexec_b32 s7, s10
	s_cbranch_execz .LBB2_2353
; %bb.2352:                             ;   in Loop: Header=BB2_2121 Depth=2
	v_and_b32_e32 v86, 7, v14
	v_cmp_gt_u32_e32 vcc_lo, 8, v15
	s_delay_alu instid0(VALU_DEP_2) | instskip(NEXT) | instid1(VALU_DEP_1)
	v_clz_i32_u32_e32 v10, v86
	v_min_u32_e32 v87, 32, v10
	s_delay_alu instid0(VALU_DEP_1) | instskip(NEXT) | instid1(VALU_DEP_1)
	v_subrev_nc_u32_e32 v10, 28, v87
	v_lshlrev_b64_e32 v[10:11], v10, v[14:15]
	v_lshrrev_b32_e32 v11, 3, v15
	s_delay_alu instid0(VALU_DEP_2) | instskip(NEXT) | instid1(VALU_DEP_1)
	v_dual_sub_nc_u32 v87, 29, v87 :: v_dual_bitop2_b32 v10, 7, v10 bitop3:0x40
	v_dual_cndmask_b32 v11, v11, v87 :: v_dual_lshlrev_b32 v14, 24, v14
	s_delay_alu instid0(VALU_DEP_2) | instskip(NEXT) | instid1(VALU_DEP_2)
	v_cndmask_b32_e32 v10, v86, v10, vcc_lo
	v_and_b32_e32 v14, 0x80000000, v14
	s_delay_alu instid0(VALU_DEP_3) | instskip(NEXT) | instid1(VALU_DEP_3)
	v_lshl_add_u32 v11, v11, 23, 0x3c000000
	v_lshlrev_b32_e32 v10, 20, v10
	s_delay_alu instid0(VALU_DEP_1)
	v_or3_b32 v10, v10, v14, v11
.LBB2_2353:                             ;   in Loop: Header=BB2_2121 Depth=2
	s_or_b32 exec_lo, exec_lo, s7
	s_delay_alu instid0(VALU_DEP_1) | instskip(SKIP_1) | instid1(VALU_DEP_1)
	v_mul_f32_e32 v10, v38, v10
                                        ; implicit-def: $vgpr96
	s_mov_b32 s7, exec_lo
	v_and_b32_e32 v38, 0x7f800000, v10
	v_lshrrev_b32_e32 v11, 24, v10
	s_delay_alu instid0(VALU_DEP_2)
	v_cmpx_ne_u64_e32 0x7f800000, v[38:39]
	s_xor_b32 s10, exec_lo, s7
	s_cbranch_execz .LBB2_2367
; %bb.2354:                             ;   in Loop: Header=BB2_2121 Depth=2
	v_and_b32_e32 v38, 0x7fffffff, v10
	v_and_b32_e32 v86, 0x80, v11
                                        ; implicit-def: $vgpr96
	s_mov_b32 s7, exec_lo
	s_delay_alu instid0(VALU_DEP_2)
	v_cmpx_gt_u64_e32 0x43e00001, v[38:39]
	s_xor_b32 s28, exec_lo, s7
	s_cbranch_execz .LBB2_2364
; %bb.2355:                             ;   in Loop: Header=BB2_2121 Depth=2
	v_mov_b32_e32 v96, 0
	s_mov_b32 s29, exec_lo
	v_cmpx_ne_u32_e32 0, v10
	s_cbranch_execz .LBB2_2363
; %bb.2356:                             ;   in Loop: Header=BB2_2121 Depth=2
	v_bfe_u32 v87, v10, 23, 8
	v_and_b32_e32 v14, 0x7fffff, v10
	s_delay_alu instid0(VALU_DEP_2) | instskip(NEXT) | instid1(VALU_DEP_2)
	v_cmp_gt_u32_e32 vcc_lo, 0x7a, v87
	v_or_b32_e32 v15, 0x800000, v14
	v_sub_nc_u32_e32 v11, 0x79, v87
	s_delay_alu instid0(VALU_DEP_1) | instskip(SKIP_1) | instid1(VALU_DEP_2)
	v_cndmask_b32_e32 v11, 0, v11, vcc_lo
	v_cmp_eq_u32_e32 vcc_lo, 0, v87
	v_cndmask_b32_e64 v96, v11, 0x78, vcc_lo
	s_delay_alu instid0(VALU_DEP_1) | instskip(SKIP_1) | instid1(VALU_DEP_2)
	v_dual_cndmask_b32 v38, v15, v14, vcc_lo :: v_dual_add_nc_u32 v10, 20, v96
	v_add_nc_u32_e32 v97, 19, v96
	v_lshlrev_b64_e64 v[10:11], v10, -1
	s_delay_alu instid0(VALU_DEP_2) | instskip(NEXT) | instid1(VALU_DEP_2)
	v_lshlrev_b64_e64 v[14:15], v97, 1
	v_bfi_b32 v45, v11, 0, 0
	s_delay_alu instid0(VALU_DEP_3) | instskip(SKIP_1) | instid1(VALU_DEP_2)
	v_bfi_b32 v44, v10, 0, v38
	v_lshrrev_b64 v[10:11], v96, v[38:39]
	v_cmp_eq_u64_e64 s7, v[44:45], v[14:15]
	s_delay_alu instid0(VALU_DEP_2)
	v_mov_b64_e32 v[14:15], v[10:11]
	s_and_saveexec_b32 s40, s7
; %bb.2357:                             ;   in Loop: Header=BB2_2121 Depth=2
	v_bfe_u32 v38, v10, 20, 1
	s_delay_alu instid0(VALU_DEP_1) | instskip(NEXT) | instid1(VALU_DEP_1)
	v_add_nc_u64_e32 v[14:15], v[10:11], v[38:39]
	v_add_nc_u64_e32 v[14:15], -1, v[14:15]
; %bb.2358:                             ;   in Loop: Header=BB2_2121 Depth=2
	s_or_b32 exec_lo, exec_lo, s40
	v_add_nc_u32_e32 v11, 0xffffff81, v87
	v_lshrrev_b32_e32 v15, 23, v10
	s_mov_b32 s7, exec_lo
	s_delay_alu instid0(VALU_DEP_2) | instskip(NEXT) | instid1(VALU_DEP_1)
	v_cndmask_b32_e64 v11, v11, 0xffffff82, vcc_lo
	v_add3_u32 v15, v96, v11, v15
	v_and_b32_e32 v11, 0xfffff, v14
                                        ; implicit-def: $vgpr14
	s_delay_alu instid0(VALU_DEP_1) | instskip(NEXT) | instid1(VALU_DEP_1)
	v_dual_add_nc_u32 v87, 6, v15 :: v_dual_add_nc_u32 v38, v11, v10
                                        ; implicit-def: $vgpr10_vgpr11
	v_cmpx_ne_u32_e32 0, v87
	s_xor_b32 s7, exec_lo, s7
; %bb.2359:                             ;   in Loop: Header=BB2_2121 Depth=2
	s_delay_alu instid0(VALU_DEP_2) | instskip(SKIP_1) | instid1(VALU_DEP_1)
	v_cmp_lt_u64_e32 vcc_lo, 0xffffff, v[38:39]
	v_add_nc_u32_e32 v10, 7, v15
	v_cndmask_b32_e32 v14, v87, v10, vcc_lo
	v_cndmask_b32_e64 v10, 0, 1, vcc_lo
	s_delay_alu instid0(VALU_DEP_1)
	v_lshrrev_b64 v[10:11], v10, v[38:39]
; %bb.2360:                             ;   in Loop: Header=BB2_2121 Depth=2
	s_and_not1_saveexec_b32 s7, s7
; %bb.2361:                             ;   in Loop: Header=BB2_2121 Depth=2
	v_mov_b64_e32 v[10:11], v[38:39]
	v_bfe_u32 v14, v38, 23, 1
; %bb.2362:                             ;   in Loop: Header=BB2_2121 Depth=2
	s_or_b32 exec_lo, exec_lo, s7
	s_delay_alu instid0(VALU_DEP_2) | instskip(NEXT) | instid1(VALU_DEP_2)
	v_lshrrev_b64 v[10:11], 20, v[10:11]
	v_cmp_gt_i32_e32 vcc_lo, 16, v14
	v_min_i32_e32 v15, 15, v14
	v_cmp_eq_u32_e64 s7, 0, v14
	s_delay_alu instid0(VALU_DEP_4) | instskip(NEXT) | instid1(VALU_DEP_3)
	v_cndmask_b32_e32 v11, 0, v11, vcc_lo
	v_dual_cndmask_b32 v10, 7, v10 :: v_dual_lshlrev_b32 v15, 3, v15
	s_delay_alu instid0(VALU_DEP_1) | instskip(NEXT) | instid1(VALU_DEP_2)
	v_and_b32_e32 v15, 0xf8, v15
	v_cmp_eq_u64_e32 vcc_lo, 0, v[10:11]
	s_delay_alu instid0(VALU_DEP_2)
	v_and_or_b32 v10, v10, 7, v15
	s_and_b32 s7, s7, vcc_lo
	s_delay_alu instid0(VALU_DEP_1) | instid1(SALU_CYCLE_1)
	v_cndmask_b32_e64 v10, v10, 0, s7
	s_delay_alu instid0(VALU_DEP_1)
	v_or_b32_e32 v96, v10, v86
.LBB2_2363:                             ;   in Loop: Header=BB2_2121 Depth=2
	s_or_b32 exec_lo, exec_lo, s29
                                        ; implicit-def: $vgpr86
.LBB2_2364:                             ;   in Loop: Header=BB2_2121 Depth=2
	s_and_not1_saveexec_b32 s7, s28
; %bb.2365:                             ;   in Loop: Header=BB2_2121 Depth=2
	v_or_b32_e32 v96, 0x7e, v86
; %bb.2366:                             ;   in Loop: Header=BB2_2121 Depth=2
	s_or_b32 exec_lo, exec_lo, s7
                                        ; implicit-def: $vgpr11
.LBB2_2367:                             ;   in Loop: Header=BB2_2121 Depth=2
	s_and_not1_saveexec_b32 s7, s10
; %bb.2368:                             ;   in Loop: Header=BB2_2121 Depth=2
	v_or_b32_e32 v96, 0x7f, v11
; %bb.2369:                             ;   in Loop: Header=BB2_2121 Depth=2
	s_or_b32 exec_lo, exec_lo, s7
	v_and_b32_e32 v11, 0xff, v16
	v_mov_b32_e32 v10, 0
	s_mov_b32 s7, exec_lo
	s_delay_alu instid0(VALU_DEP_2)
	v_cmpx_ne_u16_e32 0, v11
	s_cbranch_execz .LBB2_2375
; %bb.2370:                             ;   in Loop: Header=BB2_2121 Depth=2
	v_bfrev_b32_e32 v10, 1
	s_mov_b32 s10, exec_lo
	v_cmpx_ne_u16_e32 0x80, v11
	s_cbranch_execz .LBB2_2374
; %bb.2371:                             ;   in Loop: Header=BB2_2121 Depth=2
	v_and_b32_e32 v11, 0x7f, v16
	v_mov_b32_e32 v10, 0x7f800001
	s_mov_b32 s28, exec_lo
	s_delay_alu instid0(VALU_DEP_2)
	v_cmpx_ne_u32_e32 0x7f, v11
	s_cbranch_execz .LBB2_2373
; %bb.2372:                             ;   in Loop: Header=BB2_2121 Depth=2
	v_dual_lshrrev_b32 v14, 3, v11 :: v_dual_bitop2_b32 v10, 7, v16 bitop3:0x40
	v_cmp_gt_u32_e32 vcc_lo, 8, v11
	s_delay_alu instid0(VALU_DEP_2) | instskip(NEXT) | instid1(VALU_DEP_1)
	v_clz_i32_u32_e32 v10, v10
	v_min_u32_e32 v10, 32, v10
	s_delay_alu instid0(VALU_DEP_1) | instskip(SKIP_1) | instid1(VALU_DEP_1)
	v_subrev_nc_u32_e32 v15, 28, v10
	v_sub_nc_u32_e32 v10, 29, v10
	v_dual_cndmask_b32 v14, v14, v10, vcc_lo :: v_dual_cndmask_b32 v10, 0, v15, vcc_lo
	s_delay_alu instid0(VALU_DEP_1) | instskip(NEXT) | instid1(VALU_DEP_2)
	v_lshl_add_u32 v14, v14, 23, 0x3c000000
	v_lshlrev_b64_e32 v[10:11], v10, v[16:17]
	v_lshlrev_b32_e32 v11, 24, v16
	s_delay_alu instid0(VALU_DEP_1) | instskip(NEXT) | instid1(VALU_DEP_3)
	v_and_b32_e32 v11, 0x80000000, v11
	v_lshlrev_b32_e32 v10, 20, v10
	s_delay_alu instid0(VALU_DEP_1) | instskip(NEXT) | instid1(VALU_DEP_1)
	v_and_b32_e32 v10, 0x700000, v10
	v_or3_b32 v10, v10, v11, v14
.LBB2_2373:                             ;   in Loop: Header=BB2_2121 Depth=2
	s_or_b32 exec_lo, exec_lo, s28
.LBB2_2374:                             ;   in Loop: Header=BB2_2121 Depth=2
	s_delay_alu instid0(SALU_CYCLE_1)
	s_or_b32 exec_lo, exec_lo, s10
.LBB2_2375:                             ;   in Loop: Header=BB2_2121 Depth=2
	s_delay_alu instid0(SALU_CYCLE_1) | instskip(SKIP_3) | instid1(VALU_DEP_1)
	s_or_b32 exec_lo, exec_lo, s7
	v_and_b32_e32 v14, 0xff, v12
	s_mov_b32 s7, 0
	s_mov_b32 s10, exec_lo
	v_cmpx_lt_i16_e32 0x7f, v14
	s_xor_b32 s10, exec_lo, s10
	s_cbranch_execz .LBB2_2410
; %bb.2376:                             ;   in Loop: Header=BB2_2121 Depth=2
	s_mov_b32 s7, -1
	s_mov_b32 s28, exec_lo
	v_cmpx_eq_u16_e32 0x80, v14
; %bb.2377:                             ;   in Loop: Header=BB2_2121 Depth=2
	s_xor_b32 s7, exec_lo, -1
; %bb.2378:                             ;   in Loop: Header=BB2_2121 Depth=2
	s_or_b32 exec_lo, exec_lo, s28
	s_delay_alu instid0(SALU_CYCLE_1)
	s_and_b32 s7, s7, exec_lo
                                        ; implicit-def: $vgpr14
	s_or_saveexec_b32 s10, s10
	v_bfrev_b32_e32 v11, 1
	s_xor_b32 exec_lo, exec_lo, s10
	s_cbranch_execnz .LBB2_2411
.LBB2_2379:                             ;   in Loop: Header=BB2_2121 Depth=2
	s_or_b32 exec_lo, exec_lo, s10
	s_and_saveexec_b32 s10, s7
	s_cbranch_execz .LBB2_2381
.LBB2_2380:                             ;   in Loop: Header=BB2_2121 Depth=2
	v_and_b32_e32 v38, 0x7f, v12
	v_bfe_u32 v14, v12, 3, 4
	s_delay_alu instid0(VALU_DEP_2) | instskip(SKIP_1) | instid1(VALU_DEP_1)
	v_cmp_gt_u32_e32 vcc_lo, 8, v38
	v_and_b32_e32 v11, 7, v12
	v_clz_i32_u32_e32 v11, v11
	s_delay_alu instid0(VALU_DEP_1) | instskip(NEXT) | instid1(VALU_DEP_1)
	v_min_u32_e32 v11, 32, v11
	v_subrev_nc_u32_e32 v15, 28, v11
	v_sub_nc_u32_e32 v11, 29, v11
	s_delay_alu instid0(VALU_DEP_1) | instskip(NEXT) | instid1(VALU_DEP_3)
	v_cndmask_b32_e32 v11, v14, v11, vcc_lo
	v_cndmask_b32_e32 v14, 0, v15, vcc_lo
	v_cmp_ne_u32_e32 vcc_lo, 0x7f, v38
	s_delay_alu instid0(VALU_DEP_2) | instskip(SKIP_1) | instid1(VALU_DEP_1)
	v_lshlrev_b64_e32 v[14:15], v14, v[12:13]
	v_lshlrev_b32_e32 v15, 24, v12
	v_and_b32_e32 v15, 0x80000000, v15
	s_delay_alu instid0(VALU_DEP_3) | instskip(SKIP_1) | instid1(VALU_DEP_2)
	v_lshlrev_b32_e32 v14, 20, v14
	v_lshl_add_u32 v11, v11, 23, 0x3c000000
	v_and_b32_e32 v14, 0x700000, v14
	s_delay_alu instid0(VALU_DEP_1) | instskip(NEXT) | instid1(VALU_DEP_1)
	v_or3_b32 v11, v14, v15, v11
	v_cndmask_b32_e32 v11, 0x7f800001, v11, vcc_lo
.LBB2_2381:                             ;   in Loop: Header=BB2_2121 Depth=2
	s_or_b32 exec_lo, exec_lo, s10
	s_delay_alu instid0(VALU_DEP_1) | instskip(SKIP_1) | instid1(VALU_DEP_1)
	v_mul_f32_e32 v10, v10, v11
                                        ; implicit-def: $vgpr97
	s_mov_b32 s7, exec_lo
	v_and_b32_e32 v38, 0x7f800000, v10
	v_lshrrev_b32_e32 v11, 24, v10
	s_delay_alu instid0(VALU_DEP_2)
	v_cmpx_ne_u64_e32 0x7f800000, v[38:39]
	s_xor_b32 s10, exec_lo, s7
	s_cbranch_execz .LBB2_2395
; %bb.2382:                             ;   in Loop: Header=BB2_2121 Depth=2
	v_and_b32_e32 v38, 0x7fffffff, v10
	v_and_b32_e32 v86, 0x80, v11
                                        ; implicit-def: $vgpr97
	s_mov_b32 s7, exec_lo
	s_delay_alu instid0(VALU_DEP_2)
	v_cmpx_gt_u64_e32 0x43e00001, v[38:39]
	s_xor_b32 s28, exec_lo, s7
	s_cbranch_execz .LBB2_2392
; %bb.2383:                             ;   in Loop: Header=BB2_2121 Depth=2
	v_mov_b32_e32 v97, 0
	s_mov_b32 s29, exec_lo
	v_cmpx_ne_u32_e32 0, v10
	s_cbranch_execz .LBB2_2391
; %bb.2384:                             ;   in Loop: Header=BB2_2121 Depth=2
	v_bfe_u32 v87, v10, 23, 8
	v_and_b32_e32 v14, 0x7fffff, v10
	s_delay_alu instid0(VALU_DEP_2) | instskip(NEXT) | instid1(VALU_DEP_2)
	v_cmp_gt_u32_e32 vcc_lo, 0x7a, v87
	v_or_b32_e32 v15, 0x800000, v14
	v_sub_nc_u32_e32 v11, 0x79, v87
	s_delay_alu instid0(VALU_DEP_1) | instskip(SKIP_1) | instid1(VALU_DEP_2)
	v_cndmask_b32_e32 v11, 0, v11, vcc_lo
	v_cmp_eq_u32_e32 vcc_lo, 0, v87
	v_cndmask_b32_e64 v97, v11, 0x78, vcc_lo
	s_delay_alu instid0(VALU_DEP_1) | instskip(SKIP_1) | instid1(VALU_DEP_2)
	v_dual_cndmask_b32 v38, v15, v14, vcc_lo :: v_dual_add_nc_u32 v10, 20, v97
	v_add_nc_u32_e32 v44, 19, v97
	v_lshlrev_b64_e64 v[10:11], v10, -1
	s_delay_alu instid0(VALU_DEP_2) | instskip(NEXT) | instid1(VALU_DEP_2)
	v_lshlrev_b64_e64 v[14:15], v44, 1
	v_bfi_b32 v45, v11, 0, 0
	s_delay_alu instid0(VALU_DEP_3) | instskip(SKIP_1) | instid1(VALU_DEP_2)
	v_bfi_b32 v44, v10, 0, v38
	v_lshrrev_b64 v[10:11], v97, v[38:39]
	v_cmp_eq_u64_e64 s7, v[44:45], v[14:15]
	s_delay_alu instid0(VALU_DEP_2)
	v_mov_b64_e32 v[14:15], v[10:11]
	s_and_saveexec_b32 s40, s7
; %bb.2385:                             ;   in Loop: Header=BB2_2121 Depth=2
	v_bfe_u32 v38, v10, 20, 1
	s_delay_alu instid0(VALU_DEP_1) | instskip(NEXT) | instid1(VALU_DEP_1)
	v_add_nc_u64_e32 v[14:15], v[10:11], v[38:39]
	v_add_nc_u64_e32 v[14:15], -1, v[14:15]
; %bb.2386:                             ;   in Loop: Header=BB2_2121 Depth=2
	s_or_b32 exec_lo, exec_lo, s40
	v_add_nc_u32_e32 v11, 0xffffff81, v87
	v_lshrrev_b32_e32 v15, 23, v10
	s_mov_b32 s7, exec_lo
	s_delay_alu instid0(VALU_DEP_2) | instskip(NEXT) | instid1(VALU_DEP_1)
	v_cndmask_b32_e64 v11, v11, 0xffffff82, vcc_lo
	v_add3_u32 v15, v97, v11, v15
	v_and_b32_e32 v11, 0xfffff, v14
                                        ; implicit-def: $vgpr14
	s_delay_alu instid0(VALU_DEP_1) | instskip(NEXT) | instid1(VALU_DEP_1)
	v_dual_add_nc_u32 v87, 6, v15 :: v_dual_add_nc_u32 v38, v11, v10
                                        ; implicit-def: $vgpr10_vgpr11
	v_cmpx_ne_u32_e32 0, v87
	s_xor_b32 s7, exec_lo, s7
; %bb.2387:                             ;   in Loop: Header=BB2_2121 Depth=2
	s_delay_alu instid0(VALU_DEP_2) | instskip(SKIP_1) | instid1(VALU_DEP_1)
	v_cmp_lt_u64_e32 vcc_lo, 0xffffff, v[38:39]
	v_add_nc_u32_e32 v10, 7, v15
	v_cndmask_b32_e32 v14, v87, v10, vcc_lo
	v_cndmask_b32_e64 v10, 0, 1, vcc_lo
	s_delay_alu instid0(VALU_DEP_1)
	v_lshrrev_b64 v[10:11], v10, v[38:39]
; %bb.2388:                             ;   in Loop: Header=BB2_2121 Depth=2
	s_and_not1_saveexec_b32 s7, s7
; %bb.2389:                             ;   in Loop: Header=BB2_2121 Depth=2
	v_mov_b64_e32 v[10:11], v[38:39]
	v_bfe_u32 v14, v38, 23, 1
; %bb.2390:                             ;   in Loop: Header=BB2_2121 Depth=2
	s_or_b32 exec_lo, exec_lo, s7
	s_delay_alu instid0(VALU_DEP_2) | instskip(NEXT) | instid1(VALU_DEP_2)
	v_lshrrev_b64 v[10:11], 20, v[10:11]
	v_cmp_gt_i32_e32 vcc_lo, 16, v14
	v_min_i32_e32 v15, 15, v14
	v_cmp_eq_u32_e64 s7, 0, v14
	s_delay_alu instid0(VALU_DEP_4) | instskip(NEXT) | instid1(VALU_DEP_3)
	v_cndmask_b32_e32 v11, 0, v11, vcc_lo
	v_dual_cndmask_b32 v10, 7, v10 :: v_dual_lshlrev_b32 v15, 3, v15
	s_delay_alu instid0(VALU_DEP_1) | instskip(NEXT) | instid1(VALU_DEP_2)
	v_and_b32_e32 v15, 0xf8, v15
	v_cmp_eq_u64_e32 vcc_lo, 0, v[10:11]
	s_delay_alu instid0(VALU_DEP_2)
	v_and_or_b32 v10, v10, 7, v15
	s_and_b32 s7, s7, vcc_lo
	s_delay_alu instid0(VALU_DEP_1) | instid1(SALU_CYCLE_1)
	v_cndmask_b32_e64 v10, v10, 0, s7
	s_delay_alu instid0(VALU_DEP_1)
	v_or_b32_e32 v97, v10, v86
.LBB2_2391:                             ;   in Loop: Header=BB2_2121 Depth=2
	s_or_b32 exec_lo, exec_lo, s29
                                        ; implicit-def: $vgpr86
.LBB2_2392:                             ;   in Loop: Header=BB2_2121 Depth=2
	s_and_not1_saveexec_b32 s7, s28
; %bb.2393:                             ;   in Loop: Header=BB2_2121 Depth=2
	v_or_b32_e32 v97, 0x7e, v86
; %bb.2394:                             ;   in Loop: Header=BB2_2121 Depth=2
	s_or_b32 exec_lo, exec_lo, s7
                                        ; implicit-def: $vgpr11
.LBB2_2395:                             ;   in Loop: Header=BB2_2121 Depth=2
	s_and_not1_saveexec_b32 s7, s10
; %bb.2396:                             ;   in Loop: Header=BB2_2121 Depth=2
	v_or_b32_e32 v97, 0x7f, v11
; %bb.2397:                             ;   in Loop: Header=BB2_2121 Depth=2
	s_or_b32 exec_lo, exec_lo, s7
	v_lshrrev_b16 v10, 8, v16
	v_mov_b32_e32 v11, 0
	s_mov_b32 s7, exec_lo
	s_delay_alu instid0(VALU_DEP_2)
	v_cmpx_ne_u16_e32 0, v10
	s_cbranch_execz .LBB2_2405
; %bb.2398:                             ;   in Loop: Header=BB2_2121 Depth=2
	v_bfrev_b32_e32 v11, 1
	s_mov_b32 s10, exec_lo
	v_cmpx_ne_u16_e32 0x80, v10
	s_cbranch_execz .LBB2_2404
; %bb.2399:                             ;   in Loop: Header=BB2_2121 Depth=2
	v_and_b32_e32 v10, 0xffff, v10
	v_mov_b32_e32 v11, 0x7f800001
	s_mov_b32 s28, exec_lo
	s_delay_alu instid0(VALU_DEP_2) | instskip(NEXT) | instid1(VALU_DEP_1)
	v_and_b32_e32 v14, 0x7f, v10
	v_cmpx_ne_u32_e32 0x7f, v14
	s_cbranch_execz .LBB2_2403
; %bb.2400:                             ;   in Loop: Header=BB2_2121 Depth=2
	v_and_b32_e32 v38, 7, v10
	v_lshrrev_b32_e32 v10, 3, v14
	s_mov_b32 s29, exec_lo
	v_cmpx_gt_u32_e32 8, v14
; %bb.2401:                             ;   in Loop: Header=BB2_2121 Depth=2
	s_delay_alu instid0(VALU_DEP_3) | instskip(NEXT) | instid1(VALU_DEP_1)
	v_clz_i32_u32_e32 v10, v38
	v_min_u32_e32 v10, 32, v10
	s_delay_alu instid0(VALU_DEP_1) | instskip(SKIP_1) | instid1(VALU_DEP_2)
	v_subrev_nc_u32_e32 v11, 28, v10
	v_sub_nc_u32_e32 v10, 29, v10
	v_lshlrev_b64_e32 v[14:15], v11, v[38:39]
	s_delay_alu instid0(VALU_DEP_1)
	v_and_b32_e32 v38, 7, v14
; %bb.2402:                             ;   in Loop: Header=BB2_2121 Depth=2
	s_or_b32 exec_lo, exec_lo, s29
	s_delay_alu instid0(VALU_DEP_1) | instskip(SKIP_1) | instid1(VALU_DEP_2)
	v_dual_lshlrev_b32 v11, 16, v16 :: v_dual_lshlrev_b32 v14, 20, v38
	v_lshl_add_u32 v10, v10, 23, 0x3c000000
	v_and_b32_e32 v11, 0x80000000, v11
	s_delay_alu instid0(VALU_DEP_1)
	v_or3_b32 v11, v14, v11, v10
.LBB2_2403:                             ;   in Loop: Header=BB2_2121 Depth=2
	s_or_b32 exec_lo, exec_lo, s28
.LBB2_2404:                             ;   in Loop: Header=BB2_2121 Depth=2
	s_delay_alu instid0(SALU_CYCLE_1)
	s_or_b32 exec_lo, exec_lo, s10
.LBB2_2405:                             ;   in Loop: Header=BB2_2121 Depth=2
	s_delay_alu instid0(SALU_CYCLE_1) | instskip(SKIP_3) | instid1(VALU_DEP_1)
	s_or_b32 exec_lo, exec_lo, s7
	v_lshrrev_b16 v14, 8, v12
	s_mov_b32 s10, 0
	s_mov_b32 s7, exec_lo
	v_cmpx_lt_i16_e32 0x7f, v14
	s_xor_b32 s7, exec_lo, s7
	s_cbranch_execz .LBB2_2412
; %bb.2406:                             ;   in Loop: Header=BB2_2121 Depth=2
	s_mov_b32 s10, -1
	s_mov_b32 s28, exec_lo
	v_cmpx_eq_u16_e32 0x80, v14
; %bb.2407:                             ;   in Loop: Header=BB2_2121 Depth=2
	s_xor_b32 s10, exec_lo, -1
; %bb.2408:                             ;   in Loop: Header=BB2_2121 Depth=2
	s_or_b32 exec_lo, exec_lo, s28
	s_delay_alu instid0(SALU_CYCLE_1)
	s_and_b32 s10, s10, exec_lo
	s_or_saveexec_b32 s7, s7
	v_bfrev_b32_e32 v15, 1
	s_xor_b32 exec_lo, exec_lo, s7
	s_cbranch_execnz .LBB2_2413
.LBB2_2409:                             ;   in Loop: Header=BB2_2121 Depth=2
	s_or_b32 exec_lo, exec_lo, s7
	s_and_saveexec_b32 s7, s10
	s_cbranch_execnz .LBB2_2414
	s_branch .LBB2_2417
.LBB2_2410:                             ;   in Loop: Header=BB2_2121 Depth=2
	s_or_saveexec_b32 s10, s10
	v_bfrev_b32_e32 v11, 1
	s_xor_b32 exec_lo, exec_lo, s10
	s_cbranch_execz .LBB2_2379
.LBB2_2411:                             ;   in Loop: Header=BB2_2121 Depth=2
	v_cmp_ne_u16_e32 vcc_lo, 0, v14
	v_mov_b32_e32 v11, 0
	s_and_not1_b32 s7, s7, exec_lo
	s_and_b32 s28, vcc_lo, exec_lo
	s_delay_alu instid0(SALU_CYCLE_1)
	s_or_b32 s7, s7, s28
	s_or_b32 exec_lo, exec_lo, s10
	s_and_saveexec_b32 s10, s7
	s_cbranch_execnz .LBB2_2380
	s_branch .LBB2_2381
.LBB2_2412:                             ;   in Loop: Header=BB2_2121 Depth=2
	s_or_saveexec_b32 s7, s7
	v_bfrev_b32_e32 v15, 1
	s_xor_b32 exec_lo, exec_lo, s7
	s_cbranch_execz .LBB2_2409
.LBB2_2413:                             ;   in Loop: Header=BB2_2121 Depth=2
	v_cmp_ne_u16_e32 vcc_lo, 0, v14
	v_mov_b32_e32 v15, 0
	s_and_not1_b32 s10, s10, exec_lo
	s_and_b32 s28, vcc_lo, exec_lo
	s_delay_alu instid0(SALU_CYCLE_1)
	s_or_b32 s10, s10, s28
	s_or_b32 exec_lo, exec_lo, s7
	s_and_saveexec_b32 s7, s10
	s_cbranch_execz .LBB2_2417
.LBB2_2414:                             ;   in Loop: Header=BB2_2121 Depth=2
	v_and_b32_e32 v10, 0xffff, v14
	v_mov_b32_e32 v15, 0x7f800001
	s_mov_b32 s10, exec_lo
	s_delay_alu instid0(VALU_DEP_2) | instskip(NEXT) | instid1(VALU_DEP_1)
	v_and_b32_e32 v38, 0x7f, v10
	v_cmpx_ne_u32_e32 0x7f, v38
	s_cbranch_execz .LBB2_2416
; %bb.2415:                             ;   in Loop: Header=BB2_2121 Depth=2
	v_and_b32_e32 v15, 7, v10
	v_cmp_gt_u32_e32 vcc_lo, 8, v38
	s_delay_alu instid0(VALU_DEP_2) | instskip(NEXT) | instid1(VALU_DEP_1)
	v_clz_i32_u32_e32 v86, v15
	v_min_u32_e32 v44, 32, v86
	s_delay_alu instid0(VALU_DEP_1) | instskip(NEXT) | instid1(VALU_DEP_1)
	v_subrev_nc_u32_e32 v86, 28, v44
	v_lshlrev_b64_e32 v[86:87], v86, v[10:11]
	v_dual_sub_nc_u32 v87, 29, v44 :: v_dual_lshrrev_b32 v10, 3, v38
	s_delay_alu instid0(VALU_DEP_2) | instskip(NEXT) | instid1(VALU_DEP_1)
	v_and_b32_e32 v38, 7, v86
	v_cndmask_b32_e32 v15, v15, v38, vcc_lo
	s_delay_alu instid0(VALU_DEP_3) | instskip(NEXT) | instid1(VALU_DEP_2)
	v_dual_lshlrev_b32 v14, 24, v14 :: v_dual_cndmask_b32 v10, v10, v87, vcc_lo
	v_lshlrev_b32_e32 v15, 20, v15
	s_delay_alu instid0(VALU_DEP_2) | instskip(NEXT) | instid1(VALU_DEP_3)
	v_and_b32_e32 v14, 0x80000000, v14
	v_lshl_add_u32 v10, v10, 23, 0x3c000000
	s_delay_alu instid0(VALU_DEP_1)
	v_or3_b32 v15, v15, v14, v10
.LBB2_2416:                             ;   in Loop: Header=BB2_2121 Depth=2
	s_or_b32 exec_lo, exec_lo, s10
.LBB2_2417:                             ;   in Loop: Header=BB2_2121 Depth=2
	s_delay_alu instid0(SALU_CYCLE_1) | instskip(NEXT) | instid1(VALU_DEP_1)
	s_or_b32 exec_lo, exec_lo, s7
	v_mul_f32_e32 v10, v11, v15
                                        ; implicit-def: $vgpr44
	s_mov_b32 s7, exec_lo
	s_delay_alu instid0(VALU_DEP_1) | instskip(SKIP_1) | instid1(VALU_DEP_2)
	v_and_b32_e32 v38, 0x7f800000, v10
	v_lshrrev_b32_e32 v11, 24, v10
	v_cmpx_ne_u64_e32 0x7f800000, v[38:39]
	s_xor_b32 s10, exec_lo, s7
	s_cbranch_execz .LBB2_2431
; %bb.2418:                             ;   in Loop: Header=BB2_2121 Depth=2
	v_and_b32_e32 v38, 0x7fffffff, v10
	v_and_b32_e32 v86, 0x80, v11
                                        ; implicit-def: $vgpr44
	s_mov_b32 s7, exec_lo
	s_delay_alu instid0(VALU_DEP_2)
	v_cmpx_gt_u64_e32 0x43e00001, v[38:39]
	s_xor_b32 s28, exec_lo, s7
	s_cbranch_execz .LBB2_2428
; %bb.2419:                             ;   in Loop: Header=BB2_2121 Depth=2
	v_mov_b32_e32 v44, 0
	s_mov_b32 s29, exec_lo
	v_cmpx_ne_u32_e32 0, v10
	s_cbranch_execz .LBB2_2427
; %bb.2420:                             ;   in Loop: Header=BB2_2121 Depth=2
	v_bfe_u32 v87, v10, 23, 8
	v_and_b32_e32 v14, 0x7fffff, v10
	s_delay_alu instid0(VALU_DEP_2) | instskip(NEXT) | instid1(VALU_DEP_2)
	v_cmp_gt_u32_e32 vcc_lo, 0x7a, v87
	v_or_b32_e32 v15, 0x800000, v14
	v_sub_nc_u32_e32 v11, 0x79, v87
	s_delay_alu instid0(VALU_DEP_1) | instskip(SKIP_1) | instid1(VALU_DEP_2)
	v_cndmask_b32_e32 v11, 0, v11, vcc_lo
	v_cmp_eq_u32_e32 vcc_lo, 0, v87
	v_cndmask_b32_e64 v44, v11, 0x78, vcc_lo
	s_delay_alu instid0(VALU_DEP_1) | instskip(SKIP_1) | instid1(VALU_DEP_2)
	v_dual_cndmask_b32 v38, v15, v14, vcc_lo :: v_dual_add_nc_u32 v10, 20, v44
	v_add_nc_u32_e32 v45, 19, v44
	v_lshlrev_b64_e64 v[10:11], v10, -1
	s_delay_alu instid0(VALU_DEP_2) | instskip(NEXT) | instid1(VALU_DEP_2)
	v_lshlrev_b64_e64 v[14:15], v45, 1
	v_bfi_b32 v47, v11, 0, 0
	s_delay_alu instid0(VALU_DEP_3) | instskip(SKIP_1) | instid1(VALU_DEP_2)
	v_bfi_b32 v46, v10, 0, v38
	v_lshrrev_b64 v[10:11], v44, v[38:39]
	v_cmp_eq_u64_e64 s7, v[46:47], v[14:15]
	s_delay_alu instid0(VALU_DEP_2)
	v_mov_b64_e32 v[14:15], v[10:11]
	s_and_saveexec_b32 s40, s7
; %bb.2421:                             ;   in Loop: Header=BB2_2121 Depth=2
	v_bfe_u32 v38, v10, 20, 1
	s_delay_alu instid0(VALU_DEP_1) | instskip(NEXT) | instid1(VALU_DEP_1)
	v_add_nc_u64_e32 v[14:15], v[10:11], v[38:39]
	v_add_nc_u64_e32 v[14:15], -1, v[14:15]
; %bb.2422:                             ;   in Loop: Header=BB2_2121 Depth=2
	s_or_b32 exec_lo, exec_lo, s40
	v_add_nc_u32_e32 v11, 0xffffff81, v87
	v_lshrrev_b32_e32 v15, 23, v10
	s_mov_b32 s7, exec_lo
	s_delay_alu instid0(VALU_DEP_2) | instskip(NEXT) | instid1(VALU_DEP_1)
	v_cndmask_b32_e64 v11, v11, 0xffffff82, vcc_lo
	v_add3_u32 v15, v44, v11, v15
	v_and_b32_e32 v11, 0xfffff, v14
                                        ; implicit-def: $vgpr14
	s_delay_alu instid0(VALU_DEP_1) | instskip(NEXT) | instid1(VALU_DEP_1)
	v_dual_add_nc_u32 v87, 6, v15 :: v_dual_add_nc_u32 v38, v11, v10
                                        ; implicit-def: $vgpr10_vgpr11
	v_cmpx_ne_u32_e32 0, v87
	s_xor_b32 s7, exec_lo, s7
; %bb.2423:                             ;   in Loop: Header=BB2_2121 Depth=2
	s_delay_alu instid0(VALU_DEP_2) | instskip(SKIP_1) | instid1(VALU_DEP_1)
	v_cmp_lt_u64_e32 vcc_lo, 0xffffff, v[38:39]
	v_add_nc_u32_e32 v10, 7, v15
	v_cndmask_b32_e32 v14, v87, v10, vcc_lo
	v_cndmask_b32_e64 v10, 0, 1, vcc_lo
	s_delay_alu instid0(VALU_DEP_1)
	v_lshrrev_b64 v[10:11], v10, v[38:39]
; %bb.2424:                             ;   in Loop: Header=BB2_2121 Depth=2
	s_and_not1_saveexec_b32 s7, s7
; %bb.2425:                             ;   in Loop: Header=BB2_2121 Depth=2
	v_mov_b64_e32 v[10:11], v[38:39]
	v_bfe_u32 v14, v38, 23, 1
; %bb.2426:                             ;   in Loop: Header=BB2_2121 Depth=2
	s_or_b32 exec_lo, exec_lo, s7
	s_delay_alu instid0(VALU_DEP_2) | instskip(NEXT) | instid1(VALU_DEP_2)
	v_lshrrev_b64 v[10:11], 20, v[10:11]
	v_cmp_gt_i32_e32 vcc_lo, 16, v14
	v_min_i32_e32 v15, 15, v14
	v_cmp_eq_u32_e64 s7, 0, v14
	s_delay_alu instid0(VALU_DEP_4) | instskip(NEXT) | instid1(VALU_DEP_3)
	v_cndmask_b32_e32 v11, 0, v11, vcc_lo
	v_dual_cndmask_b32 v10, 7, v10 :: v_dual_lshlrev_b32 v15, 3, v15
	s_delay_alu instid0(VALU_DEP_1) | instskip(NEXT) | instid1(VALU_DEP_2)
	v_and_b32_e32 v15, 0xf8, v15
	v_cmp_eq_u64_e32 vcc_lo, 0, v[10:11]
	s_delay_alu instid0(VALU_DEP_2)
	v_and_or_b32 v10, v10, 7, v15
	s_and_b32 s7, s7, vcc_lo
	s_delay_alu instid0(VALU_DEP_1) | instid1(SALU_CYCLE_1)
	v_cndmask_b32_e64 v10, v10, 0, s7
	s_delay_alu instid0(VALU_DEP_1)
	v_or_b32_e32 v44, v10, v86
.LBB2_2427:                             ;   in Loop: Header=BB2_2121 Depth=2
	s_or_b32 exec_lo, exec_lo, s29
                                        ; implicit-def: $vgpr86
.LBB2_2428:                             ;   in Loop: Header=BB2_2121 Depth=2
	s_and_not1_saveexec_b32 s7, s28
; %bb.2429:                             ;   in Loop: Header=BB2_2121 Depth=2
	v_or_b32_e32 v44, 0x7e, v86
; %bb.2430:                             ;   in Loop: Header=BB2_2121 Depth=2
	s_or_b32 exec_lo, exec_lo, s7
                                        ; implicit-def: $vgpr11
.LBB2_2431:                             ;   in Loop: Header=BB2_2121 Depth=2
	s_and_not1_saveexec_b32 s7, s10
; %bb.2432:                             ;   in Loop: Header=BB2_2121 Depth=2
	v_or_b32_e32 v44, 0x7f, v11
; %bb.2433:                             ;   in Loop: Header=BB2_2121 Depth=2
	s_or_b32 exec_lo, exec_lo, s7
	v_dual_mov_b32 v11, 0 :: v_dual_lshrrev_b32 v10, 16, v16
	s_mov_b32 s7, exec_lo
	s_delay_alu instid0(VALU_DEP_1) | instskip(NEXT) | instid1(VALU_DEP_1)
	v_and_b32_e32 v14, 0xff, v10
	v_cmpx_ne_u16_e32 0, v14
	s_cbranch_execz .LBB2_2441
; %bb.2434:                             ;   in Loop: Header=BB2_2121 Depth=2
	v_bfrev_b32_e32 v11, 1
	s_mov_b32 s10, exec_lo
	v_cmpx_ne_u16_e32 0x80, v14
	s_cbranch_execz .LBB2_2440
; %bb.2435:                             ;   in Loop: Header=BB2_2121 Depth=2
	v_bfe_u32 v14, v16, 16, 7
	v_mov_b32_e32 v11, 0x7f800001
	s_mov_b32 s28, exec_lo
	s_delay_alu instid0(VALU_DEP_2)
	v_cmpx_ne_u32_e32 0x7f, v14
	s_cbranch_execz .LBB2_2439
; %bb.2436:                             ;   in Loop: Header=BB2_2121 Depth=2
	v_and_b32_e32 v38, 7, v10
	v_lshrrev_b32_e32 v11, 3, v14
	s_mov_b32 s29, exec_lo
	v_cmpx_gt_u32_e32 8, v14
; %bb.2437:                             ;   in Loop: Header=BB2_2121 Depth=2
	s_delay_alu instid0(VALU_DEP_3) | instskip(NEXT) | instid1(VALU_DEP_1)
	v_clz_i32_u32_e32 v11, v38
	v_min_u32_e32 v11, 32, v11
	s_delay_alu instid0(VALU_DEP_1) | instskip(NEXT) | instid1(VALU_DEP_1)
	v_subrev_nc_u32_e32 v14, 28, v11
	v_lshlrev_b64_e32 v[14:15], v14, v[38:39]
	s_delay_alu instid0(VALU_DEP_1)
	v_dual_sub_nc_u32 v11, 29, v11 :: v_dual_bitop2_b32 v38, 7, v14 bitop3:0x40
; %bb.2438:                             ;   in Loop: Header=BB2_2121 Depth=2
	s_or_b32 exec_lo, exec_lo, s29
	v_lshlrev_b32_e32 v10, 24, v10
	s_delay_alu instid0(VALU_DEP_2) | instskip(NEXT) | instid1(VALU_DEP_3)
	v_lshlrev_b32_e32 v14, 20, v38
	v_lshl_add_u32 v11, v11, 23, 0x3c000000
	s_delay_alu instid0(VALU_DEP_3) | instskip(NEXT) | instid1(VALU_DEP_1)
	v_and_b32_e32 v10, 0x80000000, v10
	v_or3_b32 v11, v14, v10, v11
.LBB2_2439:                             ;   in Loop: Header=BB2_2121 Depth=2
	s_or_b32 exec_lo, exec_lo, s28
.LBB2_2440:                             ;   in Loop: Header=BB2_2121 Depth=2
	s_delay_alu instid0(SALU_CYCLE_1)
	s_or_b32 exec_lo, exec_lo, s10
.LBB2_2441:                             ;   in Loop: Header=BB2_2121 Depth=2
	s_delay_alu instid0(SALU_CYCLE_1) | instskip(SKIP_3) | instid1(VALU_DEP_1)
	s_or_b32 exec_lo, exec_lo, s7
	v_lshrrev_b32_e32 v10, 16, v12
	s_mov_b32 s10, 0
	s_mov_b32 s7, exec_lo
	v_and_b32_e32 v15, 0xff, v10
	s_delay_alu instid0(VALU_DEP_1)
	v_cmpx_lt_i16_e32 0x7f, v15
	s_xor_b32 s7, exec_lo, s7
	s_cbranch_execz .LBB2_2446
; %bb.2442:                             ;   in Loop: Header=BB2_2121 Depth=2
	s_mov_b32 s10, -1
	s_mov_b32 s28, exec_lo
	v_cmpx_eq_u16_e32 0x80, v15
; %bb.2443:                             ;   in Loop: Header=BB2_2121 Depth=2
	s_xor_b32 s10, exec_lo, -1
; %bb.2444:                             ;   in Loop: Header=BB2_2121 Depth=2
	s_or_b32 exec_lo, exec_lo, s28
	s_delay_alu instid0(SALU_CYCLE_1)
	s_and_b32 s10, s10, exec_lo
                                        ; implicit-def: $vgpr15
	s_or_saveexec_b32 s7, s7
	v_bfrev_b32_e32 v14, 1
	s_xor_b32 exec_lo, exec_lo, s7
	s_cbranch_execnz .LBB2_2447
.LBB2_2445:                             ;   in Loop: Header=BB2_2121 Depth=2
	s_or_b32 exec_lo, exec_lo, s7
	s_and_saveexec_b32 s7, s10
	s_cbranch_execnz .LBB2_2448
	s_branch .LBB2_2451
.LBB2_2446:                             ;   in Loop: Header=BB2_2121 Depth=2
	s_or_saveexec_b32 s7, s7
	v_bfrev_b32_e32 v14, 1
	s_xor_b32 exec_lo, exec_lo, s7
	s_cbranch_execz .LBB2_2445
.LBB2_2447:                             ;   in Loop: Header=BB2_2121 Depth=2
	v_cmp_ne_u16_e32 vcc_lo, 0, v15
	v_mov_b32_e32 v14, 0
	s_and_not1_b32 s10, s10, exec_lo
	s_and_b32 s28, vcc_lo, exec_lo
	s_delay_alu instid0(SALU_CYCLE_1)
	s_or_b32 s10, s10, s28
	s_or_b32 exec_lo, exec_lo, s7
	s_and_saveexec_b32 s7, s10
	s_cbranch_execz .LBB2_2451
.LBB2_2448:                             ;   in Loop: Header=BB2_2121 Depth=2
	v_and_b32_e32 v15, 0x7f, v10
	v_mov_b32_e32 v14, 0x7f800001
	s_mov_b32 s10, exec_lo
	s_delay_alu instid0(VALU_DEP_2)
	v_cmpx_ne_u32_e32 0x7f, v15
	s_cbranch_execz .LBB2_2450
; %bb.2449:                             ;   in Loop: Header=BB2_2121 Depth=2
	v_and_b32_e32 v14, 7, v10
	v_cmp_gt_u32_e32 vcc_lo, 8, v15
	s_delay_alu instid0(VALU_DEP_2) | instskip(NEXT) | instid1(VALU_DEP_1)
	v_clz_i32_u32_e32 v38, v14
	v_min_u32_e32 v38, 32, v38
	s_delay_alu instid0(VALU_DEP_1) | instskip(NEXT) | instid1(VALU_DEP_1)
	v_subrev_nc_u32_e32 v86, 28, v38
	v_lshlrev_b64_e32 v[86:87], v86, v[10:11]
	v_dual_lshrrev_b32 v87, 3, v15 :: v_dual_lshlrev_b32 v10, 24, v10
	s_delay_alu instid0(VALU_DEP_1) | instskip(NEXT) | instid1(VALU_DEP_3)
	v_and_b32_e32 v10, 0x80000000, v10
	v_and_b32_e32 v15, 7, v86
	s_delay_alu instid0(VALU_DEP_1) | instskip(NEXT) | instid1(VALU_DEP_1)
	v_dual_sub_nc_u32 v38, 29, v38 :: v_dual_cndmask_b32 v14, v14, v15, vcc_lo
	v_cndmask_b32_e32 v38, v87, v38, vcc_lo
	s_delay_alu instid0(VALU_DEP_2) | instskip(NEXT) | instid1(VALU_DEP_2)
	v_lshlrev_b32_e32 v14, 20, v14
	v_lshl_add_u32 v15, v38, 23, 0x3c000000
	s_delay_alu instid0(VALU_DEP_1)
	v_or3_b32 v14, v14, v10, v15
.LBB2_2450:                             ;   in Loop: Header=BB2_2121 Depth=2
	s_or_b32 exec_lo, exec_lo, s10
.LBB2_2451:                             ;   in Loop: Header=BB2_2121 Depth=2
	s_delay_alu instid0(SALU_CYCLE_1) | instskip(NEXT) | instid1(VALU_DEP_1)
	s_or_b32 exec_lo, exec_lo, s7
	v_mul_f32_e32 v10, v11, v14
                                        ; implicit-def: $vgpr45
	s_mov_b32 s7, exec_lo
	s_delay_alu instid0(VALU_DEP_1) | instskip(SKIP_1) | instid1(VALU_DEP_2)
	v_and_b32_e32 v38, 0x7f800000, v10
	v_lshrrev_b32_e32 v11, 24, v10
	v_cmpx_ne_u64_e32 0x7f800000, v[38:39]
	s_xor_b32 s10, exec_lo, s7
	s_cbranch_execz .LBB2_2465
; %bb.2452:                             ;   in Loop: Header=BB2_2121 Depth=2
	v_and_b32_e32 v38, 0x7fffffff, v10
	v_and_b32_e32 v86, 0x80, v11
                                        ; implicit-def: $vgpr45
	s_mov_b32 s7, exec_lo
	s_delay_alu instid0(VALU_DEP_2)
	v_cmpx_gt_u64_e32 0x43e00001, v[38:39]
	s_xor_b32 s28, exec_lo, s7
	s_cbranch_execz .LBB2_2462
; %bb.2453:                             ;   in Loop: Header=BB2_2121 Depth=2
	v_mov_b32_e32 v45, 0
	s_mov_b32 s29, exec_lo
	v_cmpx_ne_u32_e32 0, v10
	s_cbranch_execz .LBB2_2461
; %bb.2454:                             ;   in Loop: Header=BB2_2121 Depth=2
	v_bfe_u32 v87, v10, 23, 8
	v_and_b32_e32 v14, 0x7fffff, v10
	s_delay_alu instid0(VALU_DEP_2) | instskip(NEXT) | instid1(VALU_DEP_2)
	v_cmp_gt_u32_e32 vcc_lo, 0x7a, v87
	v_or_b32_e32 v15, 0x800000, v14
	v_sub_nc_u32_e32 v11, 0x79, v87
	s_delay_alu instid0(VALU_DEP_1) | instskip(SKIP_1) | instid1(VALU_DEP_2)
	v_cndmask_b32_e32 v11, 0, v11, vcc_lo
	v_cmp_eq_u32_e32 vcc_lo, 0, v87
	v_cndmask_b32_e64 v45, v11, 0x78, vcc_lo
	s_delay_alu instid0(VALU_DEP_1) | instskip(SKIP_1) | instid1(VALU_DEP_2)
	v_dual_cndmask_b32 v38, v15, v14, vcc_lo :: v_dual_add_nc_u32 v10, 20, v45
	v_add_nc_u32_e32 v46, 19, v45
	v_lshlrev_b64_e64 v[10:11], v10, -1
	s_delay_alu instid0(VALU_DEP_2) | instskip(NEXT) | instid1(VALU_DEP_2)
	v_lshlrev_b64_e64 v[14:15], v46, 1
	v_bfi_b32 v47, v11, 0, 0
	s_delay_alu instid0(VALU_DEP_3) | instskip(SKIP_1) | instid1(VALU_DEP_2)
	v_bfi_b32 v46, v10, 0, v38
	v_lshrrev_b64 v[10:11], v45, v[38:39]
	v_cmp_eq_u64_e64 s7, v[46:47], v[14:15]
	s_delay_alu instid0(VALU_DEP_2)
	v_mov_b64_e32 v[14:15], v[10:11]
	s_and_saveexec_b32 s40, s7
; %bb.2455:                             ;   in Loop: Header=BB2_2121 Depth=2
	v_bfe_u32 v38, v10, 20, 1
	s_delay_alu instid0(VALU_DEP_1) | instskip(NEXT) | instid1(VALU_DEP_1)
	v_add_nc_u64_e32 v[14:15], v[10:11], v[38:39]
	v_add_nc_u64_e32 v[14:15], -1, v[14:15]
; %bb.2456:                             ;   in Loop: Header=BB2_2121 Depth=2
	s_or_b32 exec_lo, exec_lo, s40
	v_add_nc_u32_e32 v11, 0xffffff81, v87
	v_lshrrev_b32_e32 v15, 23, v10
	s_mov_b32 s7, exec_lo
	s_delay_alu instid0(VALU_DEP_2) | instskip(NEXT) | instid1(VALU_DEP_1)
	v_cndmask_b32_e64 v11, v11, 0xffffff82, vcc_lo
	v_add3_u32 v15, v45, v11, v15
	v_and_b32_e32 v11, 0xfffff, v14
                                        ; implicit-def: $vgpr14
	s_delay_alu instid0(VALU_DEP_1) | instskip(NEXT) | instid1(VALU_DEP_1)
	v_dual_add_nc_u32 v87, 6, v15 :: v_dual_add_nc_u32 v38, v11, v10
                                        ; implicit-def: $vgpr10_vgpr11
	v_cmpx_ne_u32_e32 0, v87
	s_xor_b32 s7, exec_lo, s7
; %bb.2457:                             ;   in Loop: Header=BB2_2121 Depth=2
	s_delay_alu instid0(VALU_DEP_2) | instskip(SKIP_1) | instid1(VALU_DEP_1)
	v_cmp_lt_u64_e32 vcc_lo, 0xffffff, v[38:39]
	v_add_nc_u32_e32 v10, 7, v15
	v_cndmask_b32_e32 v14, v87, v10, vcc_lo
	v_cndmask_b32_e64 v10, 0, 1, vcc_lo
	s_delay_alu instid0(VALU_DEP_1)
	v_lshrrev_b64 v[10:11], v10, v[38:39]
; %bb.2458:                             ;   in Loop: Header=BB2_2121 Depth=2
	s_and_not1_saveexec_b32 s7, s7
; %bb.2459:                             ;   in Loop: Header=BB2_2121 Depth=2
	v_mov_b64_e32 v[10:11], v[38:39]
	v_bfe_u32 v14, v38, 23, 1
; %bb.2460:                             ;   in Loop: Header=BB2_2121 Depth=2
	s_or_b32 exec_lo, exec_lo, s7
	s_delay_alu instid0(VALU_DEP_2) | instskip(NEXT) | instid1(VALU_DEP_2)
	v_lshrrev_b64 v[10:11], 20, v[10:11]
	v_cmp_gt_i32_e32 vcc_lo, 16, v14
	v_min_i32_e32 v15, 15, v14
	v_cmp_eq_u32_e64 s7, 0, v14
	s_delay_alu instid0(VALU_DEP_4) | instskip(NEXT) | instid1(VALU_DEP_3)
	v_cndmask_b32_e32 v11, 0, v11, vcc_lo
	v_dual_cndmask_b32 v10, 7, v10 :: v_dual_lshlrev_b32 v15, 3, v15
	s_delay_alu instid0(VALU_DEP_1) | instskip(NEXT) | instid1(VALU_DEP_2)
	v_and_b32_e32 v15, 0xf8, v15
	v_cmp_eq_u64_e32 vcc_lo, 0, v[10:11]
	s_delay_alu instid0(VALU_DEP_2)
	v_and_or_b32 v10, v10, 7, v15
	s_and_b32 s7, s7, vcc_lo
	s_delay_alu instid0(VALU_DEP_1) | instid1(SALU_CYCLE_1)
	v_cndmask_b32_e64 v10, v10, 0, s7
	s_delay_alu instid0(VALU_DEP_1)
	v_or_b32_e32 v45, v10, v86
.LBB2_2461:                             ;   in Loop: Header=BB2_2121 Depth=2
	s_or_b32 exec_lo, exec_lo, s29
                                        ; implicit-def: $vgpr86
.LBB2_2462:                             ;   in Loop: Header=BB2_2121 Depth=2
	s_and_not1_saveexec_b32 s7, s28
; %bb.2463:                             ;   in Loop: Header=BB2_2121 Depth=2
	v_or_b32_e32 v45, 0x7e, v86
; %bb.2464:                             ;   in Loop: Header=BB2_2121 Depth=2
	s_or_b32 exec_lo, exec_lo, s7
                                        ; implicit-def: $vgpr11
.LBB2_2465:                             ;   in Loop: Header=BB2_2121 Depth=2
	s_and_not1_saveexec_b32 s7, s10
; %bb.2466:                             ;   in Loop: Header=BB2_2121 Depth=2
	v_or_b32_e32 v45, 0x7f, v11
; %bb.2467:                             ;   in Loop: Header=BB2_2121 Depth=2
	s_or_b32 exec_lo, exec_lo, s7
	v_mov_b32_e32 v11, 0
	s_mov_b32 s7, exec_lo
	v_cmpx_lt_u32_e32 0xffffff, v16
	s_cbranch_execz .LBB2_2475
; %bb.2468:                             ;   in Loop: Header=BB2_2121 Depth=2
	v_lshrrev_b32_e32 v10, 24, v16
	v_bfrev_b32_e32 v11, 1
	s_mov_b32 s10, exec_lo
	s_delay_alu instid0(VALU_DEP_2)
	v_cmpx_ne_u32_e32 0x80, v10
	s_cbranch_execz .LBB2_2474
; %bb.2469:                             ;   in Loop: Header=BB2_2121 Depth=2
	v_bfe_u32 v14, v16, 24, 7
	v_mov_b32_e32 v11, 0x7f800001
	s_mov_b32 s28, exec_lo
	s_delay_alu instid0(VALU_DEP_2)
	v_cmpx_ne_u32_e32 0x7f, v14
	s_cbranch_execz .LBB2_2473
; %bb.2470:                             ;   in Loop: Header=BB2_2121 Depth=2
	v_and_b32_e32 v38, 7, v10
	v_lshrrev_b32_e32 v11, 3, v14
	s_mov_b32 s29, exec_lo
	v_cmpx_gt_u32_e32 8, v14
; %bb.2471:                             ;   in Loop: Header=BB2_2121 Depth=2
	s_delay_alu instid0(VALU_DEP_3) | instskip(NEXT) | instid1(VALU_DEP_1)
	v_clz_i32_u32_e32 v11, v38
	v_min_u32_e32 v11, 32, v11
	s_delay_alu instid0(VALU_DEP_1) | instskip(NEXT) | instid1(VALU_DEP_1)
	v_subrev_nc_u32_e32 v14, 28, v11
	v_lshlrev_b64_e32 v[14:15], v14, v[38:39]
	s_delay_alu instid0(VALU_DEP_1)
	v_dual_sub_nc_u32 v11, 29, v11 :: v_dual_bitop2_b32 v38, 7, v14 bitop3:0x40
; %bb.2472:                             ;   in Loop: Header=BB2_2121 Depth=2
	s_or_b32 exec_lo, exec_lo, s29
	v_lshlrev_b32_e32 v10, 24, v10
	s_delay_alu instid0(VALU_DEP_2) | instskip(NEXT) | instid1(VALU_DEP_3)
	v_lshlrev_b32_e32 v14, 20, v38
	v_lshl_add_u32 v11, v11, 23, 0x3c000000
	s_delay_alu instid0(VALU_DEP_3) | instskip(NEXT) | instid1(VALU_DEP_1)
	v_and_b32_e32 v10, 0x80000000, v10
	v_or3_b32 v11, v14, v10, v11
.LBB2_2473:                             ;   in Loop: Header=BB2_2121 Depth=2
	s_or_b32 exec_lo, exec_lo, s28
.LBB2_2474:                             ;   in Loop: Header=BB2_2121 Depth=2
	s_delay_alu instid0(SALU_CYCLE_1)
	s_or_b32 exec_lo, exec_lo, s10
.LBB2_2475:                             ;   in Loop: Header=BB2_2121 Depth=2
	s_delay_alu instid0(SALU_CYCLE_1) | instskip(SKIP_3) | instid1(VALU_DEP_3)
	s_or_b32 exec_lo, exec_lo, s7
	v_lshrrev_b32_e32 v10, 24, v12
	v_bfe_u32 v14, v12, 24, 7
	v_cmp_gt_u32_e64 s10, 0x1000000, v12
	v_cmp_eq_u32_e32 vcc_lo, 0x80, v10
	s_delay_alu instid0(VALU_DEP_3) | instskip(SKIP_2) | instid1(VALU_DEP_1)
	v_cmp_eq_u32_e64 s7, 0x7f, v14
	v_cndmask_b32_e32 v15, 0x7f800001, v103, vcc_lo
	s_or_b32 s7, vcc_lo, s7
	v_cndmask_b32_e64 v15, v15, 0, s10
	s_nor_b32 s10, s10, s7
	s_delay_alu instid0(SALU_CYCLE_1)
	s_and_saveexec_b32 s7, s10
	s_cbranch_execz .LBB2_2477
; %bb.2476:                             ;   in Loop: Header=BB2_2121 Depth=2
	v_and_b32_e32 v15, 7, v10
	v_cmp_gt_u32_e32 vcc_lo, 8, v14
	s_delay_alu instid0(VALU_DEP_2) | instskip(NEXT) | instid1(VALU_DEP_1)
	v_clz_i32_u32_e32 v38, v15
	v_min_u32_e32 v38, 32, v38
	s_delay_alu instid0(VALU_DEP_1) | instskip(SKIP_1) | instid1(VALU_DEP_2)
	v_subrev_nc_u32_e32 v86, 28, v38
	v_sub_nc_u32_e32 v38, 29, v38
	v_lshlrev_b64_e32 v[86:87], v86, v[10:11]
	v_lshlrev_b32_e32 v10, 24, v10
	v_lshrrev_b32_e32 v87, 3, v14
	s_delay_alu instid0(VALU_DEP_2) | instskip(NEXT) | instid1(VALU_DEP_4)
	v_and_b32_e32 v10, 0x80000000, v10
	v_and_b32_e32 v14, 7, v86
	s_delay_alu instid0(VALU_DEP_1) | instskip(NEXT) | instid1(VALU_DEP_4)
	v_cndmask_b32_e32 v14, v15, v14, vcc_lo
	v_cndmask_b32_e32 v38, v87, v38, vcc_lo
	s_delay_alu instid0(VALU_DEP_2) | instskip(NEXT) | instid1(VALU_DEP_2)
	v_lshlrev_b32_e32 v14, 20, v14
	v_lshl_add_u32 v15, v38, 23, 0x3c000000
	s_delay_alu instid0(VALU_DEP_1)
	v_or3_b32 v15, v14, v10, v15
.LBB2_2477:                             ;   in Loop: Header=BB2_2121 Depth=2
	s_or_b32 exec_lo, exec_lo, s7
	s_delay_alu instid0(VALU_DEP_1) | instskip(SKIP_1) | instid1(VALU_DEP_1)
	v_mul_f32_e32 v10, v11, v15
                                        ; implicit-def: $vgpr46
	s_mov_b32 s7, exec_lo
	v_and_b32_e32 v38, 0x7f800000, v10
	v_lshrrev_b32_e32 v11, 24, v10
	s_delay_alu instid0(VALU_DEP_2)
	v_cmpx_ne_u64_e32 0x7f800000, v[38:39]
	s_xor_b32 s10, exec_lo, s7
	s_cbranch_execz .LBB2_2491
; %bb.2478:                             ;   in Loop: Header=BB2_2121 Depth=2
	v_and_b32_e32 v38, 0x7fffffff, v10
	v_and_b32_e32 v86, 0x80, v11
                                        ; implicit-def: $vgpr46
	s_mov_b32 s7, exec_lo
	s_delay_alu instid0(VALU_DEP_2)
	v_cmpx_gt_u64_e32 0x43e00001, v[38:39]
	s_xor_b32 s28, exec_lo, s7
	s_cbranch_execz .LBB2_2488
; %bb.2479:                             ;   in Loop: Header=BB2_2121 Depth=2
	v_mov_b32_e32 v46, 0
	s_mov_b32 s29, exec_lo
	v_cmpx_ne_u32_e32 0, v10
	s_cbranch_execz .LBB2_2487
; %bb.2480:                             ;   in Loop: Header=BB2_2121 Depth=2
	v_bfe_u32 v87, v10, 23, 8
	v_and_b32_e32 v14, 0x7fffff, v10
	s_delay_alu instid0(VALU_DEP_2) | instskip(NEXT) | instid1(VALU_DEP_2)
	v_cmp_gt_u32_e32 vcc_lo, 0x7a, v87
	v_or_b32_e32 v15, 0x800000, v14
	v_sub_nc_u32_e32 v11, 0x79, v87
	s_delay_alu instid0(VALU_DEP_1) | instskip(SKIP_1) | instid1(VALU_DEP_2)
	v_cndmask_b32_e32 v11, 0, v11, vcc_lo
	v_cmp_eq_u32_e32 vcc_lo, 0, v87
	v_cndmask_b32_e64 v46, v11, 0x78, vcc_lo
	v_cndmask_b32_e32 v38, v15, v14, vcc_lo
	s_delay_alu instid0(VALU_DEP_2) | instskip(NEXT) | instid1(VALU_DEP_1)
	v_dual_add_nc_u32 v10, 20, v46 :: v_dual_add_nc_u32 v47, 19, v46
	v_lshlrev_b64_e64 v[10:11], v10, -1
	s_delay_alu instid0(VALU_DEP_2) | instskip(NEXT) | instid1(VALU_DEP_2)
	v_lshlrev_b64_e64 v[14:15], v47, 1
	v_bfi_b32 v57, v11, 0, 0
	s_delay_alu instid0(VALU_DEP_3) | instskip(SKIP_1) | instid1(VALU_DEP_2)
	v_bfi_b32 v56, v10, 0, v38
	v_lshrrev_b64 v[10:11], v46, v[38:39]
	v_cmp_eq_u64_e64 s7, v[56:57], v[14:15]
	s_delay_alu instid0(VALU_DEP_2)
	v_mov_b64_e32 v[14:15], v[10:11]
	s_and_saveexec_b32 s40, s7
; %bb.2481:                             ;   in Loop: Header=BB2_2121 Depth=2
	v_bfe_u32 v38, v10, 20, 1
	s_delay_alu instid0(VALU_DEP_1) | instskip(NEXT) | instid1(VALU_DEP_1)
	v_add_nc_u64_e32 v[14:15], v[10:11], v[38:39]
	v_add_nc_u64_e32 v[14:15], -1, v[14:15]
; %bb.2482:                             ;   in Loop: Header=BB2_2121 Depth=2
	s_or_b32 exec_lo, exec_lo, s40
	v_add_nc_u32_e32 v11, 0xffffff81, v87
	v_lshrrev_b32_e32 v15, 23, v10
	s_mov_b32 s7, exec_lo
	s_delay_alu instid0(VALU_DEP_2) | instskip(NEXT) | instid1(VALU_DEP_1)
	v_cndmask_b32_e64 v11, v11, 0xffffff82, vcc_lo
	v_add3_u32 v15, v46, v11, v15
	v_and_b32_e32 v11, 0xfffff, v14
                                        ; implicit-def: $vgpr14
	s_delay_alu instid0(VALU_DEP_1) | instskip(NEXT) | instid1(VALU_DEP_1)
	v_dual_add_nc_u32 v87, 6, v15 :: v_dual_add_nc_u32 v38, v11, v10
                                        ; implicit-def: $vgpr10_vgpr11
	v_cmpx_ne_u32_e32 0, v87
	s_xor_b32 s7, exec_lo, s7
; %bb.2483:                             ;   in Loop: Header=BB2_2121 Depth=2
	s_delay_alu instid0(VALU_DEP_2) | instskip(SKIP_1) | instid1(VALU_DEP_1)
	v_cmp_lt_u64_e32 vcc_lo, 0xffffff, v[38:39]
	v_add_nc_u32_e32 v10, 7, v15
	v_cndmask_b32_e32 v14, v87, v10, vcc_lo
	v_cndmask_b32_e64 v10, 0, 1, vcc_lo
	s_delay_alu instid0(VALU_DEP_1)
	v_lshrrev_b64 v[10:11], v10, v[38:39]
; %bb.2484:                             ;   in Loop: Header=BB2_2121 Depth=2
	s_and_not1_saveexec_b32 s7, s7
; %bb.2485:                             ;   in Loop: Header=BB2_2121 Depth=2
	v_mov_b64_e32 v[10:11], v[38:39]
	v_bfe_u32 v14, v38, 23, 1
; %bb.2486:                             ;   in Loop: Header=BB2_2121 Depth=2
	s_or_b32 exec_lo, exec_lo, s7
	s_delay_alu instid0(VALU_DEP_2) | instskip(NEXT) | instid1(VALU_DEP_2)
	v_lshrrev_b64 v[10:11], 20, v[10:11]
	v_cmp_gt_i32_e32 vcc_lo, 16, v14
	v_min_i32_e32 v15, 15, v14
	v_cmp_eq_u32_e64 s7, 0, v14
	s_delay_alu instid0(VALU_DEP_4) | instskip(NEXT) | instid1(VALU_DEP_3)
	v_cndmask_b32_e32 v11, 0, v11, vcc_lo
	v_dual_cndmask_b32 v10, 7, v10 :: v_dual_lshlrev_b32 v15, 3, v15
	s_delay_alu instid0(VALU_DEP_1) | instskip(NEXT) | instid1(VALU_DEP_2)
	v_and_b32_e32 v15, 0xf8, v15
	v_cmp_eq_u64_e32 vcc_lo, 0, v[10:11]
	s_delay_alu instid0(VALU_DEP_2)
	v_and_or_b32 v10, v10, 7, v15
	s_and_b32 s7, s7, vcc_lo
	s_delay_alu instid0(VALU_DEP_1) | instid1(SALU_CYCLE_1)
	v_cndmask_b32_e64 v10, v10, 0, s7
	s_delay_alu instid0(VALU_DEP_1)
	v_or_b32_e32 v46, v10, v86
.LBB2_2487:                             ;   in Loop: Header=BB2_2121 Depth=2
	s_or_b32 exec_lo, exec_lo, s29
                                        ; implicit-def: $vgpr86
.LBB2_2488:                             ;   in Loop: Header=BB2_2121 Depth=2
	s_and_not1_saveexec_b32 s7, s28
; %bb.2489:                             ;   in Loop: Header=BB2_2121 Depth=2
	v_or_b32_e32 v46, 0x7e, v86
; %bb.2490:                             ;   in Loop: Header=BB2_2121 Depth=2
	s_or_b32 exec_lo, exec_lo, s7
                                        ; implicit-def: $vgpr11
.LBB2_2491:                             ;   in Loop: Header=BB2_2121 Depth=2
	s_and_not1_saveexec_b32 s7, s10
; %bb.2492:                             ;   in Loop: Header=BB2_2121 Depth=2
	v_or_b32_e32 v46, 0x7f, v11
; %bb.2493:                             ;   in Loop: Header=BB2_2121 Depth=2
	s_or_b32 exec_lo, exec_lo, s7
	v_and_b32_e32 v10, 0xff, v17
	v_dual_mov_b32 v38, v17 :: v_dual_mov_b32 v14, 0
	s_mov_b32 s7, exec_lo
	s_delay_alu instid0(VALU_DEP_2)
	v_cmpx_ne_u16_e32 0, v10
	s_cbranch_execz .LBB2_2499
; %bb.2494:                             ;   in Loop: Header=BB2_2121 Depth=2
	v_bfrev_b32_e32 v14, 1
	s_mov_b32 s10, exec_lo
	v_cmpx_ne_u16_e32 0x80, v10
	s_cbranch_execz .LBB2_2498
; %bb.2495:                             ;   in Loop: Header=BB2_2121 Depth=2
	v_and_b32_e32 v10, 0x7f, v17
	v_mov_b32_e32 v14, 0x7f800001
	s_mov_b32 s28, exec_lo
	s_delay_alu instid0(VALU_DEP_2)
	v_cmpx_ne_u32_e32 0x7f, v10
	s_cbranch_execz .LBB2_2497
; %bb.2496:                             ;   in Loop: Header=BB2_2121 Depth=2
	v_dual_lshrrev_b32 v14, 3, v10 :: v_dual_bitop2_b32 v11, 7, v17 bitop3:0x40
	v_cmp_gt_u32_e32 vcc_lo, 8, v10
	s_delay_alu instid0(VALU_DEP_2) | instskip(NEXT) | instid1(VALU_DEP_1)
	v_clz_i32_u32_e32 v11, v11
	v_min_u32_e32 v11, 32, v11
	s_delay_alu instid0(VALU_DEP_1) | instskip(SKIP_1) | instid1(VALU_DEP_2)
	v_subrev_nc_u32_e32 v15, 28, v11
	v_sub_nc_u32_e32 v11, 29, v11
	v_cndmask_b32_e32 v10, 0, v15, vcc_lo
	s_delay_alu instid0(VALU_DEP_2) | instskip(NEXT) | instid1(VALU_DEP_2)
	v_cndmask_b32_e32 v14, v14, v11, vcc_lo
	v_lshlrev_b64_e32 v[10:11], v10, v[38:39]
	v_lshlrev_b32_e32 v11, 24, v38
	s_delay_alu instid0(VALU_DEP_3) | instskip(NEXT) | instid1(VALU_DEP_2)
	v_lshl_add_u32 v14, v14, 23, 0x3c000000
	v_and_b32_e32 v11, 0x80000000, v11
	s_delay_alu instid0(VALU_DEP_4) | instskip(NEXT) | instid1(VALU_DEP_1)
	v_lshlrev_b32_e32 v10, 20, v10
	v_and_b32_e32 v10, 0x700000, v10
	s_delay_alu instid0(VALU_DEP_1)
	v_or3_b32 v14, v10, v11, v14
.LBB2_2497:                             ;   in Loop: Header=BB2_2121 Depth=2
	s_or_b32 exec_lo, exec_lo, s28
.LBB2_2498:                             ;   in Loop: Header=BB2_2121 Depth=2
	s_delay_alu instid0(SALU_CYCLE_1)
	s_or_b32 exec_lo, exec_lo, s10
.LBB2_2499:                             ;   in Loop: Header=BB2_2121 Depth=2
	s_delay_alu instid0(SALU_CYCLE_1) | instskip(SKIP_4) | instid1(VALU_DEP_2)
	s_or_b32 exec_lo, exec_lo, s7
	v_and_b32_e32 v11, 0xff, v13
	v_mov_b32_e32 v10, v13
	s_mov_b32 s7, 0
	s_mov_b32 s10, exec_lo
	v_cmpx_lt_i16_e32 0x7f, v11
	s_xor_b32 s10, exec_lo, s10
	s_cbranch_execz .LBB2_2534
; %bb.2500:                             ;   in Loop: Header=BB2_2121 Depth=2
	s_mov_b32 s7, -1
	s_mov_b32 s28, exec_lo
	v_cmpx_eq_u16_e32 0x80, v11
; %bb.2501:                             ;   in Loop: Header=BB2_2121 Depth=2
	s_xor_b32 s7, exec_lo, -1
; %bb.2502:                             ;   in Loop: Header=BB2_2121 Depth=2
	s_or_b32 exec_lo, exec_lo, s28
	s_delay_alu instid0(SALU_CYCLE_1)
	s_and_b32 s7, s7, exec_lo
                                        ; implicit-def: $vgpr11
	s_or_saveexec_b32 s10, s10
	v_bfrev_b32_e32 v15, 1
	s_xor_b32 exec_lo, exec_lo, s10
	s_cbranch_execnz .LBB2_2535
.LBB2_2503:                             ;   in Loop: Header=BB2_2121 Depth=2
	s_or_b32 exec_lo, exec_lo, s10
	v_mov_b32_e32 v11, v39
	s_and_saveexec_b32 s10, s7
	s_cbranch_execz .LBB2_2505
.LBB2_2504:                             ;   in Loop: Header=BB2_2121 Depth=2
	v_and_b32_e32 v47, 0x7f, v13
	v_bfe_u32 v86, v13, 3, 4
	s_delay_alu instid0(VALU_DEP_2) | instskip(SKIP_1) | instid1(VALU_DEP_1)
	v_cmp_gt_u32_e32 vcc_lo, 8, v47
	v_and_b32_e32 v15, 7, v13
	v_clz_i32_u32_e32 v15, v15
	s_delay_alu instid0(VALU_DEP_1) | instskip(NEXT) | instid1(VALU_DEP_1)
	v_min_u32_e32 v15, 32, v15
	v_subrev_nc_u32_e32 v87, 28, v15
	v_sub_nc_u32_e32 v15, 29, v15
	s_delay_alu instid0(VALU_DEP_1) | instskip(NEXT) | instid1(VALU_DEP_3)
	v_cndmask_b32_e32 v15, v86, v15, vcc_lo
	v_cndmask_b32_e32 v86, 0, v87, vcc_lo
	v_cmp_ne_u32_e32 vcc_lo, 0x7f, v47
	s_delay_alu instid0(VALU_DEP_2) | instskip(SKIP_1) | instid1(VALU_DEP_1)
	v_lshlrev_b64_e32 v[86:87], v86, v[10:11]
	v_lshlrev_b32_e32 v11, 24, v10
	v_and_b32_e32 v11, 0x80000000, v11
	s_delay_alu instid0(VALU_DEP_3) | instskip(SKIP_1) | instid1(VALU_DEP_2)
	v_lshlrev_b32_e32 v86, 20, v86
	v_lshl_add_u32 v15, v15, 23, 0x3c000000
	v_and_b32_e32 v86, 0x700000, v86
	s_delay_alu instid0(VALU_DEP_1) | instskip(NEXT) | instid1(VALU_DEP_1)
	v_or3_b32 v11, v86, v11, v15
	v_cndmask_b32_e32 v15, 0x7f800001, v11, vcc_lo
.LBB2_2505:                             ;   in Loop: Header=BB2_2121 Depth=2
	s_or_b32 exec_lo, exec_lo, s10
	s_delay_alu instid0(VALU_DEP_1) | instskip(NEXT) | instid1(VALU_DEP_1)
	v_dual_mul_f32 v14, v14, v15 :: v_dual_mov_b32 v87, v39
	v_and_b32_e32 v86, 0x7f800000, v14
	v_lshrrev_b32_e32 v11, 24, v14
	s_delay_alu instid0(VALU_DEP_2) | instskip(SKIP_1) | instid1(SALU_CYCLE_1)
	v_cmp_ne_u64_e32 vcc_lo, 0x7f800000, v[86:87]
                                        ; implicit-def: $vgpr86
	s_and_saveexec_b32 s7, vcc_lo
	s_xor_b32 s10, exec_lo, s7
	s_cbranch_execz .LBB2_2519
; %bb.2506:                             ;   in Loop: Header=BB2_2121 Depth=2
	v_and_b32_e32 v86, 0x7fffffff, v14
	v_mov_b32_e32 v87, v39
	v_and_b32_e32 v11, 0x80, v11
	s_delay_alu instid0(VALU_DEP_2) | instskip(SKIP_1) | instid1(SALU_CYCLE_1)
	v_cmp_gt_u64_e32 vcc_lo, 0x43e00001, v[86:87]
                                        ; implicit-def: $vgpr86
	s_and_saveexec_b32 s7, vcc_lo
	s_xor_b32 s28, exec_lo, s7
	s_cbranch_execz .LBB2_2516
; %bb.2507:                             ;   in Loop: Header=BB2_2121 Depth=2
	v_mov_b32_e32 v86, 0
	s_mov_b32 s29, exec_lo
	v_cmpx_ne_u32_e32 0, v14
	s_cbranch_execz .LBB2_2515
; %bb.2508:                             ;   in Loop: Header=BB2_2121 Depth=2
	v_bfe_u32 v47, v14, 23, 8
	v_and_b32_e32 v86, 0x7fffff, v14
	s_mov_b32 s40, exec_lo
	s_delay_alu instid0(VALU_DEP_2) | instskip(NEXT) | instid1(VALU_DEP_2)
	v_cmp_gt_u32_e32 vcc_lo, 0x7a, v47
	v_or_b32_e32 v87, 0x800000, v86
	v_sub_nc_u32_e32 v15, 0x79, v47
	s_delay_alu instid0(VALU_DEP_1) | instskip(SKIP_1) | instid1(VALU_DEP_2)
	v_cndmask_b32_e32 v15, 0, v15, vcc_lo
	v_cmp_eq_u32_e32 vcc_lo, 0, v47
	v_cndmask_b32_e64 v56, v15, 0x78, vcc_lo
	v_cndmask_b32_e32 v86, v87, v86, vcc_lo
	s_delay_alu instid0(VALU_DEP_2) | instskip(SKIP_1) | instid1(VALU_DEP_2)
	v_dual_mov_b32 v87, v39 :: v_dual_add_nc_u32 v57, 19, v56
	v_add_nc_u32_e32 v14, 20, v56
	v_lshlrev_b64_e64 v[58:59], v57, 1
	s_delay_alu instid0(VALU_DEP_2) | instskip(NEXT) | instid1(VALU_DEP_1)
	v_lshlrev_b64_e64 v[14:15], v14, -1
	v_bfi_b32 v61, v15, 0, 0
	s_delay_alu instid0(VALU_DEP_2) | instskip(SKIP_1) | instid1(VALU_DEP_1)
	v_bfi_b32 v60, v14, 0, v86
	v_lshrrev_b64 v[14:15], v56, v[86:87]
	v_mov_b64_e32 v[86:87], v[14:15]
	s_delay_alu instid0(VALU_DEP_3)
	v_cmpx_eq_u64_e64 v[60:61], v[58:59]
; %bb.2509:                             ;   in Loop: Header=BB2_2121 Depth=2
	v_bfe_u32 v86, v14, 20, 1
	v_mov_b32_e32 v87, v39
	s_delay_alu instid0(VALU_DEP_1) | instskip(NEXT) | instid1(VALU_DEP_1)
	v_add_nc_u64_e32 v[86:87], v[14:15], v[86:87]
	v_add_nc_u64_e32 v[86:87], -1, v[86:87]
; %bb.2510:                             ;   in Loop: Header=BB2_2121 Depth=2
	s_or_b32 exec_lo, exec_lo, s40
	v_add_nc_u32_e32 v15, 0xffffff81, v47
	v_lshrrev_b32_e32 v87, 23, v14
	s_mov_b32 s7, exec_lo
	s_delay_alu instid0(VALU_DEP_2) | instskip(NEXT) | instid1(VALU_DEP_1)
	v_cndmask_b32_e64 v15, v15, 0xffffff82, vcc_lo
	v_add3_u32 v87, v56, v15, v87
	v_and_b32_e32 v15, 0xfffff, v86
                                        ; implicit-def: $vgpr86
	s_delay_alu instid0(VALU_DEP_1) | instskip(SKIP_1) | instid1(VALU_DEP_2)
	v_dual_add_nc_u32 v47, 6, v87 :: v_dual_add_nc_u32 v14, v15, v14
	v_mov_b32_e32 v15, v39
	v_cmpx_ne_u32_e32 0, v47
	s_xor_b32 s7, exec_lo, s7
; %bb.2511:                             ;   in Loop: Header=BB2_2121 Depth=2
	s_delay_alu instid0(VALU_DEP_2) | instskip(SKIP_2) | instid1(VALU_DEP_2)
	v_cmp_lt_u64_e32 vcc_lo, 0xffffff, v[14:15]
	v_add_nc_u32_e32 v86, 7, v87
	v_cndmask_b32_e64 v87, 0, 1, vcc_lo
	v_cndmask_b32_e32 v86, v47, v86, vcc_lo
	s_delay_alu instid0(VALU_DEP_2)
	v_lshrrev_b64 v[14:15], v87, v[14:15]
; %bb.2512:                             ;   in Loop: Header=BB2_2121 Depth=2
	s_and_not1_saveexec_b32 s7, s7
; %bb.2513:                             ;   in Loop: Header=BB2_2121 Depth=2
	s_delay_alu instid0(VALU_DEP_1)
	v_bfe_u32 v86, v14, 23, 1
; %bb.2514:                             ;   in Loop: Header=BB2_2121 Depth=2
	s_or_b32 exec_lo, exec_lo, s7
	s_delay_alu instid0(VALU_DEP_2) | instskip(NEXT) | instid1(VALU_DEP_2)
	v_lshrrev_b64 v[14:15], 20, v[14:15]
	v_cmp_gt_i32_e32 vcc_lo, 16, v86
	v_min_i32_e32 v87, 15, v86
	v_cmp_eq_u32_e64 s7, 0, v86
	s_delay_alu instid0(VALU_DEP_4) | instskip(NEXT) | instid1(VALU_DEP_3)
	v_cndmask_b32_e32 v15, 0, v15, vcc_lo
	v_dual_cndmask_b32 v14, 7, v14 :: v_dual_lshlrev_b32 v87, 3, v87
	s_delay_alu instid0(VALU_DEP_1) | instskip(NEXT) | instid1(VALU_DEP_2)
	v_and_b32_e32 v87, 0xf8, v87
	v_cmp_eq_u64_e32 vcc_lo, 0, v[14:15]
	s_delay_alu instid0(VALU_DEP_2)
	v_and_or_b32 v14, v14, 7, v87
	s_and_b32 s7, s7, vcc_lo
	s_delay_alu instid0(VALU_DEP_1) | instid1(SALU_CYCLE_1)
	v_cndmask_b32_e64 v14, v14, 0, s7
	s_delay_alu instid0(VALU_DEP_1)
	v_or_b32_e32 v86, v14, v11
.LBB2_2515:                             ;   in Loop: Header=BB2_2121 Depth=2
	s_or_b32 exec_lo, exec_lo, s29
                                        ; implicit-def: $vgpr11
.LBB2_2516:                             ;   in Loop: Header=BB2_2121 Depth=2
	s_and_not1_saveexec_b32 s7, s28
; %bb.2517:                             ;   in Loop: Header=BB2_2121 Depth=2
	v_or_b32_e32 v86, 0x7e, v11
; %bb.2518:                             ;   in Loop: Header=BB2_2121 Depth=2
	s_or_b32 exec_lo, exec_lo, s7
                                        ; implicit-def: $vgpr11
.LBB2_2519:                             ;   in Loop: Header=BB2_2121 Depth=2
	s_and_not1_saveexec_b32 s7, s10
; %bb.2520:                             ;   in Loop: Header=BB2_2121 Depth=2
	v_or_b32_e32 v86, 0x7f, v11
; %bb.2521:                             ;   in Loop: Header=BB2_2121 Depth=2
	s_or_b32 exec_lo, exec_lo, s7
	v_lshrrev_b16 v14, 8, v38
	v_mov_b32_e32 v11, 0
	s_mov_b32 s7, exec_lo
	s_delay_alu instid0(VALU_DEP_2)
	v_cmpx_ne_u16_e32 0, v14
	s_cbranch_execz .LBB2_2529
; %bb.2522:                             ;   in Loop: Header=BB2_2121 Depth=2
	v_bfrev_b32_e32 v11, 1
	s_mov_b32 s10, exec_lo
	v_cmpx_ne_u16_e32 0x80, v14
	s_cbranch_execz .LBB2_2528
; %bb.2523:                             ;   in Loop: Header=BB2_2121 Depth=2
	v_and_b32_e32 v14, 0xffff, v14
	v_mov_b32_e32 v11, 0x7f800001
	s_mov_b32 s28, exec_lo
	s_delay_alu instid0(VALU_DEP_2) | instskip(NEXT) | instid1(VALU_DEP_1)
	v_and_b32_e32 v87, 0x7f, v14
	v_cmpx_ne_u32_e32 0x7f, v87
	s_cbranch_execz .LBB2_2527
; %bb.2524:                             ;   in Loop: Header=BB2_2121 Depth=2
	v_dual_mov_b32 v15, v39 :: v_dual_bitop2_b32 v14, 7, v14 bitop3:0x40
	v_lshrrev_b32_e32 v11, 3, v87
	s_mov_b32 s29, exec_lo
	v_cmpx_gt_u32_e32 8, v87
; %bb.2525:                             ;   in Loop: Header=BB2_2121 Depth=2
	s_delay_alu instid0(VALU_DEP_3) | instskip(NEXT) | instid1(VALU_DEP_1)
	v_clz_i32_u32_e32 v11, v14
	v_min_u32_e32 v11, 32, v11
	s_delay_alu instid0(VALU_DEP_1) | instskip(NEXT) | instid1(VALU_DEP_1)
	v_subrev_nc_u32_e32 v87, 28, v11
	v_lshlrev_b64_e32 v[14:15], v87, v[14:15]
	s_delay_alu instid0(VALU_DEP_1)
	v_dual_sub_nc_u32 v11, 29, v11 :: v_dual_bitop2_b32 v14, 7, v14 bitop3:0x40
; %bb.2526:                             ;   in Loop: Header=BB2_2121 Depth=2
	s_or_b32 exec_lo, exec_lo, s29
	v_lshlrev_b32_e32 v15, 16, v38
	s_delay_alu instid0(VALU_DEP_2) | instskip(NEXT) | instid1(VALU_DEP_3)
	v_lshlrev_b32_e32 v14, 20, v14
	v_lshl_add_u32 v11, v11, 23, 0x3c000000
	s_delay_alu instid0(VALU_DEP_3) | instskip(NEXT) | instid1(VALU_DEP_1)
	v_and_b32_e32 v15, 0x80000000, v15
	v_or3_b32 v11, v14, v15, v11
.LBB2_2527:                             ;   in Loop: Header=BB2_2121 Depth=2
	s_or_b32 exec_lo, exec_lo, s28
.LBB2_2528:                             ;   in Loop: Header=BB2_2121 Depth=2
	s_delay_alu instid0(SALU_CYCLE_1)
	s_or_b32 exec_lo, exec_lo, s10
.LBB2_2529:                             ;   in Loop: Header=BB2_2121 Depth=2
	s_delay_alu instid0(SALU_CYCLE_1) | instskip(SKIP_3) | instid1(VALU_DEP_1)
	s_or_b32 exec_lo, exec_lo, s7
	v_lshrrev_b16 v14, 8, v10
	s_mov_b32 s10, 0
	s_mov_b32 s7, exec_lo
	v_cmpx_lt_i16_e32 0x7f, v14
	s_xor_b32 s7, exec_lo, s7
	s_cbranch_execz .LBB2_2536
; %bb.2530:                             ;   in Loop: Header=BB2_2121 Depth=2
	s_mov_b32 s10, -1
	s_mov_b32 s28, exec_lo
	v_cmpx_eq_u16_e32 0x80, v14
; %bb.2531:                             ;   in Loop: Header=BB2_2121 Depth=2
	s_xor_b32 s10, exec_lo, -1
; %bb.2532:                             ;   in Loop: Header=BB2_2121 Depth=2
	s_or_b32 exec_lo, exec_lo, s28
	s_delay_alu instid0(SALU_CYCLE_1)
	s_and_b32 s10, s10, exec_lo
	s_or_saveexec_b32 s7, s7
	v_bfrev_b32_e32 v15, 1
	s_xor_b32 exec_lo, exec_lo, s7
	s_cbranch_execnz .LBB2_2537
.LBB2_2533:                             ;   in Loop: Header=BB2_2121 Depth=2
	s_or_b32 exec_lo, exec_lo, s7
	s_and_saveexec_b32 s7, s10
	s_cbranch_execnz .LBB2_2538
	s_branch .LBB2_2541
.LBB2_2534:                             ;   in Loop: Header=BB2_2121 Depth=2
	s_or_saveexec_b32 s10, s10
	v_bfrev_b32_e32 v15, 1
	s_xor_b32 exec_lo, exec_lo, s10
	s_cbranch_execz .LBB2_2503
.LBB2_2535:                             ;   in Loop: Header=BB2_2121 Depth=2
	v_cmp_ne_u16_e32 vcc_lo, 0, v11
	v_mov_b32_e32 v15, 0
	s_and_not1_b32 s7, s7, exec_lo
	s_and_b32 s28, vcc_lo, exec_lo
	s_delay_alu instid0(SALU_CYCLE_1)
	s_or_b32 s7, s7, s28
	s_or_b32 exec_lo, exec_lo, s10
	v_mov_b32_e32 v11, v39
	s_and_saveexec_b32 s10, s7
	s_cbranch_execnz .LBB2_2504
	s_branch .LBB2_2505
.LBB2_2536:                             ;   in Loop: Header=BB2_2121 Depth=2
	s_or_saveexec_b32 s7, s7
	v_bfrev_b32_e32 v15, 1
	s_xor_b32 exec_lo, exec_lo, s7
	s_cbranch_execz .LBB2_2533
.LBB2_2537:                             ;   in Loop: Header=BB2_2121 Depth=2
	v_cmp_ne_u16_e32 vcc_lo, 0, v14
	v_mov_b32_e32 v15, 0
	s_and_not1_b32 s10, s10, exec_lo
	s_and_b32 s28, vcc_lo, exec_lo
	s_delay_alu instid0(SALU_CYCLE_1)
	s_or_b32 s10, s10, s28
	s_or_b32 exec_lo, exec_lo, s7
	s_and_saveexec_b32 s7, s10
	s_cbranch_execz .LBB2_2541
.LBB2_2538:                             ;   in Loop: Header=BB2_2121 Depth=2
	v_and_b32_e32 v10, 0xffff, v14
	v_mov_b32_e32 v15, 0x7f800001
	s_mov_b32 s10, exec_lo
	s_delay_alu instid0(VALU_DEP_2) | instskip(NEXT) | instid1(VALU_DEP_1)
	v_and_b32_e32 v38, 0x7f, v10
	v_cmpx_ne_u32_e32 0x7f, v38
	s_cbranch_execz .LBB2_2540
; %bb.2539:                             ;   in Loop: Header=BB2_2121 Depth=2
	v_and_b32_e32 v15, 7, v10
	v_cmp_gt_u32_e32 vcc_lo, 8, v38
	s_delay_alu instid0(VALU_DEP_2) | instskip(NEXT) | instid1(VALU_DEP_1)
	v_clz_i32_u32_e32 v87, v15
	v_min_u32_e32 v87, 32, v87
	s_delay_alu instid0(VALU_DEP_1) | instskip(SKIP_1) | instid1(VALU_DEP_2)
	v_subrev_nc_u32_e32 v47, 28, v87
	v_sub_nc_u32_e32 v87, 29, v87
	v_lshlrev_b64_e32 v[56:57], v47, v[10:11]
	s_delay_alu instid0(VALU_DEP_1) | instskip(NEXT) | instid1(VALU_DEP_1)
	v_dual_lshrrev_b32 v10, 3, v38 :: v_dual_bitop2_b32 v38, 7, v56 bitop3:0x40
	v_dual_lshlrev_b32 v14, 24, v14 :: v_dual_cndmask_b32 v10, v10, v87, vcc_lo
	s_delay_alu instid0(VALU_DEP_2) | instskip(NEXT) | instid1(VALU_DEP_2)
	v_cndmask_b32_e32 v15, v15, v38, vcc_lo
	v_and_b32_e32 v14, 0x80000000, v14
	s_delay_alu instid0(VALU_DEP_3) | instskip(NEXT) | instid1(VALU_DEP_3)
	v_lshl_add_u32 v10, v10, 23, 0x3c000000
	v_lshlrev_b32_e32 v15, 20, v15
	s_delay_alu instid0(VALU_DEP_1)
	v_or3_b32 v15, v15, v14, v10
.LBB2_2540:                             ;   in Loop: Header=BB2_2121 Depth=2
	s_or_b32 exec_lo, exec_lo, s10
.LBB2_2541:                             ;   in Loop: Header=BB2_2121 Depth=2
	s_delay_alu instid0(SALU_CYCLE_1) | instskip(NEXT) | instid1(VALU_DEP_1)
	s_or_b32 exec_lo, exec_lo, s7
	v_mul_f32_e32 v10, v11, v15
                                        ; implicit-def: $vgpr87
	s_mov_b32 s7, exec_lo
	s_delay_alu instid0(VALU_DEP_1) | instskip(SKIP_1) | instid1(VALU_DEP_2)
	v_and_b32_e32 v38, 0x7f800000, v10
	v_lshrrev_b32_e32 v11, 24, v10
	v_cmpx_ne_u64_e32 0x7f800000, v[38:39]
	s_xor_b32 s10, exec_lo, s7
	s_cbranch_execz .LBB2_2555
; %bb.2542:                             ;   in Loop: Header=BB2_2121 Depth=2
	v_and_b32_e32 v38, 0x7fffffff, v10
	v_and_b32_e32 v47, 0x80, v11
                                        ; implicit-def: $vgpr87
	s_mov_b32 s7, exec_lo
	s_delay_alu instid0(VALU_DEP_2)
	v_cmpx_gt_u64_e32 0x43e00001, v[38:39]
	s_xor_b32 s28, exec_lo, s7
	s_cbranch_execz .LBB2_2552
; %bb.2543:                             ;   in Loop: Header=BB2_2121 Depth=2
	v_mov_b32_e32 v87, 0
	s_mov_b32 s29, exec_lo
	v_cmpx_ne_u32_e32 0, v10
	s_cbranch_execz .LBB2_2551
; %bb.2544:                             ;   in Loop: Header=BB2_2121 Depth=2
	v_bfe_u32 v87, v10, 23, 8
	v_and_b32_e32 v14, 0x7fffff, v10
	s_delay_alu instid0(VALU_DEP_2) | instskip(NEXT) | instid1(VALU_DEP_2)
	v_cmp_gt_u32_e32 vcc_lo, 0x7a, v87
	v_or_b32_e32 v15, 0x800000, v14
	v_sub_nc_u32_e32 v11, 0x79, v87
	s_delay_alu instid0(VALU_DEP_1) | instskip(SKIP_1) | instid1(VALU_DEP_2)
	v_cndmask_b32_e32 v11, 0, v11, vcc_lo
	v_cmp_eq_u32_e32 vcc_lo, 0, v87
	v_cndmask_b32_e64 v56, v11, 0x78, vcc_lo
	s_delay_alu instid0(VALU_DEP_1) | instskip(SKIP_1) | instid1(VALU_DEP_2)
	v_dual_cndmask_b32 v38, v15, v14, vcc_lo :: v_dual_add_nc_u32 v10, 20, v56
	v_add_nc_u32_e32 v57, 19, v56
	v_lshlrev_b64_e64 v[10:11], v10, -1
	s_delay_alu instid0(VALU_DEP_2) | instskip(NEXT) | instid1(VALU_DEP_2)
	v_lshlrev_b64_e64 v[14:15], v57, 1
	v_bfi_b32 v59, v11, 0, 0
	s_delay_alu instid0(VALU_DEP_3) | instskip(SKIP_1) | instid1(VALU_DEP_2)
	v_bfi_b32 v58, v10, 0, v38
	v_lshrrev_b64 v[10:11], v56, v[38:39]
	v_cmp_eq_u64_e64 s7, v[58:59], v[14:15]
	s_delay_alu instid0(VALU_DEP_2)
	v_mov_b64_e32 v[14:15], v[10:11]
	s_and_saveexec_b32 s40, s7
; %bb.2545:                             ;   in Loop: Header=BB2_2121 Depth=2
	v_bfe_u32 v38, v10, 20, 1
	s_delay_alu instid0(VALU_DEP_1) | instskip(NEXT) | instid1(VALU_DEP_1)
	v_add_nc_u64_e32 v[14:15], v[10:11], v[38:39]
	v_add_nc_u64_e32 v[14:15], -1, v[14:15]
; %bb.2546:                             ;   in Loop: Header=BB2_2121 Depth=2
	s_or_b32 exec_lo, exec_lo, s40
	v_add_nc_u32_e32 v11, 0xffffff81, v87
	v_lshrrev_b32_e32 v15, 23, v10
	s_mov_b32 s7, exec_lo
	s_delay_alu instid0(VALU_DEP_2) | instskip(NEXT) | instid1(VALU_DEP_1)
	v_cndmask_b32_e64 v11, v11, 0xffffff82, vcc_lo
	v_add3_u32 v15, v56, v11, v15
	v_and_b32_e32 v11, 0xfffff, v14
                                        ; implicit-def: $vgpr14
	s_delay_alu instid0(VALU_DEP_1) | instskip(NEXT) | instid1(VALU_DEP_1)
	v_dual_add_nc_u32 v87, 6, v15 :: v_dual_add_nc_u32 v38, v11, v10
                                        ; implicit-def: $vgpr10_vgpr11
	v_cmpx_ne_u32_e32 0, v87
	s_xor_b32 s7, exec_lo, s7
; %bb.2547:                             ;   in Loop: Header=BB2_2121 Depth=2
	s_delay_alu instid0(VALU_DEP_2) | instskip(SKIP_1) | instid1(VALU_DEP_1)
	v_cmp_lt_u64_e32 vcc_lo, 0xffffff, v[38:39]
	v_add_nc_u32_e32 v10, 7, v15
	v_cndmask_b32_e32 v14, v87, v10, vcc_lo
	v_cndmask_b32_e64 v10, 0, 1, vcc_lo
	s_delay_alu instid0(VALU_DEP_1)
	v_lshrrev_b64 v[10:11], v10, v[38:39]
; %bb.2548:                             ;   in Loop: Header=BB2_2121 Depth=2
	s_and_not1_saveexec_b32 s7, s7
; %bb.2549:                             ;   in Loop: Header=BB2_2121 Depth=2
	v_mov_b64_e32 v[10:11], v[38:39]
	v_bfe_u32 v14, v38, 23, 1
; %bb.2550:                             ;   in Loop: Header=BB2_2121 Depth=2
	s_or_b32 exec_lo, exec_lo, s7
	s_delay_alu instid0(VALU_DEP_2) | instskip(NEXT) | instid1(VALU_DEP_2)
	v_lshrrev_b64 v[10:11], 20, v[10:11]
	v_cmp_gt_i32_e32 vcc_lo, 16, v14
	v_min_i32_e32 v15, 15, v14
	v_cmp_eq_u32_e64 s7, 0, v14
	s_delay_alu instid0(VALU_DEP_4) | instskip(NEXT) | instid1(VALU_DEP_3)
	v_cndmask_b32_e32 v11, 0, v11, vcc_lo
	v_dual_cndmask_b32 v10, 7, v10 :: v_dual_lshlrev_b32 v15, 3, v15
	s_delay_alu instid0(VALU_DEP_1) | instskip(NEXT) | instid1(VALU_DEP_2)
	v_and_b32_e32 v15, 0xf8, v15
	v_cmp_eq_u64_e32 vcc_lo, 0, v[10:11]
	s_delay_alu instid0(VALU_DEP_2)
	v_and_or_b32 v10, v10, 7, v15
	s_and_b32 s7, s7, vcc_lo
	s_delay_alu instid0(VALU_DEP_1) | instid1(SALU_CYCLE_1)
	v_cndmask_b32_e64 v10, v10, 0, s7
	s_delay_alu instid0(VALU_DEP_1)
	v_or_b32_e32 v87, v10, v47
.LBB2_2551:                             ;   in Loop: Header=BB2_2121 Depth=2
	s_or_b32 exec_lo, exec_lo, s29
                                        ; implicit-def: $vgpr47
.LBB2_2552:                             ;   in Loop: Header=BB2_2121 Depth=2
	s_and_not1_saveexec_b32 s7, s28
; %bb.2553:                             ;   in Loop: Header=BB2_2121 Depth=2
	v_or_b32_e32 v87, 0x7e, v47
; %bb.2554:                             ;   in Loop: Header=BB2_2121 Depth=2
	s_or_b32 exec_lo, exec_lo, s7
                                        ; implicit-def: $vgpr11
.LBB2_2555:                             ;   in Loop: Header=BB2_2121 Depth=2
	s_and_not1_saveexec_b32 s7, s10
; %bb.2556:                             ;   in Loop: Header=BB2_2121 Depth=2
	v_or_b32_e32 v87, 0x7f, v11
; %bb.2557:                             ;   in Loop: Header=BB2_2121 Depth=2
	s_or_b32 exec_lo, exec_lo, s7
	v_dual_mov_b32 v11, 0 :: v_dual_lshrrev_b32 v10, 16, v17
	s_mov_b32 s7, exec_lo
	s_delay_alu instid0(VALU_DEP_1) | instskip(NEXT) | instid1(VALU_DEP_1)
	v_and_b32_e32 v14, 0xff, v10
	v_cmpx_ne_u16_e32 0, v14
	s_cbranch_execz .LBB2_2565
; %bb.2558:                             ;   in Loop: Header=BB2_2121 Depth=2
	v_bfrev_b32_e32 v11, 1
	s_mov_b32 s10, exec_lo
	v_cmpx_ne_u16_e32 0x80, v14
	s_cbranch_execz .LBB2_2564
; %bb.2559:                             ;   in Loop: Header=BB2_2121 Depth=2
	v_bfe_u32 v14, v17, 16, 7
	v_mov_b32_e32 v11, 0x7f800001
	s_mov_b32 s28, exec_lo
	s_delay_alu instid0(VALU_DEP_2)
	v_cmpx_ne_u32_e32 0x7f, v14
	s_cbranch_execz .LBB2_2563
; %bb.2560:                             ;   in Loop: Header=BB2_2121 Depth=2
	v_and_b32_e32 v38, 7, v10
	v_lshrrev_b32_e32 v11, 3, v14
	s_mov_b32 s29, exec_lo
	v_cmpx_gt_u32_e32 8, v14
; %bb.2561:                             ;   in Loop: Header=BB2_2121 Depth=2
	s_delay_alu instid0(VALU_DEP_3) | instskip(NEXT) | instid1(VALU_DEP_1)
	v_clz_i32_u32_e32 v11, v38
	v_min_u32_e32 v11, 32, v11
	s_delay_alu instid0(VALU_DEP_1) | instskip(NEXT) | instid1(VALU_DEP_1)
	v_subrev_nc_u32_e32 v14, 28, v11
	v_lshlrev_b64_e32 v[14:15], v14, v[38:39]
	s_delay_alu instid0(VALU_DEP_1)
	v_dual_sub_nc_u32 v11, 29, v11 :: v_dual_bitop2_b32 v38, 7, v14 bitop3:0x40
; %bb.2562:                             ;   in Loop: Header=BB2_2121 Depth=2
	s_or_b32 exec_lo, exec_lo, s29
	v_lshlrev_b32_e32 v10, 24, v10
	s_delay_alu instid0(VALU_DEP_2) | instskip(NEXT) | instid1(VALU_DEP_3)
	v_lshlrev_b32_e32 v14, 20, v38
	v_lshl_add_u32 v11, v11, 23, 0x3c000000
	s_delay_alu instid0(VALU_DEP_3) | instskip(NEXT) | instid1(VALU_DEP_1)
	v_and_b32_e32 v10, 0x80000000, v10
	v_or3_b32 v11, v14, v10, v11
.LBB2_2563:                             ;   in Loop: Header=BB2_2121 Depth=2
	s_or_b32 exec_lo, exec_lo, s28
.LBB2_2564:                             ;   in Loop: Header=BB2_2121 Depth=2
	s_delay_alu instid0(SALU_CYCLE_1)
	s_or_b32 exec_lo, exec_lo, s10
.LBB2_2565:                             ;   in Loop: Header=BB2_2121 Depth=2
	s_delay_alu instid0(SALU_CYCLE_1) | instskip(SKIP_3) | instid1(VALU_DEP_1)
	s_or_b32 exec_lo, exec_lo, s7
	v_lshrrev_b32_e32 v10, 16, v13
	s_mov_b32 s10, 0
	s_mov_b32 s7, exec_lo
	v_and_b32_e32 v15, 0xff, v10
	s_delay_alu instid0(VALU_DEP_1)
	v_cmpx_lt_i16_e32 0x7f, v15
	s_xor_b32 s7, exec_lo, s7
	s_cbranch_execz .LBB2_2570
; %bb.2566:                             ;   in Loop: Header=BB2_2121 Depth=2
	s_mov_b32 s10, -1
	s_mov_b32 s28, exec_lo
	v_cmpx_eq_u16_e32 0x80, v15
; %bb.2567:                             ;   in Loop: Header=BB2_2121 Depth=2
	s_xor_b32 s10, exec_lo, -1
; %bb.2568:                             ;   in Loop: Header=BB2_2121 Depth=2
	s_or_b32 exec_lo, exec_lo, s28
	s_delay_alu instid0(SALU_CYCLE_1)
	s_and_b32 s10, s10, exec_lo
                                        ; implicit-def: $vgpr15
	s_or_saveexec_b32 s7, s7
	v_bfrev_b32_e32 v14, 1
	s_xor_b32 exec_lo, exec_lo, s7
	s_cbranch_execnz .LBB2_2571
.LBB2_2569:                             ;   in Loop: Header=BB2_2121 Depth=2
	s_or_b32 exec_lo, exec_lo, s7
	s_and_saveexec_b32 s7, s10
	s_cbranch_execnz .LBB2_2572
	s_branch .LBB2_2575
.LBB2_2570:                             ;   in Loop: Header=BB2_2121 Depth=2
	s_or_saveexec_b32 s7, s7
	v_bfrev_b32_e32 v14, 1
	s_xor_b32 exec_lo, exec_lo, s7
	s_cbranch_execz .LBB2_2569
.LBB2_2571:                             ;   in Loop: Header=BB2_2121 Depth=2
	v_cmp_ne_u16_e32 vcc_lo, 0, v15
	v_mov_b32_e32 v14, 0
	s_and_not1_b32 s10, s10, exec_lo
	s_and_b32 s28, vcc_lo, exec_lo
	s_delay_alu instid0(SALU_CYCLE_1)
	s_or_b32 s10, s10, s28
	s_or_b32 exec_lo, exec_lo, s7
	s_and_saveexec_b32 s7, s10
	s_cbranch_execz .LBB2_2575
.LBB2_2572:                             ;   in Loop: Header=BB2_2121 Depth=2
	v_and_b32_e32 v15, 0x7f, v10
	v_mov_b32_e32 v14, 0x7f800001
	s_mov_b32 s10, exec_lo
	s_delay_alu instid0(VALU_DEP_2)
	v_cmpx_ne_u32_e32 0x7f, v15
	s_cbranch_execz .LBB2_2574
; %bb.2573:                             ;   in Loop: Header=BB2_2121 Depth=2
	v_and_b32_e32 v14, 7, v10
	v_cmp_gt_u32_e32 vcc_lo, 8, v15
	s_delay_alu instid0(VALU_DEP_2) | instskip(NEXT) | instid1(VALU_DEP_1)
	v_clz_i32_u32_e32 v38, v14
	v_min_u32_e32 v38, 32, v38
	s_delay_alu instid0(VALU_DEP_1) | instskip(NEXT) | instid1(VALU_DEP_1)
	v_subrev_nc_u32_e32 v47, 28, v38
	v_lshlrev_b64_e32 v[56:57], v47, v[10:11]
	v_dual_lshrrev_b32 v47, 3, v15 :: v_dual_sub_nc_u32 v38, 29, v38
	s_delay_alu instid0(VALU_DEP_2) | instskip(NEXT) | instid1(VALU_DEP_1)
	v_dual_lshlrev_b32 v10, 24, v10 :: v_dual_bitop2_b32 v15, 7, v56 bitop3:0x40
	v_dual_cndmask_b32 v38, v47, v38, vcc_lo :: v_dual_cndmask_b32 v14, v14, v15, vcc_lo
	s_delay_alu instid0(VALU_DEP_2) | instskip(NEXT) | instid1(VALU_DEP_2)
	v_and_b32_e32 v10, 0x80000000, v10
	v_lshl_add_u32 v15, v38, 23, 0x3c000000
	s_delay_alu instid0(VALU_DEP_3) | instskip(NEXT) | instid1(VALU_DEP_1)
	v_lshlrev_b32_e32 v14, 20, v14
	v_or3_b32 v14, v14, v10, v15
.LBB2_2574:                             ;   in Loop: Header=BB2_2121 Depth=2
	s_or_b32 exec_lo, exec_lo, s10
.LBB2_2575:                             ;   in Loop: Header=BB2_2121 Depth=2
	s_delay_alu instid0(SALU_CYCLE_1) | instskip(NEXT) | instid1(VALU_DEP_1)
	s_or_b32 exec_lo, exec_lo, s7
	v_mul_f32_e32 v10, v11, v14
                                        ; implicit-def: $vgpr14
	s_mov_b32 s7, exec_lo
	s_delay_alu instid0(VALU_DEP_1) | instskip(SKIP_1) | instid1(VALU_DEP_2)
	v_and_b32_e32 v38, 0x7f800000, v10
	v_lshrrev_b32_e32 v11, 24, v10
	v_cmpx_ne_u64_e32 0x7f800000, v[38:39]
	s_xor_b32 s10, exec_lo, s7
	s_cbranch_execz .LBB2_2589
; %bb.2576:                             ;   in Loop: Header=BB2_2121 Depth=2
	v_and_b32_e32 v38, 0x7fffffff, v10
	v_and_b32_e32 v47, 0x80, v11
                                        ; implicit-def: $vgpr14
	s_mov_b32 s7, exec_lo
	s_delay_alu instid0(VALU_DEP_2)
	v_cmpx_gt_u64_e32 0x43e00001, v[38:39]
	s_xor_b32 s28, exec_lo, s7
	s_cbranch_execz .LBB2_2586
; %bb.2577:                             ;   in Loop: Header=BB2_2121 Depth=2
	v_mov_b32_e32 v14, 0
	s_mov_b32 s29, exec_lo
	v_cmpx_ne_u32_e32 0, v10
	s_cbranch_execz .LBB2_2585
; %bb.2578:                             ;   in Loop: Header=BB2_2121 Depth=2
	v_bfe_u32 v56, v10, 23, 8
	v_and_b32_e32 v14, 0x7fffff, v10
	s_delay_alu instid0(VALU_DEP_2) | instskip(NEXT) | instid1(VALU_DEP_2)
	v_cmp_gt_u32_e32 vcc_lo, 0x7a, v56
	v_or_b32_e32 v15, 0x800000, v14
	v_sub_nc_u32_e32 v11, 0x79, v56
	s_delay_alu instid0(VALU_DEP_1) | instskip(SKIP_1) | instid1(VALU_DEP_2)
	v_cndmask_b32_e32 v11, 0, v11, vcc_lo
	v_cmp_eq_u32_e32 vcc_lo, 0, v56
	v_cndmask_b32_e64 v57, v11, 0x78, vcc_lo
	s_delay_alu instid0(VALU_DEP_1) | instskip(SKIP_1) | instid1(VALU_DEP_2)
	v_dual_cndmask_b32 v38, v15, v14, vcc_lo :: v_dual_add_nc_u32 v10, 20, v57
	v_add_nc_u32_e32 v58, 19, v57
	v_lshlrev_b64_e64 v[10:11], v10, -1
	s_delay_alu instid0(VALU_DEP_2) | instskip(NEXT) | instid1(VALU_DEP_2)
	v_lshlrev_b64_e64 v[14:15], v58, 1
	v_bfi_b32 v59, v11, 0, 0
	s_delay_alu instid0(VALU_DEP_3) | instskip(SKIP_1) | instid1(VALU_DEP_2)
	v_bfi_b32 v58, v10, 0, v38
	v_lshrrev_b64 v[10:11], v57, v[38:39]
	v_cmp_eq_u64_e64 s7, v[58:59], v[14:15]
	s_delay_alu instid0(VALU_DEP_2)
	v_mov_b64_e32 v[14:15], v[10:11]
	s_and_saveexec_b32 s40, s7
; %bb.2579:                             ;   in Loop: Header=BB2_2121 Depth=2
	v_bfe_u32 v38, v10, 20, 1
	s_delay_alu instid0(VALU_DEP_1) | instskip(NEXT) | instid1(VALU_DEP_1)
	v_add_nc_u64_e32 v[14:15], v[10:11], v[38:39]
	v_add_nc_u64_e32 v[14:15], -1, v[14:15]
; %bb.2580:                             ;   in Loop: Header=BB2_2121 Depth=2
	s_or_b32 exec_lo, exec_lo, s40
	v_add_nc_u32_e32 v11, 0xffffff81, v56
	v_lshrrev_b32_e32 v15, 23, v10
	s_mov_b32 s7, exec_lo
	s_delay_alu instid0(VALU_DEP_2) | instskip(NEXT) | instid1(VALU_DEP_1)
	v_cndmask_b32_e64 v11, v11, 0xffffff82, vcc_lo
	v_add3_u32 v15, v57, v11, v15
	v_and_b32_e32 v11, 0xfffff, v14
                                        ; implicit-def: $vgpr14
	s_delay_alu instid0(VALU_DEP_1) | instskip(NEXT) | instid1(VALU_DEP_1)
	v_dual_add_nc_u32 v56, 6, v15 :: v_dual_add_nc_u32 v38, v11, v10
                                        ; implicit-def: $vgpr10_vgpr11
	v_cmpx_ne_u32_e32 0, v56
	s_xor_b32 s7, exec_lo, s7
; %bb.2581:                             ;   in Loop: Header=BB2_2121 Depth=2
	s_delay_alu instid0(VALU_DEP_2) | instskip(SKIP_1) | instid1(VALU_DEP_1)
	v_cmp_lt_u64_e32 vcc_lo, 0xffffff, v[38:39]
	v_add_nc_u32_e32 v10, 7, v15
	v_cndmask_b32_e32 v14, v56, v10, vcc_lo
	v_cndmask_b32_e64 v10, 0, 1, vcc_lo
	s_delay_alu instid0(VALU_DEP_1)
	v_lshrrev_b64 v[10:11], v10, v[38:39]
; %bb.2582:                             ;   in Loop: Header=BB2_2121 Depth=2
	s_and_not1_saveexec_b32 s7, s7
; %bb.2583:                             ;   in Loop: Header=BB2_2121 Depth=2
	v_mov_b64_e32 v[10:11], v[38:39]
	v_bfe_u32 v14, v38, 23, 1
; %bb.2584:                             ;   in Loop: Header=BB2_2121 Depth=2
	s_or_b32 exec_lo, exec_lo, s7
	s_delay_alu instid0(VALU_DEP_2) | instskip(NEXT) | instid1(VALU_DEP_2)
	v_lshrrev_b64 v[10:11], 20, v[10:11]
	v_cmp_gt_i32_e32 vcc_lo, 16, v14
	v_min_i32_e32 v15, 15, v14
	v_cmp_eq_u32_e64 s7, 0, v14
	s_delay_alu instid0(VALU_DEP_4) | instskip(NEXT) | instid1(VALU_DEP_3)
	v_cndmask_b32_e32 v11, 0, v11, vcc_lo
	v_dual_cndmask_b32 v10, 7, v10 :: v_dual_lshlrev_b32 v15, 3, v15
	s_delay_alu instid0(VALU_DEP_1) | instskip(NEXT) | instid1(VALU_DEP_2)
	v_and_b32_e32 v15, 0xf8, v15
	v_cmp_eq_u64_e32 vcc_lo, 0, v[10:11]
	s_delay_alu instid0(VALU_DEP_2)
	v_and_or_b32 v10, v10, 7, v15
	s_and_b32 s7, s7, vcc_lo
	s_delay_alu instid0(VALU_DEP_1) | instid1(SALU_CYCLE_1)
	v_cndmask_b32_e64 v10, v10, 0, s7
	s_delay_alu instid0(VALU_DEP_1)
	v_or_b32_e32 v14, v10, v47
.LBB2_2585:                             ;   in Loop: Header=BB2_2121 Depth=2
	s_or_b32 exec_lo, exec_lo, s29
                                        ; implicit-def: $vgpr47
.LBB2_2586:                             ;   in Loop: Header=BB2_2121 Depth=2
	s_and_not1_saveexec_b32 s7, s28
; %bb.2587:                             ;   in Loop: Header=BB2_2121 Depth=2
	v_or_b32_e32 v14, 0x7e, v47
; %bb.2588:                             ;   in Loop: Header=BB2_2121 Depth=2
	s_or_b32 exec_lo, exec_lo, s7
                                        ; implicit-def: $vgpr11
.LBB2_2589:                             ;   in Loop: Header=BB2_2121 Depth=2
	s_and_not1_saveexec_b32 s7, s10
; %bb.2590:                             ;   in Loop: Header=BB2_2121 Depth=2
	v_or_b32_e32 v14, 0x7f, v11
; %bb.2591:                             ;   in Loop: Header=BB2_2121 Depth=2
	s_or_b32 exec_lo, exec_lo, s7
	v_mov_b32_e32 v11, 0
	s_mov_b32 s7, exec_lo
	v_cmpx_lt_u64_e64 s[12:13], v[16:17]
	s_cbranch_execz .LBB2_2599
; %bb.2592:                             ;   in Loop: Header=BB2_2121 Depth=2
	v_lshrrev_b32_e32 v10, 24, v17
	v_bfrev_b32_e32 v11, 1
	s_mov_b32 s10, exec_lo
	s_delay_alu instid0(VALU_DEP_2)
	v_cmpx_ne_u32_e32 0x80, v10
	s_cbranch_execz .LBB2_2598
; %bb.2593:                             ;   in Loop: Header=BB2_2121 Depth=2
	v_bfe_u32 v15, v17, 24, 7
	v_mov_b32_e32 v11, 0x7f800001
	s_mov_b32 s28, exec_lo
	s_delay_alu instid0(VALU_DEP_2)
	v_cmpx_ne_u32_e32 0x7f, v15
	s_cbranch_execz .LBB2_2597
; %bb.2594:                             ;   in Loop: Header=BB2_2121 Depth=2
	v_dual_lshrrev_b32 v11, 3, v15 :: v_dual_bitop2_b32 v38, 7, v10 bitop3:0x40
	s_mov_b32 s29, exec_lo
	v_cmpx_gt_u32_e32 8, v15
; %bb.2595:                             ;   in Loop: Header=BB2_2121 Depth=2
	s_delay_alu instid0(VALU_DEP_2) | instskip(NEXT) | instid1(VALU_DEP_1)
	v_clz_i32_u32_e32 v11, v38
	v_min_u32_e32 v11, 32, v11
	s_delay_alu instid0(VALU_DEP_1) | instskip(NEXT) | instid1(VALU_DEP_1)
	v_subrev_nc_u32_e32 v15, 28, v11
	v_lshlrev_b64_e32 v[16:17], v15, v[38:39]
	s_delay_alu instid0(VALU_DEP_1)
	v_dual_sub_nc_u32 v11, 29, v11 :: v_dual_bitop2_b32 v38, 7, v16 bitop3:0x40
; %bb.2596:                             ;   in Loop: Header=BB2_2121 Depth=2
	s_or_b32 exec_lo, exec_lo, s29
	v_lshlrev_b32_e32 v10, 24, v10
	s_delay_alu instid0(VALU_DEP_2) | instskip(NEXT) | instid1(VALU_DEP_3)
	v_lshlrev_b32_e32 v15, 20, v38
	v_lshl_add_u32 v11, v11, 23, 0x3c000000
	s_delay_alu instid0(VALU_DEP_3) | instskip(NEXT) | instid1(VALU_DEP_1)
	v_and_b32_e32 v10, 0x80000000, v10
	v_or3_b32 v11, v15, v10, v11
.LBB2_2597:                             ;   in Loop: Header=BB2_2121 Depth=2
	s_or_b32 exec_lo, exec_lo, s28
.LBB2_2598:                             ;   in Loop: Header=BB2_2121 Depth=2
	s_delay_alu instid0(SALU_CYCLE_1)
	s_or_b32 exec_lo, exec_lo, s10
.LBB2_2599:                             ;   in Loop: Header=BB2_2121 Depth=2
	s_delay_alu instid0(SALU_CYCLE_1) | instskip(SKIP_3) | instid1(VALU_DEP_3)
	s_or_b32 exec_lo, exec_lo, s7
	v_lshrrev_b32_e32 v10, 24, v13
	v_bfe_u32 v15, v13, 24, 7
	v_cmp_gt_u64_e64 s10, s[14:15], v[12:13]
	v_cmp_eq_u32_e64 s7, 0x80, v10
	s_delay_alu instid0(VALU_DEP_3) | instskip(NEXT) | instid1(VALU_DEP_2)
	v_cmp_eq_u32_e32 vcc_lo, 0x7f, v15
	v_cndmask_b32_e64 v16, 0x7f800001, v103, s7
	s_or_b32 s7, s7, vcc_lo
	s_delay_alu instid0(VALU_DEP_1) | instskip(SKIP_1) | instid1(SALU_CYCLE_1)
	v_cndmask_b32_e64 v12, v16, 0, s10
	s_nor_b32 s10, s10, s7
	s_and_saveexec_b32 s7, s10
	s_cbranch_execz .LBB2_2601
; %bb.2600:                             ;   in Loop: Header=BB2_2121 Depth=2
	v_and_b32_e32 v16, 7, v10
	v_cmp_gt_u32_e32 vcc_lo, 8, v15
	s_delay_alu instid0(VALU_DEP_2) | instskip(NEXT) | instid1(VALU_DEP_1)
	v_clz_i32_u32_e32 v12, v16
	v_min_u32_e32 v17, 32, v12
	s_delay_alu instid0(VALU_DEP_1) | instskip(NEXT) | instid1(VALU_DEP_1)
	v_subrev_nc_u32_e32 v12, 28, v17
	v_lshlrev_b64_e32 v[12:13], v12, v[10:11]
	v_dual_lshrrev_b32 v13, 3, v15 :: v_dual_sub_nc_u32 v17, 29, v17
	s_delay_alu instid0(VALU_DEP_2) | instskip(NEXT) | instid1(VALU_DEP_1)
	v_dual_lshlrev_b32 v10, 24, v10 :: v_dual_bitop2_b32 v12, 7, v12 bitop3:0x40
	v_dual_cndmask_b32 v13, v13, v17 :: v_dual_cndmask_b32 v12, v16, v12
	s_delay_alu instid0(VALU_DEP_2) | instskip(NEXT) | instid1(VALU_DEP_2)
	v_and_b32_e32 v10, 0x80000000, v10
	v_lshl_add_u32 v13, v13, 23, 0x3c000000
	s_delay_alu instid0(VALU_DEP_3) | instskip(NEXT) | instid1(VALU_DEP_1)
	v_lshlrev_b32_e32 v12, 20, v12
	v_or3_b32 v12, v12, v10, v13
.LBB2_2601:                             ;   in Loop: Header=BB2_2121 Depth=2
	s_or_b32 exec_lo, exec_lo, s7
	s_delay_alu instid0(VALU_DEP_1) | instskip(SKIP_1) | instid1(VALU_DEP_1)
	v_mul_f32_e32 v11, v11, v12
                                        ; implicit-def: $vgpr10
	s_mov_b32 s7, exec_lo
	v_and_b32_e32 v38, 0x7f800000, v11
	v_lshrrev_b32_e32 v12, 24, v11
	s_delay_alu instid0(VALU_DEP_2)
	v_cmpx_ne_u64_e32 0x7f800000, v[38:39]
	s_xor_b32 s10, exec_lo, s7
	s_cbranch_execz .LBB2_2615
; %bb.2602:                             ;   in Loop: Header=BB2_2121 Depth=2
	v_and_b32_e32 v38, 0x7fffffff, v11
	v_and_b32_e32 v15, 0x80, v12
                                        ; implicit-def: $vgpr10
	s_mov_b32 s7, exec_lo
	s_delay_alu instid0(VALU_DEP_2)
	v_cmpx_gt_u64_e32 0x43e00001, v[38:39]
	s_xor_b32 s28, exec_lo, s7
	s_cbranch_execz .LBB2_2612
; %bb.2603:                             ;   in Loop: Header=BB2_2121 Depth=2
	v_mov_b32_e32 v10, 0
	s_mov_b32 s29, exec_lo
	v_cmpx_ne_u32_e32 0, v11
	s_cbranch_execz .LBB2_2611
; %bb.2604:                             ;   in Loop: Header=BB2_2121 Depth=2
	v_bfe_u32 v16, v11, 23, 8
	v_and_b32_e32 v12, 0x7fffff, v11
	s_delay_alu instid0(VALU_DEP_2) | instskip(SKIP_1) | instid1(VALU_DEP_3)
	v_sub_nc_u32_e32 v10, 0x79, v16
	v_cmp_gt_u32_e32 vcc_lo, 0x7a, v16
	v_or_b32_e32 v13, 0x800000, v12
	s_delay_alu instid0(VALU_DEP_3) | instskip(SKIP_1) | instid1(VALU_DEP_2)
	v_cndmask_b32_e32 v10, 0, v10, vcc_lo
	v_cmp_eq_u32_e32 vcc_lo, 0, v16
	v_cndmask_b32_e64 v17, v10, 0x78, vcc_lo
	s_delay_alu instid0(VALU_DEP_1) | instskip(SKIP_1) | instid1(VALU_DEP_2)
	v_dual_cndmask_b32 v38, v13, v12, vcc_lo :: v_dual_add_nc_u32 v10, 20, v17
	v_add_nc_u32_e32 v47, 19, v17
	v_lshlrev_b64_e64 v[10:11], v10, -1
	s_delay_alu instid0(VALU_DEP_2) | instskip(NEXT) | instid1(VALU_DEP_2)
	v_lshlrev_b64_e64 v[12:13], v47, 1
	v_bfi_b32 v57, v11, 0, 0
	s_delay_alu instid0(VALU_DEP_3) | instskip(SKIP_1) | instid1(VALU_DEP_2)
	v_bfi_b32 v56, v10, 0, v38
	v_lshrrev_b64 v[10:11], v17, v[38:39]
	v_cmp_eq_u64_e64 s7, v[56:57], v[12:13]
	s_delay_alu instid0(VALU_DEP_2)
	v_mov_b64_e32 v[12:13], v[10:11]
	s_and_saveexec_b32 s40, s7
; %bb.2605:                             ;   in Loop: Header=BB2_2121 Depth=2
	v_bfe_u32 v38, v10, 20, 1
	s_delay_alu instid0(VALU_DEP_1) | instskip(NEXT) | instid1(VALU_DEP_1)
	v_add_nc_u64_e32 v[12:13], v[10:11], v[38:39]
	v_add_nc_u64_e32 v[12:13], -1, v[12:13]
; %bb.2606:                             ;   in Loop: Header=BB2_2121 Depth=2
	s_or_b32 exec_lo, exec_lo, s40
	v_add_nc_u32_e32 v11, 0xffffff81, v16
	v_lshrrev_b32_e32 v13, 23, v10
	s_mov_b32 s7, exec_lo
	s_delay_alu instid0(VALU_DEP_2) | instskip(NEXT) | instid1(VALU_DEP_1)
	v_cndmask_b32_e64 v11, v11, 0xffffff82, vcc_lo
	v_add3_u32 v13, v17, v11, v13
	v_and_b32_e32 v11, 0xfffff, v12
                                        ; implicit-def: $vgpr12
	s_delay_alu instid0(VALU_DEP_1) | instskip(NEXT) | instid1(VALU_DEP_1)
	v_dual_add_nc_u32 v16, 6, v13 :: v_dual_add_nc_u32 v38, v11, v10
                                        ; implicit-def: $vgpr10_vgpr11
	v_cmpx_ne_u32_e32 0, v16
	s_xor_b32 s7, exec_lo, s7
; %bb.2607:                             ;   in Loop: Header=BB2_2121 Depth=2
	s_delay_alu instid0(VALU_DEP_2) | instskip(SKIP_1) | instid1(VALU_DEP_1)
	v_cmp_lt_u64_e32 vcc_lo, 0xffffff, v[38:39]
	v_add_nc_u32_e32 v10, 7, v13
	v_cndmask_b32_e32 v12, v16, v10, vcc_lo
	v_cndmask_b32_e64 v10, 0, 1, vcc_lo
	s_delay_alu instid0(VALU_DEP_1)
	v_lshrrev_b64 v[10:11], v10, v[38:39]
; %bb.2608:                             ;   in Loop: Header=BB2_2121 Depth=2
	s_and_not1_saveexec_b32 s7, s7
; %bb.2609:                             ;   in Loop: Header=BB2_2121 Depth=2
	v_mov_b64_e32 v[10:11], v[38:39]
	v_bfe_u32 v12, v38, 23, 1
; %bb.2610:                             ;   in Loop: Header=BB2_2121 Depth=2
	s_or_b32 exec_lo, exec_lo, s7
	s_delay_alu instid0(VALU_DEP_2) | instskip(NEXT) | instid1(VALU_DEP_2)
	v_lshrrev_b64 v[10:11], 20, v[10:11]
	v_cmp_gt_i32_e32 vcc_lo, 16, v12
	v_min_i32_e32 v13, 15, v12
	v_cmp_eq_u32_e64 s7, 0, v12
	s_delay_alu instid0(VALU_DEP_2) | instskip(SKIP_1) | instid1(VALU_DEP_2)
	v_dual_cndmask_b32 v11, 0, v11, vcc_lo :: v_dual_lshlrev_b32 v13, 3, v13
	v_cndmask_b32_e32 v10, 7, v10, vcc_lo
	v_and_b32_e32 v13, 0xf8, v13
	s_delay_alu instid0(VALU_DEP_2) | instskip(NEXT) | instid1(VALU_DEP_2)
	v_cmp_eq_u64_e32 vcc_lo, 0, v[10:11]
	v_and_or_b32 v10, v10, 7, v13
	s_and_b32 s7, s7, vcc_lo
	s_delay_alu instid0(VALU_DEP_1) | instid1(SALU_CYCLE_1)
	v_cndmask_b32_e64 v10, v10, 0, s7
	s_delay_alu instid0(VALU_DEP_1)
	v_or_b32_e32 v10, v10, v15
.LBB2_2611:                             ;   in Loop: Header=BB2_2121 Depth=2
	s_or_b32 exec_lo, exec_lo, s29
                                        ; implicit-def: $vgpr15
.LBB2_2612:                             ;   in Loop: Header=BB2_2121 Depth=2
	s_and_not1_saveexec_b32 s7, s28
; %bb.2613:                             ;   in Loop: Header=BB2_2121 Depth=2
	v_or_b32_e32 v10, 0x7e, v15
; %bb.2614:                             ;   in Loop: Header=BB2_2121 Depth=2
	s_or_b32 exec_lo, exec_lo, s7
                                        ; implicit-def: $vgpr12
.LBB2_2615:                             ;   in Loop: Header=BB2_2121 Depth=2
	s_and_not1_saveexec_b32 s7, s10
	s_cbranch_execz .LBB2_2120
; %bb.2616:                             ;   in Loop: Header=BB2_2121 Depth=2
	v_or_b32_e32 v10, 0x7f, v12
	s_branch .LBB2_2120
.LBB2_2617:                             ;   in Loop: Header=BB2_1545 Depth=1
	s_or_b32 exec_lo, exec_lo, s27
.LBB2_2618:                             ;   in Loop: Header=BB2_1545 Depth=1
	s_delay_alu instid0(SALU_CYCLE_1) | instskip(SKIP_3) | instid1(VALU_DEP_1)
	s_or_b32 exec_lo, exec_lo, s26
	v_cmp_lt_i32_e32 vcc_lo, 0, v118
	s_mov_b32 s26, exec_lo
	v_cndmask_b32_e32 v10, 0, v36, vcc_lo
	v_sub_nc_u32_e32 v10, v10, v118
	s_delay_alu instid0(VALU_DEP_1)
	v_lshl_add_u32 v30, v10, 5, v117
.LBB2_2619:                             ;   in Loop: Header=BB2_1545 Depth=1
	s_or_b32 exec_lo, exec_lo, s11
	s_and_saveexec_b32 s10, s26
	s_cbranch_execz .LBB2_2952
.LBB2_2620:                             ;   in Loop: Header=BB2_1545 Depth=1
	s_delay_alu instid0(VALU_DEP_1) | instskip(SKIP_1) | instid1(VALU_DEP_1)
	v_dual_ashrrev_i32 v10, 31, v30 :: v_dual_lshrrev_b32 v11, 8, v116
	s_mov_b32 s11, exec_lo
	v_lshrrev_b32_e32 v10, 27, v10
	s_delay_alu instid0(VALU_DEP_1) | instskip(NEXT) | instid1(VALU_DEP_1)
	v_add_nc_u32_e32 v10, v30, v10
	v_ashrrev_i32_e32 v80, 5, v10
	s_delay_alu instid0(VALU_DEP_1) | instskip(NEXT) | instid1(VALU_DEP_1)
	v_sub_nc_u32_e32 v81, v11, v80
	v_cmpx_lt_i32_e32 0, v81
	s_cbranch_execz .LBB2_2912
; %bb.2621:                             ;   in Loop: Header=BB2_1545 Depth=1
	v_and_b32_e32 v10, 0xffffffe0, v10
	s_trap 2
	ds_load_b64 v[12:13], v0
	v_lshlrev_b32_e32 v11, 8, v80
	v_add_nc_u64_e32 v[16:17], 0xe0, v[70:71]
	v_sub_nc_u32_e32 v10, v30, v10
	s_mov_b32 s26, 0
	s_delay_alu instid0(VALU_DEP_1) | instskip(NEXT) | instid1(VALU_DEP_1)
	v_add3_u32 v14, v115, v10, v11
	v_ashrrev_i32_e32 v15, 31, v14
	s_delay_alu instid0(VALU_DEP_1)
	v_add_nc_u64_e32 v[10:11], v[14:15], v[68:69]
	s_wait_dscnt 0x0
	v_add_nc_u64_e32 v[12:13], v[12:13], v[14:15]
	v_add_nc_u64_e32 v[14:15], v[16:17], v[14:15]
	s_branch .LBB2_2623
.LBB2_2622:                             ;   in Loop: Header=BB2_2623 Depth=2
	s_or_b32 exec_lo, exec_lo, s7
	v_sub_nc_u32_e32 v81, v81, v36
	s_clause 0x7
	flat_store_b8 v[14:15], v71 offset:-224 th:TH_STORE_NT
	flat_store_b8 v[14:15], v84 offset:-192 th:TH_STORE_NT
	;; [unrolled: 1-line block ×7, first 2 shown]
	flat_store_b8 v[14:15], v17 th:TH_STORE_NT
	v_add_nc_u64_e32 v[10:11], v[10:11], v[52:53]
	v_add_nc_u64_e32 v[12:13], v[12:13], v[52:53]
	s_wait_xcnt 0x0
	v_add_nc_u64_e32 v[14:15], v[14:15], v[52:53]
	v_cmp_gt_i32_e32 vcc_lo, 1, v81
	s_or_b32 s26, vcc_lo, s26
	s_delay_alu instid0(SALU_CYCLE_1)
	s_and_not1_b32 exec_lo, exec_lo, s26
	s_cbranch_execz .LBB2_2911
.LBB2_2623:                             ;   Parent Loop BB2_1545 Depth=1
                                        ; =>  This Inner Loop Header: Depth=2
	s_clause 0x7
	flat_load_u8 v69, v[10:11] th:TH_LOAD_NT
	flat_load_u8 v119, v[10:11] offset:32 th:TH_LOAD_NT
	flat_load_u8 v118, v[10:11] offset:64 th:TH_LOAD_NT
	;; [unrolled: 1-line block ×7, first 2 shown]
	s_clause 0x7
	flat_load_u8 v16, v[12:13] th:TH_LOAD_NT
	flat_load_u8 v84, v[12:13] offset:32 th:TH_LOAD_NT
	flat_load_u8 v87, v[12:13] offset:64 th:TH_LOAD_NT
	;; [unrolled: 1-line block ×7, first 2 shown]
	v_dual_mov_b32 v17, 0 :: v_dual_mov_b32 v68, 0
	s_mov_b32 s7, exec_lo
	s_wait_loadcnt_dscnt 0xf0f
	s_wait_xcnt 0x0
	v_cmpx_ne_u16_e32 0, v69
	s_cbranch_execz .LBB2_2631
; %bb.2624:                             ;   in Loop: Header=BB2_2623 Depth=2
	v_bfrev_b32_e32 v68, 1
	s_mov_b32 s27, exec_lo
	v_cmpx_ne_u16_e32 0x80, v69
	s_cbranch_execz .LBB2_2630
; %bb.2625:                             ;   in Loop: Header=BB2_2623 Depth=2
	v_and_b32_e32 v38, 0xffff, v69
	v_mov_b32_e32 v68, 0x7f800001
	s_mov_b32 s28, exec_lo
	s_delay_alu instid0(VALU_DEP_2) | instskip(NEXT) | instid1(VALU_DEP_1)
	v_and_b32_e32 v71, 0x7f, v38
	v_cmpx_ne_u32_e32 0x7f, v71
	s_cbranch_execz .LBB2_2629
; %bb.2626:                             ;   in Loop: Header=BB2_2623 Depth=2
	v_dual_lshrrev_b32 v68, 3, v71 :: v_dual_bitop2_b32 v38, 7, v38 bitop3:0x40
	s_mov_b32 s29, exec_lo
	v_cmpx_gt_u32_e32 8, v71
; %bb.2627:                             ;   in Loop: Header=BB2_2623 Depth=2
	s_delay_alu instid0(VALU_DEP_2) | instskip(NEXT) | instid1(VALU_DEP_1)
	v_clz_i32_u32_e32 v68, v38
	v_min_u32_e32 v68, 32, v68
	s_delay_alu instid0(VALU_DEP_1) | instskip(SKIP_1) | instid1(VALU_DEP_2)
	v_subrev_nc_u32_e32 v71, 28, v68
	v_sub_nc_u32_e32 v68, 29, v68
	v_lshlrev_b64_e32 v[40:41], v71, v[38:39]
	s_delay_alu instid0(VALU_DEP_1)
	v_and_b32_e32 v38, 7, v40
; %bb.2628:                             ;   in Loop: Header=BB2_2623 Depth=2
	s_or_b32 exec_lo, exec_lo, s29
	s_delay_alu instid0(VALU_DEP_1) | instskip(SKIP_1) | instid1(VALU_DEP_2)
	v_dual_lshlrev_b32 v69, 24, v69 :: v_dual_lshlrev_b32 v38, 20, v38
	v_lshl_add_u32 v68, v68, 23, 0x3c000000
	v_and_b32_e32 v69, 0x80000000, v69
	s_delay_alu instid0(VALU_DEP_1)
	v_or3_b32 v68, v38, v69, v68
.LBB2_2629:                             ;   in Loop: Header=BB2_2623 Depth=2
	s_or_b32 exec_lo, exec_lo, s28
.LBB2_2630:                             ;   in Loop: Header=BB2_2623 Depth=2
	s_delay_alu instid0(SALU_CYCLE_1)
	s_or_b32 exec_lo, exec_lo, s27
.LBB2_2631:                             ;   in Loop: Header=BB2_2623 Depth=2
	s_delay_alu instid0(SALU_CYCLE_1) | instskip(SKIP_3) | instid1(VALU_DEP_1)
	s_or_b32 exec_lo, exec_lo, s7
	s_wait_loadcnt_dscnt 0x707
	v_and_b32_e32 v38, 0xff, v16
	s_mov_b32 s7, exec_lo
	v_cmpx_ne_u16_e32 0, v38
	s_cbranch_execz .LBB2_2639
; %bb.2632:                             ;   in Loop: Header=BB2_2623 Depth=2
	v_bfrev_b32_e32 v17, 1
	s_mov_b32 s27, exec_lo
	v_cmpx_ne_u16_e32 0x80, v38
	s_cbranch_execz .LBB2_2638
; %bb.2633:                             ;   in Loop: Header=BB2_2623 Depth=2
	v_and_b32_e32 v69, 0x7f, v16
	v_mov_b32_e32 v17, 0x7f800001
	s_mov_b32 s28, exec_lo
	s_delay_alu instid0(VALU_DEP_2)
	v_cmpx_ne_u32_e32 0x7f, v69
	s_cbranch_execz .LBB2_2637
; %bb.2634:                             ;   in Loop: Header=BB2_2623 Depth=2
	v_dual_lshrrev_b32 v17, 3, v69 :: v_dual_bitop2_b32 v38, 7, v38 bitop3:0x40
	s_mov_b32 s29, exec_lo
	v_cmpx_gt_u32_e32 8, v69
; %bb.2635:                             ;   in Loop: Header=BB2_2623 Depth=2
	s_delay_alu instid0(VALU_DEP_2) | instskip(NEXT) | instid1(VALU_DEP_1)
	v_clz_i32_u32_e32 v17, v38
	v_min_u32_e32 v17, 32, v17
	s_delay_alu instid0(VALU_DEP_1) | instskip(NEXT) | instid1(VALU_DEP_1)
	v_subrev_nc_u32_e32 v69, 28, v17
	v_lshlrev_b64_e32 v[40:41], v69, v[38:39]
	s_delay_alu instid0(VALU_DEP_1)
	v_dual_sub_nc_u32 v17, 29, v17 :: v_dual_bitop2_b32 v38, 7, v40 bitop3:0x40
; %bb.2636:                             ;   in Loop: Header=BB2_2623 Depth=2
	s_or_b32 exec_lo, exec_lo, s29
	s_delay_alu instid0(VALU_DEP_1) | instskip(NEXT) | instid1(VALU_DEP_2)
	v_dual_lshlrev_b32 v16, 24, v16 :: v_dual_lshlrev_b32 v38, 20, v38
	v_lshl_add_u32 v17, v17, 23, 0x3c000000
	s_delay_alu instid0(VALU_DEP_2) | instskip(NEXT) | instid1(VALU_DEP_1)
	v_and_b32_e32 v16, 0x80000000, v16
	v_or3_b32 v17, v38, v16, v17
.LBB2_2637:                             ;   in Loop: Header=BB2_2623 Depth=2
	s_or_b32 exec_lo, exec_lo, s28
.LBB2_2638:                             ;   in Loop: Header=BB2_2623 Depth=2
	s_delay_alu instid0(SALU_CYCLE_1)
	s_or_b32 exec_lo, exec_lo, s27
.LBB2_2639:                             ;   in Loop: Header=BB2_2623 Depth=2
	s_delay_alu instid0(SALU_CYCLE_1) | instskip(NEXT) | instid1(VALU_DEP_1)
	s_or_b32 exec_lo, exec_lo, s7
	v_mul_f32_e32 v16, v68, v17
                                        ; implicit-def: $vgpr71
	s_mov_b32 s7, exec_lo
	s_delay_alu instid0(VALU_DEP_1) | instskip(SKIP_1) | instid1(VALU_DEP_2)
	v_and_b32_e32 v38, 0x7f800000, v16
	v_lshrrev_b32_e32 v17, 24, v16
	v_cmpx_ne_u64_e32 0x7f800000, v[38:39]
	s_xor_b32 s27, exec_lo, s7
	s_cbranch_execz .LBB2_2657
; %bb.2640:                             ;   in Loop: Header=BB2_2623 Depth=2
	v_and_b32_e32 v38, 0x7fffffff, v16
	v_and_b32_e32 v40, 0x80, v17
                                        ; implicit-def: $vgpr71
	s_mov_b32 s7, exec_lo
	s_delay_alu instid0(VALU_DEP_2)
	v_cmpx_gt_u64_e32 0x43e00001, v[38:39]
	s_xor_b32 s28, exec_lo, s7
	s_cbranch_execz .LBB2_2654
; %bb.2641:                             ;   in Loop: Header=BB2_2623 Depth=2
	v_mov_b32_e32 v71, 0
	s_mov_b32 s29, exec_lo
	v_cmpx_ne_u32_e32 0, v16
	s_cbranch_execz .LBB2_2653
; %bb.2642:                             ;   in Loop: Header=BB2_2623 Depth=2
	v_bfe_u32 v71, v16, 23, 8
	v_and_b32_e32 v38, 0x7fffff, v16
	s_delay_alu instid0(VALU_DEP_2) | instskip(NEXT) | instid1(VALU_DEP_2)
	v_cmp_gt_u32_e32 vcc_lo, 0x7a, v71
	v_or_b32_e32 v68, 0x800000, v38
	v_sub_nc_u32_e32 v17, 0x79, v71
	s_delay_alu instid0(VALU_DEP_1) | instskip(SKIP_1) | instid1(VALU_DEP_2)
	v_cndmask_b32_e32 v17, 0, v17, vcc_lo
	v_cmp_eq_u32_e32 vcc_lo, 0, v71
	v_cndmask_b32_e64 v41, v17, 0x78, vcc_lo
	s_delay_alu instid0(VALU_DEP_1) | instskip(SKIP_1) | instid1(VALU_DEP_2)
	v_dual_cndmask_b32 v38, v68, v38, vcc_lo :: v_dual_add_nc_u32 v16, 20, v41
	v_add_nc_u32_e32 v69, 19, v41
	v_lshlrev_b64_e64 v[16:17], v16, -1
	s_delay_alu instid0(VALU_DEP_2) | instskip(NEXT) | instid1(VALU_DEP_2)
	v_lshlrev_b64_e64 v[68:69], v69, 1
	v_bfi_b32 v43, v17, 0, 0
	s_delay_alu instid0(VALU_DEP_3) | instskip(SKIP_1) | instid1(VALU_DEP_2)
	v_bfi_b32 v42, v16, 0, v38
	v_lshrrev_b64 v[16:17], v41, v[38:39]
	v_cmp_eq_u64_e64 s7, v[42:43], v[68:69]
	s_delay_alu instid0(VALU_DEP_2)
	v_mov_b64_e32 v[68:69], v[16:17]
	s_and_saveexec_b32 s40, s7
; %bb.2643:                             ;   in Loop: Header=BB2_2623 Depth=2
	v_bfe_u32 v38, v16, 20, 1
	s_delay_alu instid0(VALU_DEP_1) | instskip(NEXT) | instid1(VALU_DEP_1)
	v_add_nc_u64_e32 v[68:69], v[16:17], v[38:39]
	v_add_nc_u64_e32 v[68:69], -1, v[68:69]
; %bb.2644:                             ;   in Loop: Header=BB2_2623 Depth=2
	s_or_b32 exec_lo, exec_lo, s40
	v_add_nc_u32_e32 v17, 0xffffff81, v71
	v_lshrrev_b32_e32 v38, 23, v16
	s_mov_b32 s7, exec_lo
	s_delay_alu instid0(VALU_DEP_2) | instskip(NEXT) | instid1(VALU_DEP_1)
	v_cndmask_b32_e64 v17, v17, 0xffffff82, vcc_lo
	v_add3_u32 v69, v41, v17, v38
	v_and_b32_e32 v17, 0xfffff, v68
                                        ; implicit-def: $vgpr68
	s_delay_alu instid0(VALU_DEP_1) | instskip(NEXT) | instid1(VALU_DEP_1)
	v_dual_add_nc_u32 v71, 6, v69 :: v_dual_add_nc_u32 v38, v17, v16
                                        ; implicit-def: $vgpr16_vgpr17
	v_cmpx_ne_u32_e32 0, v71
	s_xor_b32 s7, exec_lo, s7
; %bb.2645:                             ;   in Loop: Header=BB2_2623 Depth=2
	s_delay_alu instid0(VALU_DEP_2) | instskip(SKIP_1) | instid1(VALU_DEP_1)
	v_cmp_lt_u64_e32 vcc_lo, 0xffffff, v[38:39]
	v_add_nc_u32_e32 v16, 7, v69
	v_cndmask_b32_e32 v68, v71, v16, vcc_lo
	v_cndmask_b32_e64 v16, 0, 1, vcc_lo
	s_delay_alu instid0(VALU_DEP_1)
	v_lshrrev_b64 v[16:17], v16, v[38:39]
; %bb.2646:                             ;   in Loop: Header=BB2_2623 Depth=2
	s_and_not1_saveexec_b32 s7, s7
; %bb.2647:                             ;   in Loop: Header=BB2_2623 Depth=2
	v_mov_b64_e32 v[16:17], v[38:39]
	v_bfe_u32 v68, v38, 23, 1
; %bb.2648:                             ;   in Loop: Header=BB2_2623 Depth=2
	s_or_b32 exec_lo, exec_lo, s7
	s_delay_alu instid0(VALU_DEP_2) | instskip(NEXT) | instid1(VALU_DEP_2)
	v_lshrrev_b64 v[16:17], 20, v[16:17]
	v_cmp_gt_i32_e32 vcc_lo, 16, v68
	v_cmp_ne_u32_e64 s7, 0, v68
                                        ; implicit-def: $vgpr71
	s_delay_alu instid0(VALU_DEP_3) | instskip(NEXT) | instid1(VALU_DEP_1)
	v_dual_cndmask_b32 v17, 0, v17 :: v_dual_cndmask_b32 v16, 7, v16
	v_cmp_ne_u64_e32 vcc_lo, 0, v[16:17]
	s_or_b32 s7, s7, vcc_lo
	s_delay_alu instid0(SALU_CYCLE_1) | instskip(NEXT) | instid1(SALU_CYCLE_1)
	s_and_saveexec_b32 s40, s7
	s_xor_b32 s7, exec_lo, s40
; %bb.2649:                             ;   in Loop: Header=BB2_2623 Depth=2
	v_min_i32_e32 v17, 15, v68
	s_delay_alu instid0(VALU_DEP_1) | instskip(NEXT) | instid1(VALU_DEP_1)
	v_lshl_or_b32 v17, v17, 3, v40
                                        ; implicit-def: $vgpr40
	v_and_or_b32 v71, v16, 7, v17
; %bb.2650:                             ;   in Loop: Header=BB2_2623 Depth=2
	s_and_not1_saveexec_b32 s7, s7
; %bb.2651:                             ;   in Loop: Header=BB2_2623 Depth=2
	v_mov_b32_e32 v71, v40
; %bb.2652:                             ;   in Loop: Header=BB2_2623 Depth=2
	s_or_b32 exec_lo, exec_lo, s7
.LBB2_2653:                             ;   in Loop: Header=BB2_2623 Depth=2
	s_delay_alu instid0(SALU_CYCLE_1)
	s_or_b32 exec_lo, exec_lo, s29
                                        ; implicit-def: $vgpr40
.LBB2_2654:                             ;   in Loop: Header=BB2_2623 Depth=2
	s_and_not1_saveexec_b32 s7, s28
; %bb.2655:                             ;   in Loop: Header=BB2_2623 Depth=2
	v_or_b32_e32 v71, 0x7e, v40
; %bb.2656:                             ;   in Loop: Header=BB2_2623 Depth=2
	s_or_b32 exec_lo, exec_lo, s7
                                        ; implicit-def: $vgpr17
.LBB2_2657:                             ;   in Loop: Header=BB2_2623 Depth=2
	s_and_not1_saveexec_b32 s7, s27
; %bb.2658:                             ;   in Loop: Header=BB2_2623 Depth=2
	v_or_b32_e32 v71, 0x7f, v17
; %bb.2659:                             ;   in Loop: Header=BB2_2623 Depth=2
	s_or_b32 exec_lo, exec_lo, s7
	v_and_b32_e32 v38, 0xff, v119
	v_dual_mov_b32 v16, 0 :: v_dual_mov_b32 v17, 0
	s_mov_b32 s7, exec_lo
	s_delay_alu instid0(VALU_DEP_2)
	v_cmpx_ne_u16_e32 0, v38
	s_cbranch_execz .LBB2_2667
; %bb.2660:                             ;   in Loop: Header=BB2_2623 Depth=2
	v_bfrev_b32_e32 v17, 1
	s_mov_b32 s27, exec_lo
	v_cmpx_ne_u16_e32 0x80, v38
	s_cbranch_execz .LBB2_2666
; %bb.2661:                             ;   in Loop: Header=BB2_2623 Depth=2
	v_and_b32_e32 v68, 0x7f, v119
	v_mov_b32_e32 v17, 0x7f800001
	s_mov_b32 s28, exec_lo
	s_delay_alu instid0(VALU_DEP_2)
	v_cmpx_ne_u32_e32 0x7f, v68
	s_cbranch_execz .LBB2_2665
; %bb.2662:                             ;   in Loop: Header=BB2_2623 Depth=2
	v_dual_lshrrev_b32 v17, 3, v68 :: v_dual_bitop2_b32 v38, 7, v38 bitop3:0x40
	s_mov_b32 s29, exec_lo
	v_cmpx_gt_u32_e32 8, v68
; %bb.2663:                             ;   in Loop: Header=BB2_2623 Depth=2
	s_delay_alu instid0(VALU_DEP_2) | instskip(NEXT) | instid1(VALU_DEP_1)
	v_clz_i32_u32_e32 v17, v38
	v_min_u32_e32 v17, 32, v17
	s_delay_alu instid0(VALU_DEP_1) | instskip(NEXT) | instid1(VALU_DEP_1)
	v_subrev_nc_u32_e32 v68, 28, v17
	v_lshlrev_b64_e32 v[68:69], v68, v[38:39]
	s_delay_alu instid0(VALU_DEP_1)
	v_dual_sub_nc_u32 v17, 29, v17 :: v_dual_bitop2_b32 v38, 7, v68 bitop3:0x40
; %bb.2664:                             ;   in Loop: Header=BB2_2623 Depth=2
	s_or_b32 exec_lo, exec_lo, s29
	s_delay_alu instid0(VALU_DEP_1) | instskip(NEXT) | instid1(VALU_DEP_2)
	v_dual_lshlrev_b32 v68, 24, v119 :: v_dual_lshlrev_b32 v38, 20, v38
	v_lshl_add_u32 v17, v17, 23, 0x3c000000
	s_delay_alu instid0(VALU_DEP_2) | instskip(NEXT) | instid1(VALU_DEP_1)
	v_and_b32_e32 v68, 0x80000000, v68
	v_or3_b32 v17, v38, v68, v17
.LBB2_2665:                             ;   in Loop: Header=BB2_2623 Depth=2
	s_or_b32 exec_lo, exec_lo, s28
.LBB2_2666:                             ;   in Loop: Header=BB2_2623 Depth=2
	s_delay_alu instid0(SALU_CYCLE_1)
	s_or_b32 exec_lo, exec_lo, s27
.LBB2_2667:                             ;   in Loop: Header=BB2_2623 Depth=2
	s_delay_alu instid0(SALU_CYCLE_1) | instskip(SKIP_3) | instid1(VALU_DEP_1)
	s_or_b32 exec_lo, exec_lo, s7
	s_wait_loadcnt_dscnt 0x606
	v_and_b32_e32 v38, 0xff, v84
	s_mov_b32 s7, exec_lo
	v_cmpx_ne_u16_e32 0, v38
	s_cbranch_execz .LBB2_2675
; %bb.2668:                             ;   in Loop: Header=BB2_2623 Depth=2
	v_bfrev_b32_e32 v16, 1
	s_mov_b32 s27, exec_lo
	v_cmpx_ne_u16_e32 0x80, v38
	s_cbranch_execz .LBB2_2674
; %bb.2669:                             ;   in Loop: Header=BB2_2623 Depth=2
	v_and_b32_e32 v68, 0x7f, v84
	v_mov_b32_e32 v16, 0x7f800001
	s_mov_b32 s28, exec_lo
	s_delay_alu instid0(VALU_DEP_2)
	v_cmpx_ne_u32_e32 0x7f, v68
	s_cbranch_execz .LBB2_2673
; %bb.2670:                             ;   in Loop: Header=BB2_2623 Depth=2
	v_dual_lshrrev_b32 v16, 3, v68 :: v_dual_bitop2_b32 v38, 7, v38 bitop3:0x40
	s_mov_b32 s29, exec_lo
	v_cmpx_gt_u32_e32 8, v68
; %bb.2671:                             ;   in Loop: Header=BB2_2623 Depth=2
	s_delay_alu instid0(VALU_DEP_2) | instskip(NEXT) | instid1(VALU_DEP_1)
	v_clz_i32_u32_e32 v16, v38
	v_min_u32_e32 v16, 32, v16
	s_delay_alu instid0(VALU_DEP_1) | instskip(SKIP_1) | instid1(VALU_DEP_2)
	v_subrev_nc_u32_e32 v68, 28, v16
	v_sub_nc_u32_e32 v16, 29, v16
	v_lshlrev_b64_e32 v[68:69], v68, v[38:39]
	s_delay_alu instid0(VALU_DEP_1)
	v_and_b32_e32 v38, 7, v68
; %bb.2672:                             ;   in Loop: Header=BB2_2623 Depth=2
	s_or_b32 exec_lo, exec_lo, s29
	s_delay_alu instid0(VALU_DEP_1) | instskip(SKIP_1) | instid1(VALU_DEP_2)
	v_dual_lshlrev_b32 v68, 24, v84 :: v_dual_lshlrev_b32 v38, 20, v38
	v_lshl_add_u32 v16, v16, 23, 0x3c000000
	v_and_b32_e32 v68, 0x80000000, v68
	s_delay_alu instid0(VALU_DEP_1)
	v_or3_b32 v16, v38, v68, v16
.LBB2_2673:                             ;   in Loop: Header=BB2_2623 Depth=2
	s_or_b32 exec_lo, exec_lo, s28
.LBB2_2674:                             ;   in Loop: Header=BB2_2623 Depth=2
	s_delay_alu instid0(SALU_CYCLE_1)
	s_or_b32 exec_lo, exec_lo, s27
.LBB2_2675:                             ;   in Loop: Header=BB2_2623 Depth=2
	s_delay_alu instid0(SALU_CYCLE_1) | instskip(NEXT) | instid1(VALU_DEP_1)
	s_or_b32 exec_lo, exec_lo, s7
	v_mul_f32_e32 v16, v17, v16
                                        ; implicit-def: $vgpr84
	s_mov_b32 s7, exec_lo
	s_delay_alu instid0(VALU_DEP_1) | instskip(SKIP_1) | instid1(VALU_DEP_2)
	v_and_b32_e32 v38, 0x7f800000, v16
	v_lshrrev_b32_e32 v17, 24, v16
	v_cmpx_ne_u64_e32 0x7f800000, v[38:39]
	s_xor_b32 s27, exec_lo, s7
	s_cbranch_execz .LBB2_2693
; %bb.2676:                             ;   in Loop: Header=BB2_2623 Depth=2
	v_and_b32_e32 v38, 0x7fffffff, v16
	v_and_b32_e32 v119, 0x80, v17
                                        ; implicit-def: $vgpr84
	s_mov_b32 s7, exec_lo
	s_delay_alu instid0(VALU_DEP_2)
	v_cmpx_gt_u64_e32 0x43e00001, v[38:39]
	s_xor_b32 s28, exec_lo, s7
	s_cbranch_execz .LBB2_2690
; %bb.2677:                             ;   in Loop: Header=BB2_2623 Depth=2
	v_mov_b32_e32 v84, 0
	s_mov_b32 s29, exec_lo
	v_cmpx_ne_u32_e32 0, v16
	s_cbranch_execz .LBB2_2689
; %bb.2678:                             ;   in Loop: Header=BB2_2623 Depth=2
	v_bfe_u32 v84, v16, 23, 8
	v_and_b32_e32 v38, 0x7fffff, v16
	s_delay_alu instid0(VALU_DEP_2) | instskip(NEXT) | instid1(VALU_DEP_2)
	v_cmp_gt_u32_e32 vcc_lo, 0x7a, v84
	v_or_b32_e32 v68, 0x800000, v38
	v_sub_nc_u32_e32 v17, 0x79, v84
	s_delay_alu instid0(VALU_DEP_1) | instskip(SKIP_1) | instid1(VALU_DEP_2)
	v_cndmask_b32_e32 v17, 0, v17, vcc_lo
	v_cmp_eq_u32_e32 vcc_lo, 0, v84
	v_cndmask_b32_e64 v40, v17, 0x78, vcc_lo
	s_delay_alu instid0(VALU_DEP_1) | instskip(SKIP_1) | instid1(VALU_DEP_2)
	v_dual_cndmask_b32 v38, v68, v38, vcc_lo :: v_dual_add_nc_u32 v16, 20, v40
	v_add_nc_u32_e32 v69, 19, v40
	v_lshlrev_b64_e64 v[16:17], v16, -1
	s_delay_alu instid0(VALU_DEP_2) | instskip(NEXT) | instid1(VALU_DEP_2)
	v_lshlrev_b64_e64 v[68:69], v69, 1
	v_bfi_b32 v43, v17, 0, 0
	s_delay_alu instid0(VALU_DEP_3) | instskip(SKIP_1) | instid1(VALU_DEP_2)
	v_bfi_b32 v42, v16, 0, v38
	v_lshrrev_b64 v[16:17], v40, v[38:39]
	v_cmp_eq_u64_e64 s7, v[42:43], v[68:69]
	s_delay_alu instid0(VALU_DEP_2)
	v_mov_b64_e32 v[68:69], v[16:17]
	s_and_saveexec_b32 s40, s7
; %bb.2679:                             ;   in Loop: Header=BB2_2623 Depth=2
	v_bfe_u32 v38, v16, 20, 1
	s_delay_alu instid0(VALU_DEP_1) | instskip(NEXT) | instid1(VALU_DEP_1)
	v_add_nc_u64_e32 v[68:69], v[16:17], v[38:39]
	v_add_nc_u64_e32 v[68:69], -1, v[68:69]
; %bb.2680:                             ;   in Loop: Header=BB2_2623 Depth=2
	s_or_b32 exec_lo, exec_lo, s40
	v_add_nc_u32_e32 v17, 0xffffff81, v84
	v_lshrrev_b32_e32 v38, 23, v16
	s_mov_b32 s7, exec_lo
	s_delay_alu instid0(VALU_DEP_2) | instskip(NEXT) | instid1(VALU_DEP_1)
	v_cndmask_b32_e64 v17, v17, 0xffffff82, vcc_lo
	v_add3_u32 v69, v40, v17, v38
	v_and_b32_e32 v17, 0xfffff, v68
                                        ; implicit-def: $vgpr68
	s_delay_alu instid0(VALU_DEP_1) | instskip(NEXT) | instid1(VALU_DEP_1)
	v_dual_add_nc_u32 v84, 6, v69 :: v_dual_add_nc_u32 v38, v17, v16
                                        ; implicit-def: $vgpr16_vgpr17
	v_cmpx_ne_u32_e32 0, v84
	s_xor_b32 s7, exec_lo, s7
; %bb.2681:                             ;   in Loop: Header=BB2_2623 Depth=2
	s_delay_alu instid0(VALU_DEP_2) | instskip(SKIP_1) | instid1(VALU_DEP_1)
	v_cmp_lt_u64_e32 vcc_lo, 0xffffff, v[38:39]
	v_add_nc_u32_e32 v16, 7, v69
	v_cndmask_b32_e32 v68, v84, v16, vcc_lo
	v_cndmask_b32_e64 v16, 0, 1, vcc_lo
	s_delay_alu instid0(VALU_DEP_1)
	v_lshrrev_b64 v[16:17], v16, v[38:39]
; %bb.2682:                             ;   in Loop: Header=BB2_2623 Depth=2
	s_and_not1_saveexec_b32 s7, s7
; %bb.2683:                             ;   in Loop: Header=BB2_2623 Depth=2
	v_mov_b64_e32 v[16:17], v[38:39]
	v_bfe_u32 v68, v38, 23, 1
; %bb.2684:                             ;   in Loop: Header=BB2_2623 Depth=2
	s_or_b32 exec_lo, exec_lo, s7
	s_delay_alu instid0(VALU_DEP_2) | instskip(NEXT) | instid1(VALU_DEP_2)
	v_lshrrev_b64 v[16:17], 20, v[16:17]
	v_cmp_gt_i32_e32 vcc_lo, 16, v68
	v_cmp_ne_u32_e64 s7, 0, v68
                                        ; implicit-def: $vgpr84
	s_delay_alu instid0(VALU_DEP_3) | instskip(NEXT) | instid1(VALU_DEP_1)
	v_dual_cndmask_b32 v17, 0, v17 :: v_dual_cndmask_b32 v16, 7, v16
	v_cmp_ne_u64_e32 vcc_lo, 0, v[16:17]
	s_or_b32 s7, s7, vcc_lo
	s_delay_alu instid0(SALU_CYCLE_1) | instskip(NEXT) | instid1(SALU_CYCLE_1)
	s_and_saveexec_b32 s40, s7
	s_xor_b32 s7, exec_lo, s40
; %bb.2685:                             ;   in Loop: Header=BB2_2623 Depth=2
	v_min_i32_e32 v17, 15, v68
	s_delay_alu instid0(VALU_DEP_1) | instskip(NEXT) | instid1(VALU_DEP_1)
	v_lshl_or_b32 v17, v17, 3, v119
                                        ; implicit-def: $vgpr119
	v_and_or_b32 v84, v16, 7, v17
; %bb.2686:                             ;   in Loop: Header=BB2_2623 Depth=2
	s_and_not1_saveexec_b32 s7, s7
; %bb.2687:                             ;   in Loop: Header=BB2_2623 Depth=2
	v_mov_b32_e32 v84, v119
; %bb.2688:                             ;   in Loop: Header=BB2_2623 Depth=2
	s_or_b32 exec_lo, exec_lo, s7
.LBB2_2689:                             ;   in Loop: Header=BB2_2623 Depth=2
	s_delay_alu instid0(SALU_CYCLE_1)
	s_or_b32 exec_lo, exec_lo, s29
                                        ; implicit-def: $vgpr119
.LBB2_2690:                             ;   in Loop: Header=BB2_2623 Depth=2
	s_and_not1_saveexec_b32 s7, s28
; %bb.2691:                             ;   in Loop: Header=BB2_2623 Depth=2
	v_or_b32_e32 v84, 0x7e, v119
; %bb.2692:                             ;   in Loop: Header=BB2_2623 Depth=2
	s_or_b32 exec_lo, exec_lo, s7
                                        ; implicit-def: $vgpr17
.LBB2_2693:                             ;   in Loop: Header=BB2_2623 Depth=2
	s_and_not1_saveexec_b32 s7, s27
; %bb.2694:                             ;   in Loop: Header=BB2_2623 Depth=2
	v_or_b32_e32 v84, 0x7f, v17
; %bb.2695:                             ;   in Loop: Header=BB2_2623 Depth=2
	s_or_b32 exec_lo, exec_lo, s7
	v_and_b32_e32 v38, 0xff, v118
	v_dual_mov_b32 v16, 0 :: v_dual_mov_b32 v17, 0
	s_mov_b32 s7, exec_lo
	s_delay_alu instid0(VALU_DEP_2)
	v_cmpx_ne_u16_e32 0, v38
	s_cbranch_execz .LBB2_2703
; %bb.2696:                             ;   in Loop: Header=BB2_2623 Depth=2
	v_bfrev_b32_e32 v17, 1
	s_mov_b32 s27, exec_lo
	v_cmpx_ne_u16_e32 0x80, v38
	s_cbranch_execz .LBB2_2702
; %bb.2697:                             ;   in Loop: Header=BB2_2623 Depth=2
	v_and_b32_e32 v68, 0x7f, v118
	v_mov_b32_e32 v17, 0x7f800001
	s_mov_b32 s28, exec_lo
	s_delay_alu instid0(VALU_DEP_2)
	v_cmpx_ne_u32_e32 0x7f, v68
	s_cbranch_execz .LBB2_2701
; %bb.2698:                             ;   in Loop: Header=BB2_2623 Depth=2
	v_dual_lshrrev_b32 v17, 3, v68 :: v_dual_bitop2_b32 v38, 7, v38 bitop3:0x40
	s_mov_b32 s29, exec_lo
	v_cmpx_gt_u32_e32 8, v68
; %bb.2699:                             ;   in Loop: Header=BB2_2623 Depth=2
	s_delay_alu instid0(VALU_DEP_2) | instskip(NEXT) | instid1(VALU_DEP_1)
	v_clz_i32_u32_e32 v17, v38
	v_min_u32_e32 v17, 32, v17
	s_delay_alu instid0(VALU_DEP_1) | instskip(NEXT) | instid1(VALU_DEP_1)
	v_subrev_nc_u32_e32 v68, 28, v17
	v_lshlrev_b64_e32 v[68:69], v68, v[38:39]
	s_delay_alu instid0(VALU_DEP_1)
	v_dual_sub_nc_u32 v17, 29, v17 :: v_dual_bitop2_b32 v38, 7, v68 bitop3:0x40
; %bb.2700:                             ;   in Loop: Header=BB2_2623 Depth=2
	s_or_b32 exec_lo, exec_lo, s29
	v_lshlrev_b32_e32 v68, 24, v118
	s_delay_alu instid0(VALU_DEP_2) | instskip(NEXT) | instid1(VALU_DEP_3)
	v_lshlrev_b32_e32 v38, 20, v38
	v_lshl_add_u32 v17, v17, 23, 0x3c000000
	s_delay_alu instid0(VALU_DEP_3) | instskip(NEXT) | instid1(VALU_DEP_1)
	v_and_b32_e32 v68, 0x80000000, v68
	v_or3_b32 v17, v38, v68, v17
.LBB2_2701:                             ;   in Loop: Header=BB2_2623 Depth=2
	s_or_b32 exec_lo, exec_lo, s28
.LBB2_2702:                             ;   in Loop: Header=BB2_2623 Depth=2
	s_delay_alu instid0(SALU_CYCLE_1)
	s_or_b32 exec_lo, exec_lo, s27
.LBB2_2703:                             ;   in Loop: Header=BB2_2623 Depth=2
	s_delay_alu instid0(SALU_CYCLE_1) | instskip(SKIP_3) | instid1(VALU_DEP_1)
	s_or_b32 exec_lo, exec_lo, s7
	s_wait_loadcnt_dscnt 0x505
	v_and_b32_e32 v38, 0xff, v87
	s_mov_b32 s7, exec_lo
	v_cmpx_ne_u16_e32 0, v38
	s_cbranch_execz .LBB2_2711
; %bb.2704:                             ;   in Loop: Header=BB2_2623 Depth=2
	v_bfrev_b32_e32 v16, 1
	s_mov_b32 s27, exec_lo
	v_cmpx_ne_u16_e32 0x80, v38
	s_cbranch_execz .LBB2_2710
; %bb.2705:                             ;   in Loop: Header=BB2_2623 Depth=2
	v_and_b32_e32 v68, 0x7f, v87
	v_mov_b32_e32 v16, 0x7f800001
	s_mov_b32 s28, exec_lo
	s_delay_alu instid0(VALU_DEP_2)
	v_cmpx_ne_u32_e32 0x7f, v68
	s_cbranch_execz .LBB2_2709
; %bb.2706:                             ;   in Loop: Header=BB2_2623 Depth=2
	v_dual_lshrrev_b32 v16, 3, v68 :: v_dual_bitop2_b32 v38, 7, v38 bitop3:0x40
	s_mov_b32 s29, exec_lo
	v_cmpx_gt_u32_e32 8, v68
; %bb.2707:                             ;   in Loop: Header=BB2_2623 Depth=2
	s_delay_alu instid0(VALU_DEP_2) | instskip(NEXT) | instid1(VALU_DEP_1)
	v_clz_i32_u32_e32 v16, v38
	v_min_u32_e32 v16, 32, v16
	s_delay_alu instid0(VALU_DEP_1) | instskip(SKIP_1) | instid1(VALU_DEP_2)
	v_subrev_nc_u32_e32 v68, 28, v16
	v_sub_nc_u32_e32 v16, 29, v16
	v_lshlrev_b64_e32 v[68:69], v68, v[38:39]
	s_delay_alu instid0(VALU_DEP_1)
	v_and_b32_e32 v38, 7, v68
; %bb.2708:                             ;   in Loop: Header=BB2_2623 Depth=2
	s_or_b32 exec_lo, exec_lo, s29
	s_delay_alu instid0(VALU_DEP_1) | instskip(SKIP_1) | instid1(VALU_DEP_2)
	v_dual_lshlrev_b32 v68, 24, v87 :: v_dual_lshlrev_b32 v38, 20, v38
	v_lshl_add_u32 v16, v16, 23, 0x3c000000
	v_and_b32_e32 v68, 0x80000000, v68
	s_delay_alu instid0(VALU_DEP_1)
	v_or3_b32 v16, v38, v68, v16
.LBB2_2709:                             ;   in Loop: Header=BB2_2623 Depth=2
	s_or_b32 exec_lo, exec_lo, s28
.LBB2_2710:                             ;   in Loop: Header=BB2_2623 Depth=2
	s_delay_alu instid0(SALU_CYCLE_1)
	s_or_b32 exec_lo, exec_lo, s27
.LBB2_2711:                             ;   in Loop: Header=BB2_2623 Depth=2
	s_delay_alu instid0(SALU_CYCLE_1) | instskip(NEXT) | instid1(VALU_DEP_1)
	s_or_b32 exec_lo, exec_lo, s7
	v_mul_f32_e32 v16, v17, v16
                                        ; implicit-def: $vgpr87
	s_mov_b32 s7, exec_lo
	s_delay_alu instid0(VALU_DEP_1) | instskip(SKIP_1) | instid1(VALU_DEP_2)
	v_and_b32_e32 v38, 0x7f800000, v16
	v_lshrrev_b32_e32 v17, 24, v16
	v_cmpx_ne_u64_e32 0x7f800000, v[38:39]
	s_xor_b32 s27, exec_lo, s7
	s_cbranch_execz .LBB2_2729
; %bb.2712:                             ;   in Loop: Header=BB2_2623 Depth=2
	v_and_b32_e32 v38, 0x7fffffff, v16
	v_and_b32_e32 v118, 0x80, v17
                                        ; implicit-def: $vgpr87
	s_mov_b32 s7, exec_lo
	s_delay_alu instid0(VALU_DEP_2)
	v_cmpx_gt_u64_e32 0x43e00001, v[38:39]
	s_xor_b32 s28, exec_lo, s7
	s_cbranch_execz .LBB2_2726
; %bb.2713:                             ;   in Loop: Header=BB2_2623 Depth=2
	v_mov_b32_e32 v87, 0
	s_mov_b32 s29, exec_lo
	v_cmpx_ne_u32_e32 0, v16
	s_cbranch_execz .LBB2_2725
; %bb.2714:                             ;   in Loop: Header=BB2_2623 Depth=2
	v_bfe_u32 v87, v16, 23, 8
	v_and_b32_e32 v38, 0x7fffff, v16
	s_delay_alu instid0(VALU_DEP_2) | instskip(NEXT) | instid1(VALU_DEP_2)
	v_cmp_gt_u32_e32 vcc_lo, 0x7a, v87
	v_or_b32_e32 v68, 0x800000, v38
	v_sub_nc_u32_e32 v17, 0x79, v87
	s_delay_alu instid0(VALU_DEP_1) | instskip(SKIP_1) | instid1(VALU_DEP_2)
	v_cndmask_b32_e32 v17, 0, v17, vcc_lo
	v_cmp_eq_u32_e32 vcc_lo, 0, v87
	v_cndmask_b32_e64 v119, v17, 0x78, vcc_lo
	s_delay_alu instid0(VALU_DEP_1) | instskip(SKIP_1) | instid1(VALU_DEP_2)
	v_dual_cndmask_b32 v38, v68, v38, vcc_lo :: v_dual_add_nc_u32 v16, 20, v119
	v_add_nc_u32_e32 v69, 19, v119
	v_lshlrev_b64_e64 v[16:17], v16, -1
	s_delay_alu instid0(VALU_DEP_2) | instskip(NEXT) | instid1(VALU_DEP_2)
	v_lshlrev_b64_e64 v[68:69], v69, 1
	v_bfi_b32 v41, v17, 0, 0
	s_delay_alu instid0(VALU_DEP_3) | instskip(SKIP_1) | instid1(VALU_DEP_2)
	v_bfi_b32 v40, v16, 0, v38
	v_lshrrev_b64 v[16:17], v119, v[38:39]
	v_cmp_eq_u64_e64 s7, v[40:41], v[68:69]
	s_delay_alu instid0(VALU_DEP_2)
	v_mov_b64_e32 v[68:69], v[16:17]
	s_and_saveexec_b32 s40, s7
; %bb.2715:                             ;   in Loop: Header=BB2_2623 Depth=2
	v_bfe_u32 v38, v16, 20, 1
	s_delay_alu instid0(VALU_DEP_1) | instskip(NEXT) | instid1(VALU_DEP_1)
	v_add_nc_u64_e32 v[68:69], v[16:17], v[38:39]
	v_add_nc_u64_e32 v[68:69], -1, v[68:69]
; %bb.2716:                             ;   in Loop: Header=BB2_2623 Depth=2
	s_or_b32 exec_lo, exec_lo, s40
	v_add_nc_u32_e32 v17, 0xffffff81, v87
	v_lshrrev_b32_e32 v38, 23, v16
	s_mov_b32 s7, exec_lo
	s_delay_alu instid0(VALU_DEP_2) | instskip(NEXT) | instid1(VALU_DEP_1)
	v_cndmask_b32_e64 v17, v17, 0xffffff82, vcc_lo
	v_add3_u32 v69, v119, v17, v38
	v_and_b32_e32 v17, 0xfffff, v68
                                        ; implicit-def: $vgpr68
	s_delay_alu instid0(VALU_DEP_1) | instskip(NEXT) | instid1(VALU_DEP_1)
	v_dual_add_nc_u32 v87, 6, v69 :: v_dual_add_nc_u32 v38, v17, v16
                                        ; implicit-def: $vgpr16_vgpr17
	v_cmpx_ne_u32_e32 0, v87
	s_xor_b32 s7, exec_lo, s7
; %bb.2717:                             ;   in Loop: Header=BB2_2623 Depth=2
	s_delay_alu instid0(VALU_DEP_2) | instskip(SKIP_1) | instid1(VALU_DEP_1)
	v_cmp_lt_u64_e32 vcc_lo, 0xffffff, v[38:39]
	v_add_nc_u32_e32 v16, 7, v69
	v_cndmask_b32_e32 v68, v87, v16, vcc_lo
	v_cndmask_b32_e64 v16, 0, 1, vcc_lo
	s_delay_alu instid0(VALU_DEP_1)
	v_lshrrev_b64 v[16:17], v16, v[38:39]
; %bb.2718:                             ;   in Loop: Header=BB2_2623 Depth=2
	s_and_not1_saveexec_b32 s7, s7
; %bb.2719:                             ;   in Loop: Header=BB2_2623 Depth=2
	v_mov_b64_e32 v[16:17], v[38:39]
	v_bfe_u32 v68, v38, 23, 1
; %bb.2720:                             ;   in Loop: Header=BB2_2623 Depth=2
	s_or_b32 exec_lo, exec_lo, s7
	s_delay_alu instid0(VALU_DEP_2) | instskip(NEXT) | instid1(VALU_DEP_2)
	v_lshrrev_b64 v[16:17], 20, v[16:17]
	v_cmp_gt_i32_e32 vcc_lo, 16, v68
	v_cmp_ne_u32_e64 s7, 0, v68
                                        ; implicit-def: $vgpr87
	s_delay_alu instid0(VALU_DEP_3) | instskip(NEXT) | instid1(VALU_DEP_1)
	v_dual_cndmask_b32 v17, 0, v17 :: v_dual_cndmask_b32 v16, 7, v16
	v_cmp_ne_u64_e32 vcc_lo, 0, v[16:17]
	s_or_b32 s7, s7, vcc_lo
	s_delay_alu instid0(SALU_CYCLE_1) | instskip(NEXT) | instid1(SALU_CYCLE_1)
	s_and_saveexec_b32 s40, s7
	s_xor_b32 s7, exec_lo, s40
; %bb.2721:                             ;   in Loop: Header=BB2_2623 Depth=2
	v_min_i32_e32 v17, 15, v68
	s_delay_alu instid0(VALU_DEP_1) | instskip(NEXT) | instid1(VALU_DEP_1)
	v_lshl_or_b32 v17, v17, 3, v118
                                        ; implicit-def: $vgpr118
	v_and_or_b32 v87, v16, 7, v17
; %bb.2722:                             ;   in Loop: Header=BB2_2623 Depth=2
	s_and_not1_saveexec_b32 s7, s7
; %bb.2723:                             ;   in Loop: Header=BB2_2623 Depth=2
	v_mov_b32_e32 v87, v118
; %bb.2724:                             ;   in Loop: Header=BB2_2623 Depth=2
	s_or_b32 exec_lo, exec_lo, s7
.LBB2_2725:                             ;   in Loop: Header=BB2_2623 Depth=2
	s_delay_alu instid0(SALU_CYCLE_1)
	s_or_b32 exec_lo, exec_lo, s29
                                        ; implicit-def: $vgpr118
.LBB2_2726:                             ;   in Loop: Header=BB2_2623 Depth=2
	s_and_not1_saveexec_b32 s7, s28
; %bb.2727:                             ;   in Loop: Header=BB2_2623 Depth=2
	v_or_b32_e32 v87, 0x7e, v118
; %bb.2728:                             ;   in Loop: Header=BB2_2623 Depth=2
	s_or_b32 exec_lo, exec_lo, s7
                                        ; implicit-def: $vgpr17
.LBB2_2729:                             ;   in Loop: Header=BB2_2623 Depth=2
	s_and_not1_saveexec_b32 s7, s27
; %bb.2730:                             ;   in Loop: Header=BB2_2623 Depth=2
	v_or_b32_e32 v87, 0x7f, v17
; %bb.2731:                             ;   in Loop: Header=BB2_2623 Depth=2
	s_or_b32 exec_lo, exec_lo, s7
	v_and_b32_e32 v38, 0xff, v117
	v_dual_mov_b32 v16, 0 :: v_dual_mov_b32 v17, 0
	s_mov_b32 s7, exec_lo
	s_delay_alu instid0(VALU_DEP_2)
	v_cmpx_ne_u16_e32 0, v38
	s_cbranch_execz .LBB2_2739
; %bb.2732:                             ;   in Loop: Header=BB2_2623 Depth=2
	v_bfrev_b32_e32 v17, 1
	s_mov_b32 s27, exec_lo
	v_cmpx_ne_u16_e32 0x80, v38
	s_cbranch_execz .LBB2_2738
; %bb.2733:                             ;   in Loop: Header=BB2_2623 Depth=2
	v_and_b32_e32 v68, 0x7f, v117
	v_mov_b32_e32 v17, 0x7f800001
	s_mov_b32 s28, exec_lo
	s_delay_alu instid0(VALU_DEP_2)
	v_cmpx_ne_u32_e32 0x7f, v68
	s_cbranch_execz .LBB2_2737
; %bb.2734:                             ;   in Loop: Header=BB2_2623 Depth=2
	v_dual_lshrrev_b32 v17, 3, v68 :: v_dual_bitop2_b32 v38, 7, v38 bitop3:0x40
	s_mov_b32 s29, exec_lo
	v_cmpx_gt_u32_e32 8, v68
; %bb.2735:                             ;   in Loop: Header=BB2_2623 Depth=2
	s_delay_alu instid0(VALU_DEP_2) | instskip(NEXT) | instid1(VALU_DEP_1)
	v_clz_i32_u32_e32 v17, v38
	v_min_u32_e32 v17, 32, v17
	s_delay_alu instid0(VALU_DEP_1) | instskip(NEXT) | instid1(VALU_DEP_1)
	v_subrev_nc_u32_e32 v68, 28, v17
	v_lshlrev_b64_e32 v[68:69], v68, v[38:39]
	s_delay_alu instid0(VALU_DEP_1)
	v_dual_sub_nc_u32 v17, 29, v17 :: v_dual_bitop2_b32 v38, 7, v68 bitop3:0x40
; %bb.2736:                             ;   in Loop: Header=BB2_2623 Depth=2
	s_or_b32 exec_lo, exec_lo, s29
	s_delay_alu instid0(VALU_DEP_1) | instskip(NEXT) | instid1(VALU_DEP_2)
	v_dual_lshlrev_b32 v68, 24, v117 :: v_dual_lshlrev_b32 v38, 20, v38
	v_lshl_add_u32 v17, v17, 23, 0x3c000000
	s_delay_alu instid0(VALU_DEP_2) | instskip(NEXT) | instid1(VALU_DEP_1)
	v_and_b32_e32 v68, 0x80000000, v68
	v_or3_b32 v17, v38, v68, v17
.LBB2_2737:                             ;   in Loop: Header=BB2_2623 Depth=2
	s_or_b32 exec_lo, exec_lo, s28
.LBB2_2738:                             ;   in Loop: Header=BB2_2623 Depth=2
	s_delay_alu instid0(SALU_CYCLE_1)
	s_or_b32 exec_lo, exec_lo, s27
.LBB2_2739:                             ;   in Loop: Header=BB2_2623 Depth=2
	s_delay_alu instid0(SALU_CYCLE_1) | instskip(SKIP_3) | instid1(VALU_DEP_1)
	s_or_b32 exec_lo, exec_lo, s7
	s_wait_loadcnt_dscnt 0x404
	v_and_b32_e32 v38, 0xff, v98
	s_mov_b32 s7, exec_lo
	v_cmpx_ne_u16_e32 0, v38
	s_cbranch_execz .LBB2_2747
; %bb.2740:                             ;   in Loop: Header=BB2_2623 Depth=2
	v_bfrev_b32_e32 v16, 1
	s_mov_b32 s27, exec_lo
	v_cmpx_ne_u16_e32 0x80, v38
	s_cbranch_execz .LBB2_2746
; %bb.2741:                             ;   in Loop: Header=BB2_2623 Depth=2
	v_and_b32_e32 v68, 0x7f, v98
	v_mov_b32_e32 v16, 0x7f800001
	s_mov_b32 s28, exec_lo
	s_delay_alu instid0(VALU_DEP_2)
	v_cmpx_ne_u32_e32 0x7f, v68
	s_cbranch_execz .LBB2_2745
; %bb.2742:                             ;   in Loop: Header=BB2_2623 Depth=2
	v_dual_lshrrev_b32 v16, 3, v68 :: v_dual_bitop2_b32 v38, 7, v38 bitop3:0x40
	s_mov_b32 s29, exec_lo
	v_cmpx_gt_u32_e32 8, v68
; %bb.2743:                             ;   in Loop: Header=BB2_2623 Depth=2
	s_delay_alu instid0(VALU_DEP_2) | instskip(NEXT) | instid1(VALU_DEP_1)
	v_clz_i32_u32_e32 v16, v38
	v_min_u32_e32 v16, 32, v16
	s_delay_alu instid0(VALU_DEP_1) | instskip(SKIP_1) | instid1(VALU_DEP_2)
	v_subrev_nc_u32_e32 v68, 28, v16
	v_sub_nc_u32_e32 v16, 29, v16
	v_lshlrev_b64_e32 v[68:69], v68, v[38:39]
	s_delay_alu instid0(VALU_DEP_1)
	v_and_b32_e32 v38, 7, v68
; %bb.2744:                             ;   in Loop: Header=BB2_2623 Depth=2
	s_or_b32 exec_lo, exec_lo, s29
	v_lshlrev_b32_e32 v68, 24, v98
	s_delay_alu instid0(VALU_DEP_2) | instskip(SKIP_1) | instid1(VALU_DEP_3)
	v_lshlrev_b32_e32 v38, 20, v38
	v_lshl_add_u32 v16, v16, 23, 0x3c000000
	v_and_b32_e32 v68, 0x80000000, v68
	s_delay_alu instid0(VALU_DEP_1)
	v_or3_b32 v16, v38, v68, v16
.LBB2_2745:                             ;   in Loop: Header=BB2_2623 Depth=2
	s_or_b32 exec_lo, exec_lo, s28
.LBB2_2746:                             ;   in Loop: Header=BB2_2623 Depth=2
	s_delay_alu instid0(SALU_CYCLE_1)
	s_or_b32 exec_lo, exec_lo, s27
.LBB2_2747:                             ;   in Loop: Header=BB2_2623 Depth=2
	s_delay_alu instid0(SALU_CYCLE_1) | instskip(NEXT) | instid1(VALU_DEP_1)
	s_or_b32 exec_lo, exec_lo, s7
	v_mul_f32_e32 v16, v17, v16
                                        ; implicit-def: $vgpr98
	s_mov_b32 s7, exec_lo
	s_delay_alu instid0(VALU_DEP_1) | instskip(SKIP_1) | instid1(VALU_DEP_2)
	v_and_b32_e32 v38, 0x7f800000, v16
	v_lshrrev_b32_e32 v17, 24, v16
	v_cmpx_ne_u64_e32 0x7f800000, v[38:39]
	s_xor_b32 s27, exec_lo, s7
	s_cbranch_execz .LBB2_2765
; %bb.2748:                             ;   in Loop: Header=BB2_2623 Depth=2
	v_and_b32_e32 v38, 0x7fffffff, v16
	v_and_b32_e32 v117, 0x80, v17
                                        ; implicit-def: $vgpr98
	s_mov_b32 s7, exec_lo
	s_delay_alu instid0(VALU_DEP_2)
	v_cmpx_gt_u64_e32 0x43e00001, v[38:39]
	s_xor_b32 s28, exec_lo, s7
	s_cbranch_execz .LBB2_2762
; %bb.2749:                             ;   in Loop: Header=BB2_2623 Depth=2
	v_mov_b32_e32 v98, 0
	s_mov_b32 s29, exec_lo
	v_cmpx_ne_u32_e32 0, v16
	s_cbranch_execz .LBB2_2761
; %bb.2750:                             ;   in Loop: Header=BB2_2623 Depth=2
	v_bfe_u32 v98, v16, 23, 8
	v_and_b32_e32 v38, 0x7fffff, v16
	s_delay_alu instid0(VALU_DEP_2) | instskip(SKIP_1) | instid1(VALU_DEP_3)
	v_sub_nc_u32_e32 v17, 0x79, v98
	v_cmp_gt_u32_e32 vcc_lo, 0x7a, v98
	v_or_b32_e32 v68, 0x800000, v38
	s_delay_alu instid0(VALU_DEP_3) | instskip(SKIP_1) | instid1(VALU_DEP_2)
	v_cndmask_b32_e32 v17, 0, v17, vcc_lo
	v_cmp_eq_u32_e32 vcc_lo, 0, v98
	v_cndmask_b32_e64 v118, v17, 0x78, vcc_lo
	s_delay_alu instid0(VALU_DEP_4) | instskip(NEXT) | instid1(VALU_DEP_2)
	v_cndmask_b32_e32 v38, v68, v38, vcc_lo
	v_dual_add_nc_u32 v16, 20, v118 :: v_dual_add_nc_u32 v69, 19, v118
	s_delay_alu instid0(VALU_DEP_1) | instskip(NEXT) | instid1(VALU_DEP_2)
	v_lshlrev_b64_e64 v[16:17], v16, -1
	v_lshlrev_b64_e64 v[68:69], v69, 1
	s_delay_alu instid0(VALU_DEP_2) | instskip(NEXT) | instid1(VALU_DEP_3)
	v_bfi_b32 v41, v17, 0, 0
	v_bfi_b32 v40, v16, 0, v38
	v_lshrrev_b64 v[16:17], v118, v[38:39]
	s_delay_alu instid0(VALU_DEP_2) | instskip(NEXT) | instid1(VALU_DEP_2)
	v_cmp_eq_u64_e64 s7, v[40:41], v[68:69]
	v_mov_b64_e32 v[68:69], v[16:17]
	s_and_saveexec_b32 s40, s7
; %bb.2751:                             ;   in Loop: Header=BB2_2623 Depth=2
	v_bfe_u32 v38, v16, 20, 1
	s_delay_alu instid0(VALU_DEP_1) | instskip(NEXT) | instid1(VALU_DEP_1)
	v_add_nc_u64_e32 v[68:69], v[16:17], v[38:39]
	v_add_nc_u64_e32 v[68:69], -1, v[68:69]
; %bb.2752:                             ;   in Loop: Header=BB2_2623 Depth=2
	s_or_b32 exec_lo, exec_lo, s40
	v_add_nc_u32_e32 v17, 0xffffff81, v98
	v_lshrrev_b32_e32 v38, 23, v16
	s_mov_b32 s7, exec_lo
	s_delay_alu instid0(VALU_DEP_2) | instskip(NEXT) | instid1(VALU_DEP_1)
	v_cndmask_b32_e64 v17, v17, 0xffffff82, vcc_lo
	v_add3_u32 v69, v118, v17, v38
	v_and_b32_e32 v17, 0xfffff, v68
                                        ; implicit-def: $vgpr68
	s_delay_alu instid0(VALU_DEP_1) | instskip(NEXT) | instid1(VALU_DEP_1)
	v_dual_add_nc_u32 v98, 6, v69 :: v_dual_add_nc_u32 v38, v17, v16
                                        ; implicit-def: $vgpr16_vgpr17
	v_cmpx_ne_u32_e32 0, v98
	s_xor_b32 s7, exec_lo, s7
; %bb.2753:                             ;   in Loop: Header=BB2_2623 Depth=2
	s_delay_alu instid0(VALU_DEP_2) | instskip(SKIP_1) | instid1(VALU_DEP_1)
	v_cmp_lt_u64_e32 vcc_lo, 0xffffff, v[38:39]
	v_add_nc_u32_e32 v16, 7, v69
	v_cndmask_b32_e32 v68, v98, v16, vcc_lo
	v_cndmask_b32_e64 v16, 0, 1, vcc_lo
	s_delay_alu instid0(VALU_DEP_1)
	v_lshrrev_b64 v[16:17], v16, v[38:39]
; %bb.2754:                             ;   in Loop: Header=BB2_2623 Depth=2
	s_and_not1_saveexec_b32 s7, s7
; %bb.2755:                             ;   in Loop: Header=BB2_2623 Depth=2
	v_mov_b64_e32 v[16:17], v[38:39]
	v_bfe_u32 v68, v38, 23, 1
; %bb.2756:                             ;   in Loop: Header=BB2_2623 Depth=2
	s_or_b32 exec_lo, exec_lo, s7
	s_delay_alu instid0(VALU_DEP_2) | instskip(NEXT) | instid1(VALU_DEP_2)
	v_lshrrev_b64 v[16:17], 20, v[16:17]
	v_cmp_gt_i32_e32 vcc_lo, 16, v68
	v_cmp_ne_u32_e64 s7, 0, v68
                                        ; implicit-def: $vgpr98
	s_delay_alu instid0(VALU_DEP_3) | instskip(NEXT) | instid1(VALU_DEP_1)
	v_dual_cndmask_b32 v17, 0, v17 :: v_dual_cndmask_b32 v16, 7, v16
	v_cmp_ne_u64_e32 vcc_lo, 0, v[16:17]
	s_or_b32 s7, s7, vcc_lo
	s_delay_alu instid0(SALU_CYCLE_1) | instskip(NEXT) | instid1(SALU_CYCLE_1)
	s_and_saveexec_b32 s40, s7
	s_xor_b32 s7, exec_lo, s40
; %bb.2757:                             ;   in Loop: Header=BB2_2623 Depth=2
	v_min_i32_e32 v17, 15, v68
	s_delay_alu instid0(VALU_DEP_1) | instskip(NEXT) | instid1(VALU_DEP_1)
	v_lshl_or_b32 v17, v17, 3, v117
                                        ; implicit-def: $vgpr117
	v_and_or_b32 v98, v16, 7, v17
; %bb.2758:                             ;   in Loop: Header=BB2_2623 Depth=2
	s_and_not1_saveexec_b32 s7, s7
; %bb.2759:                             ;   in Loop: Header=BB2_2623 Depth=2
	v_mov_b32_e32 v98, v117
; %bb.2760:                             ;   in Loop: Header=BB2_2623 Depth=2
	s_or_b32 exec_lo, exec_lo, s7
.LBB2_2761:                             ;   in Loop: Header=BB2_2623 Depth=2
	s_delay_alu instid0(SALU_CYCLE_1)
	s_or_b32 exec_lo, exec_lo, s29
                                        ; implicit-def: $vgpr117
.LBB2_2762:                             ;   in Loop: Header=BB2_2623 Depth=2
	s_and_not1_saveexec_b32 s7, s28
; %bb.2763:                             ;   in Loop: Header=BB2_2623 Depth=2
	v_or_b32_e32 v98, 0x7e, v117
; %bb.2764:                             ;   in Loop: Header=BB2_2623 Depth=2
	s_or_b32 exec_lo, exec_lo, s7
                                        ; implicit-def: $vgpr17
.LBB2_2765:                             ;   in Loop: Header=BB2_2623 Depth=2
	s_and_not1_saveexec_b32 s7, s27
; %bb.2766:                             ;   in Loop: Header=BB2_2623 Depth=2
	v_or_b32_e32 v98, 0x7f, v17
; %bb.2767:                             ;   in Loop: Header=BB2_2623 Depth=2
	s_or_b32 exec_lo, exec_lo, s7
	v_and_b32_e32 v38, 0xff, v99
	v_dual_mov_b32 v16, 0 :: v_dual_mov_b32 v17, 0
	s_mov_b32 s7, exec_lo
	s_delay_alu instid0(VALU_DEP_2)
	v_cmpx_ne_u16_e32 0, v38
	s_cbranch_execz .LBB2_2775
; %bb.2768:                             ;   in Loop: Header=BB2_2623 Depth=2
	v_bfrev_b32_e32 v17, 1
	s_mov_b32 s27, exec_lo
	v_cmpx_ne_u16_e32 0x80, v38
	s_cbranch_execz .LBB2_2774
; %bb.2769:                             ;   in Loop: Header=BB2_2623 Depth=2
	v_and_b32_e32 v68, 0x7f, v99
	v_mov_b32_e32 v17, 0x7f800001
	s_mov_b32 s28, exec_lo
	s_delay_alu instid0(VALU_DEP_2)
	v_cmpx_ne_u32_e32 0x7f, v68
	s_cbranch_execz .LBB2_2773
; %bb.2770:                             ;   in Loop: Header=BB2_2623 Depth=2
	v_dual_lshrrev_b32 v17, 3, v68 :: v_dual_bitop2_b32 v38, 7, v38 bitop3:0x40
	s_mov_b32 s29, exec_lo
	v_cmpx_gt_u32_e32 8, v68
; %bb.2771:                             ;   in Loop: Header=BB2_2623 Depth=2
	s_delay_alu instid0(VALU_DEP_2) | instskip(NEXT) | instid1(VALU_DEP_1)
	v_clz_i32_u32_e32 v17, v38
	v_min_u32_e32 v17, 32, v17
	s_delay_alu instid0(VALU_DEP_1) | instskip(NEXT) | instid1(VALU_DEP_1)
	v_subrev_nc_u32_e32 v68, 28, v17
	v_lshlrev_b64_e32 v[68:69], v68, v[38:39]
	s_delay_alu instid0(VALU_DEP_1)
	v_dual_sub_nc_u32 v17, 29, v17 :: v_dual_bitop2_b32 v38, 7, v68 bitop3:0x40
; %bb.2772:                             ;   in Loop: Header=BB2_2623 Depth=2
	s_or_b32 exec_lo, exec_lo, s29
	s_delay_alu instid0(VALU_DEP_1) | instskip(NEXT) | instid1(VALU_DEP_2)
	v_dual_lshlrev_b32 v68, 24, v99 :: v_dual_lshlrev_b32 v38, 20, v38
	v_lshl_add_u32 v17, v17, 23, 0x3c000000
	s_delay_alu instid0(VALU_DEP_2) | instskip(NEXT) | instid1(VALU_DEP_1)
	v_and_b32_e32 v68, 0x80000000, v68
	v_or3_b32 v17, v38, v68, v17
.LBB2_2773:                             ;   in Loop: Header=BB2_2623 Depth=2
	s_or_b32 exec_lo, exec_lo, s28
.LBB2_2774:                             ;   in Loop: Header=BB2_2623 Depth=2
	s_delay_alu instid0(SALU_CYCLE_1)
	s_or_b32 exec_lo, exec_lo, s27
.LBB2_2775:                             ;   in Loop: Header=BB2_2623 Depth=2
	s_delay_alu instid0(SALU_CYCLE_1) | instskip(SKIP_3) | instid1(VALU_DEP_1)
	s_or_b32 exec_lo, exec_lo, s7
	s_wait_loadcnt_dscnt 0x303
	v_and_b32_e32 v38, 0xff, v97
	s_mov_b32 s7, exec_lo
	v_cmpx_ne_u16_e32 0, v38
	s_cbranch_execz .LBB2_2783
; %bb.2776:                             ;   in Loop: Header=BB2_2623 Depth=2
	v_bfrev_b32_e32 v16, 1
	s_mov_b32 s27, exec_lo
	v_cmpx_ne_u16_e32 0x80, v38
	s_cbranch_execz .LBB2_2782
; %bb.2777:                             ;   in Loop: Header=BB2_2623 Depth=2
	v_and_b32_e32 v68, 0x7f, v97
	v_mov_b32_e32 v16, 0x7f800001
	s_mov_b32 s28, exec_lo
	s_delay_alu instid0(VALU_DEP_2)
	v_cmpx_ne_u32_e32 0x7f, v68
	s_cbranch_execz .LBB2_2781
; %bb.2778:                             ;   in Loop: Header=BB2_2623 Depth=2
	v_dual_lshrrev_b32 v16, 3, v68 :: v_dual_bitop2_b32 v38, 7, v38 bitop3:0x40
	s_mov_b32 s29, exec_lo
	v_cmpx_gt_u32_e32 8, v68
; %bb.2779:                             ;   in Loop: Header=BB2_2623 Depth=2
	s_delay_alu instid0(VALU_DEP_2) | instskip(NEXT) | instid1(VALU_DEP_1)
	v_clz_i32_u32_e32 v16, v38
	v_min_u32_e32 v16, 32, v16
	s_delay_alu instid0(VALU_DEP_1) | instskip(SKIP_1) | instid1(VALU_DEP_2)
	v_subrev_nc_u32_e32 v68, 28, v16
	v_sub_nc_u32_e32 v16, 29, v16
	v_lshlrev_b64_e32 v[68:69], v68, v[38:39]
	s_delay_alu instid0(VALU_DEP_1)
	v_and_b32_e32 v38, 7, v68
; %bb.2780:                             ;   in Loop: Header=BB2_2623 Depth=2
	s_or_b32 exec_lo, exec_lo, s29
	s_delay_alu instid0(VALU_DEP_1) | instskip(SKIP_1) | instid1(VALU_DEP_2)
	v_dual_lshlrev_b32 v68, 24, v97 :: v_dual_lshlrev_b32 v38, 20, v38
	v_lshl_add_u32 v16, v16, 23, 0x3c000000
	v_and_b32_e32 v68, 0x80000000, v68
	s_delay_alu instid0(VALU_DEP_1)
	v_or3_b32 v16, v38, v68, v16
.LBB2_2781:                             ;   in Loop: Header=BB2_2623 Depth=2
	s_or_b32 exec_lo, exec_lo, s28
.LBB2_2782:                             ;   in Loop: Header=BB2_2623 Depth=2
	s_delay_alu instid0(SALU_CYCLE_1)
	s_or_b32 exec_lo, exec_lo, s27
.LBB2_2783:                             ;   in Loop: Header=BB2_2623 Depth=2
	s_delay_alu instid0(SALU_CYCLE_1) | instskip(NEXT) | instid1(VALU_DEP_1)
	s_or_b32 exec_lo, exec_lo, s7
	v_mul_f32_e32 v16, v17, v16
                                        ; implicit-def: $vgpr97
	s_mov_b32 s7, exec_lo
	s_delay_alu instid0(VALU_DEP_1) | instskip(SKIP_1) | instid1(VALU_DEP_2)
	v_and_b32_e32 v38, 0x7f800000, v16
	v_lshrrev_b32_e32 v17, 24, v16
	v_cmpx_ne_u64_e32 0x7f800000, v[38:39]
	s_xor_b32 s27, exec_lo, s7
	s_cbranch_execz .LBB2_2801
; %bb.2784:                             ;   in Loop: Header=BB2_2623 Depth=2
	v_and_b32_e32 v38, 0x7fffffff, v16
	v_and_b32_e32 v99, 0x80, v17
                                        ; implicit-def: $vgpr97
	s_mov_b32 s7, exec_lo
	s_delay_alu instid0(VALU_DEP_2)
	v_cmpx_gt_u64_e32 0x43e00001, v[38:39]
	s_xor_b32 s28, exec_lo, s7
	s_cbranch_execz .LBB2_2798
; %bb.2785:                             ;   in Loop: Header=BB2_2623 Depth=2
	v_mov_b32_e32 v97, 0
	s_mov_b32 s29, exec_lo
	v_cmpx_ne_u32_e32 0, v16
	s_cbranch_execz .LBB2_2797
; %bb.2786:                             ;   in Loop: Header=BB2_2623 Depth=2
	v_bfe_u32 v97, v16, 23, 8
	v_and_b32_e32 v38, 0x7fffff, v16
	s_delay_alu instid0(VALU_DEP_2) | instskip(NEXT) | instid1(VALU_DEP_2)
	v_cmp_gt_u32_e32 vcc_lo, 0x7a, v97
	v_or_b32_e32 v68, 0x800000, v38
	v_sub_nc_u32_e32 v17, 0x79, v97
	s_delay_alu instid0(VALU_DEP_1) | instskip(SKIP_1) | instid1(VALU_DEP_2)
	v_cndmask_b32_e32 v17, 0, v17, vcc_lo
	v_cmp_eq_u32_e32 vcc_lo, 0, v97
	v_cndmask_b32_e64 v117, v17, 0x78, vcc_lo
	s_delay_alu instid0(VALU_DEP_1) | instskip(SKIP_1) | instid1(VALU_DEP_2)
	v_dual_cndmask_b32 v38, v68, v38, vcc_lo :: v_dual_add_nc_u32 v16, 20, v117
	v_add_nc_u32_e32 v69, 19, v117
	v_lshlrev_b64_e64 v[16:17], v16, -1
	s_delay_alu instid0(VALU_DEP_2) | instskip(NEXT) | instid1(VALU_DEP_2)
	v_lshlrev_b64_e64 v[68:69], v69, 1
	v_bfi_b32 v119, v17, 0, 0
	s_delay_alu instid0(VALU_DEP_3) | instskip(SKIP_1) | instid1(VALU_DEP_2)
	v_bfi_b32 v118, v16, 0, v38
	v_lshrrev_b64 v[16:17], v117, v[38:39]
	v_cmp_eq_u64_e64 s7, v[118:119], v[68:69]
	s_delay_alu instid0(VALU_DEP_2)
	v_mov_b64_e32 v[68:69], v[16:17]
	s_and_saveexec_b32 s40, s7
; %bb.2787:                             ;   in Loop: Header=BB2_2623 Depth=2
	v_bfe_u32 v38, v16, 20, 1
	s_delay_alu instid0(VALU_DEP_1) | instskip(NEXT) | instid1(VALU_DEP_1)
	v_add_nc_u64_e32 v[68:69], v[16:17], v[38:39]
	v_add_nc_u64_e32 v[68:69], -1, v[68:69]
; %bb.2788:                             ;   in Loop: Header=BB2_2623 Depth=2
	s_or_b32 exec_lo, exec_lo, s40
	v_add_nc_u32_e32 v17, 0xffffff81, v97
	v_lshrrev_b32_e32 v38, 23, v16
	s_mov_b32 s7, exec_lo
	s_delay_alu instid0(VALU_DEP_2) | instskip(NEXT) | instid1(VALU_DEP_1)
	v_cndmask_b32_e64 v17, v17, 0xffffff82, vcc_lo
	v_add3_u32 v69, v117, v17, v38
	v_and_b32_e32 v17, 0xfffff, v68
                                        ; implicit-def: $vgpr68
	s_delay_alu instid0(VALU_DEP_1) | instskip(NEXT) | instid1(VALU_DEP_1)
	v_dual_add_nc_u32 v97, 6, v69 :: v_dual_add_nc_u32 v38, v17, v16
                                        ; implicit-def: $vgpr16_vgpr17
	v_cmpx_ne_u32_e32 0, v97
	s_xor_b32 s7, exec_lo, s7
; %bb.2789:                             ;   in Loop: Header=BB2_2623 Depth=2
	s_delay_alu instid0(VALU_DEP_2) | instskip(SKIP_1) | instid1(VALU_DEP_1)
	v_cmp_lt_u64_e32 vcc_lo, 0xffffff, v[38:39]
	v_add_nc_u32_e32 v16, 7, v69
	v_cndmask_b32_e32 v68, v97, v16, vcc_lo
	v_cndmask_b32_e64 v16, 0, 1, vcc_lo
	s_delay_alu instid0(VALU_DEP_1)
	v_lshrrev_b64 v[16:17], v16, v[38:39]
; %bb.2790:                             ;   in Loop: Header=BB2_2623 Depth=2
	s_and_not1_saveexec_b32 s7, s7
; %bb.2791:                             ;   in Loop: Header=BB2_2623 Depth=2
	v_mov_b64_e32 v[16:17], v[38:39]
	v_bfe_u32 v68, v38, 23, 1
; %bb.2792:                             ;   in Loop: Header=BB2_2623 Depth=2
	s_or_b32 exec_lo, exec_lo, s7
	s_delay_alu instid0(VALU_DEP_2) | instskip(NEXT) | instid1(VALU_DEP_2)
	v_lshrrev_b64 v[16:17], 20, v[16:17]
	v_cmp_gt_i32_e32 vcc_lo, 16, v68
	v_cmp_ne_u32_e64 s7, 0, v68
                                        ; implicit-def: $vgpr97
	s_delay_alu instid0(VALU_DEP_3) | instskip(NEXT) | instid1(VALU_DEP_1)
	v_dual_cndmask_b32 v17, 0, v17 :: v_dual_cndmask_b32 v16, 7, v16
	v_cmp_ne_u64_e32 vcc_lo, 0, v[16:17]
	s_or_b32 s7, s7, vcc_lo
	s_delay_alu instid0(SALU_CYCLE_1) | instskip(NEXT) | instid1(SALU_CYCLE_1)
	s_and_saveexec_b32 s40, s7
	s_xor_b32 s7, exec_lo, s40
; %bb.2793:                             ;   in Loop: Header=BB2_2623 Depth=2
	v_min_i32_e32 v17, 15, v68
	s_delay_alu instid0(VALU_DEP_1) | instskip(NEXT) | instid1(VALU_DEP_1)
	v_lshl_or_b32 v17, v17, 3, v99
                                        ; implicit-def: $vgpr99
	v_and_or_b32 v97, v16, 7, v17
; %bb.2794:                             ;   in Loop: Header=BB2_2623 Depth=2
	s_and_not1_saveexec_b32 s7, s7
; %bb.2795:                             ;   in Loop: Header=BB2_2623 Depth=2
	v_mov_b32_e32 v97, v99
; %bb.2796:                             ;   in Loop: Header=BB2_2623 Depth=2
	s_or_b32 exec_lo, exec_lo, s7
.LBB2_2797:                             ;   in Loop: Header=BB2_2623 Depth=2
	s_delay_alu instid0(SALU_CYCLE_1)
	s_or_b32 exec_lo, exec_lo, s29
                                        ; implicit-def: $vgpr99
.LBB2_2798:                             ;   in Loop: Header=BB2_2623 Depth=2
	s_and_not1_saveexec_b32 s7, s28
; %bb.2799:                             ;   in Loop: Header=BB2_2623 Depth=2
	v_or_b32_e32 v97, 0x7e, v99
; %bb.2800:                             ;   in Loop: Header=BB2_2623 Depth=2
	s_or_b32 exec_lo, exec_lo, s7
                                        ; implicit-def: $vgpr17
.LBB2_2801:                             ;   in Loop: Header=BB2_2623 Depth=2
	s_and_not1_saveexec_b32 s7, s27
; %bb.2802:                             ;   in Loop: Header=BB2_2623 Depth=2
	v_or_b32_e32 v97, 0x7f, v17
; %bb.2803:                             ;   in Loop: Header=BB2_2623 Depth=2
	s_or_b32 exec_lo, exec_lo, s7
	v_and_b32_e32 v38, 0xff, v96
	v_dual_mov_b32 v16, 0 :: v_dual_mov_b32 v17, 0
	s_mov_b32 s7, exec_lo
	s_delay_alu instid0(VALU_DEP_2)
	v_cmpx_ne_u16_e32 0, v38
	s_cbranch_execz .LBB2_2811
; %bb.2804:                             ;   in Loop: Header=BB2_2623 Depth=2
	v_bfrev_b32_e32 v17, 1
	s_mov_b32 s27, exec_lo
	v_cmpx_ne_u16_e32 0x80, v38
	s_cbranch_execz .LBB2_2810
; %bb.2805:                             ;   in Loop: Header=BB2_2623 Depth=2
	v_and_b32_e32 v68, 0x7f, v96
	v_mov_b32_e32 v17, 0x7f800001
	s_mov_b32 s28, exec_lo
	s_delay_alu instid0(VALU_DEP_2)
	v_cmpx_ne_u32_e32 0x7f, v68
	s_cbranch_execz .LBB2_2809
; %bb.2806:                             ;   in Loop: Header=BB2_2623 Depth=2
	v_dual_lshrrev_b32 v17, 3, v68 :: v_dual_bitop2_b32 v38, 7, v38 bitop3:0x40
	s_mov_b32 s29, exec_lo
	v_cmpx_gt_u32_e32 8, v68
; %bb.2807:                             ;   in Loop: Header=BB2_2623 Depth=2
	s_delay_alu instid0(VALU_DEP_2) | instskip(NEXT) | instid1(VALU_DEP_1)
	v_clz_i32_u32_e32 v17, v38
	v_min_u32_e32 v17, 32, v17
	s_delay_alu instid0(VALU_DEP_1) | instskip(NEXT) | instid1(VALU_DEP_1)
	v_subrev_nc_u32_e32 v68, 28, v17
	v_lshlrev_b64_e32 v[68:69], v68, v[38:39]
	s_delay_alu instid0(VALU_DEP_1)
	v_dual_sub_nc_u32 v17, 29, v17 :: v_dual_bitop2_b32 v38, 7, v68 bitop3:0x40
; %bb.2808:                             ;   in Loop: Header=BB2_2623 Depth=2
	s_or_b32 exec_lo, exec_lo, s29
	s_delay_alu instid0(VALU_DEP_1) | instskip(NEXT) | instid1(VALU_DEP_2)
	v_dual_lshlrev_b32 v68, 24, v96 :: v_dual_lshlrev_b32 v38, 20, v38
	v_lshl_add_u32 v17, v17, 23, 0x3c000000
	s_delay_alu instid0(VALU_DEP_2) | instskip(NEXT) | instid1(VALU_DEP_1)
	v_and_b32_e32 v68, 0x80000000, v68
	v_or3_b32 v17, v38, v68, v17
.LBB2_2809:                             ;   in Loop: Header=BB2_2623 Depth=2
	s_or_b32 exec_lo, exec_lo, s28
.LBB2_2810:                             ;   in Loop: Header=BB2_2623 Depth=2
	s_delay_alu instid0(SALU_CYCLE_1)
	s_or_b32 exec_lo, exec_lo, s27
.LBB2_2811:                             ;   in Loop: Header=BB2_2623 Depth=2
	s_delay_alu instid0(SALU_CYCLE_1) | instskip(SKIP_3) | instid1(VALU_DEP_1)
	s_or_b32 exec_lo, exec_lo, s7
	s_wait_loadcnt_dscnt 0x202
	v_and_b32_e32 v38, 0xff, v86
	s_mov_b32 s7, exec_lo
	v_cmpx_ne_u16_e32 0, v38
	s_cbranch_execz .LBB2_2819
; %bb.2812:                             ;   in Loop: Header=BB2_2623 Depth=2
	v_bfrev_b32_e32 v16, 1
	s_mov_b32 s27, exec_lo
	v_cmpx_ne_u16_e32 0x80, v38
	s_cbranch_execz .LBB2_2818
; %bb.2813:                             ;   in Loop: Header=BB2_2623 Depth=2
	v_and_b32_e32 v68, 0x7f, v86
	v_mov_b32_e32 v16, 0x7f800001
	s_mov_b32 s28, exec_lo
	s_delay_alu instid0(VALU_DEP_2)
	v_cmpx_ne_u32_e32 0x7f, v68
	s_cbranch_execz .LBB2_2817
; %bb.2814:                             ;   in Loop: Header=BB2_2623 Depth=2
	v_dual_lshrrev_b32 v16, 3, v68 :: v_dual_bitop2_b32 v38, 7, v38 bitop3:0x40
	s_mov_b32 s29, exec_lo
	v_cmpx_gt_u32_e32 8, v68
; %bb.2815:                             ;   in Loop: Header=BB2_2623 Depth=2
	s_delay_alu instid0(VALU_DEP_2) | instskip(NEXT) | instid1(VALU_DEP_1)
	v_clz_i32_u32_e32 v16, v38
	v_min_u32_e32 v16, 32, v16
	s_delay_alu instid0(VALU_DEP_1) | instskip(SKIP_1) | instid1(VALU_DEP_2)
	v_subrev_nc_u32_e32 v68, 28, v16
	v_sub_nc_u32_e32 v16, 29, v16
	v_lshlrev_b64_e32 v[68:69], v68, v[38:39]
	s_delay_alu instid0(VALU_DEP_1)
	v_and_b32_e32 v38, 7, v68
; %bb.2816:                             ;   in Loop: Header=BB2_2623 Depth=2
	s_or_b32 exec_lo, exec_lo, s29
	v_lshlrev_b32_e32 v68, 24, v86
	s_delay_alu instid0(VALU_DEP_2) | instskip(SKIP_1) | instid1(VALU_DEP_3)
	v_lshlrev_b32_e32 v38, 20, v38
	v_lshl_add_u32 v16, v16, 23, 0x3c000000
	v_and_b32_e32 v68, 0x80000000, v68
	s_delay_alu instid0(VALU_DEP_1)
	v_or3_b32 v16, v38, v68, v16
.LBB2_2817:                             ;   in Loop: Header=BB2_2623 Depth=2
	s_or_b32 exec_lo, exec_lo, s28
.LBB2_2818:                             ;   in Loop: Header=BB2_2623 Depth=2
	s_delay_alu instid0(SALU_CYCLE_1)
	s_or_b32 exec_lo, exec_lo, s27
.LBB2_2819:                             ;   in Loop: Header=BB2_2623 Depth=2
	s_delay_alu instid0(SALU_CYCLE_1) | instskip(NEXT) | instid1(VALU_DEP_1)
	s_or_b32 exec_lo, exec_lo, s7
	v_mul_f32_e32 v16, v17, v16
                                        ; implicit-def: $vgpr86
	s_mov_b32 s7, exec_lo
	s_delay_alu instid0(VALU_DEP_1) | instskip(SKIP_1) | instid1(VALU_DEP_2)
	v_and_b32_e32 v38, 0x7f800000, v16
	v_lshrrev_b32_e32 v17, 24, v16
	v_cmpx_ne_u64_e32 0x7f800000, v[38:39]
	s_xor_b32 s27, exec_lo, s7
	s_cbranch_execz .LBB2_2837
; %bb.2820:                             ;   in Loop: Header=BB2_2623 Depth=2
	v_and_b32_e32 v38, 0x7fffffff, v16
	v_and_b32_e32 v96, 0x80, v17
                                        ; implicit-def: $vgpr86
	s_mov_b32 s7, exec_lo
	s_delay_alu instid0(VALU_DEP_2)
	v_cmpx_gt_u64_e32 0x43e00001, v[38:39]
	s_xor_b32 s28, exec_lo, s7
	s_cbranch_execz .LBB2_2834
; %bb.2821:                             ;   in Loop: Header=BB2_2623 Depth=2
	v_mov_b32_e32 v86, 0
	s_mov_b32 s29, exec_lo
	v_cmpx_ne_u32_e32 0, v16
	s_cbranch_execz .LBB2_2833
; %bb.2822:                             ;   in Loop: Header=BB2_2623 Depth=2
	v_bfe_u32 v86, v16, 23, 8
	v_and_b32_e32 v38, 0x7fffff, v16
	s_delay_alu instid0(VALU_DEP_2) | instskip(SKIP_1) | instid1(VALU_DEP_3)
	v_sub_nc_u32_e32 v17, 0x79, v86
	v_cmp_gt_u32_e32 vcc_lo, 0x7a, v86
	v_or_b32_e32 v68, 0x800000, v38
	s_delay_alu instid0(VALU_DEP_3) | instskip(SKIP_1) | instid1(VALU_DEP_2)
	v_cndmask_b32_e32 v17, 0, v17, vcc_lo
	v_cmp_eq_u32_e32 vcc_lo, 0, v86
	v_cndmask_b32_e64 v99, v17, 0x78, vcc_lo
	s_delay_alu instid0(VALU_DEP_1) | instskip(SKIP_1) | instid1(VALU_DEP_2)
	v_dual_cndmask_b32 v38, v68, v38 :: v_dual_add_nc_u32 v69, 19, v99
	v_add_nc_u32_e32 v16, 20, v99
	v_lshlrev_b64_e64 v[68:69], v69, 1
	s_delay_alu instid0(VALU_DEP_2) | instskip(NEXT) | instid1(VALU_DEP_1)
	v_lshlrev_b64_e64 v[16:17], v16, -1
	v_bfi_b32 v119, v17, 0, 0
	s_delay_alu instid0(VALU_DEP_2) | instskip(SKIP_1) | instid1(VALU_DEP_2)
	v_bfi_b32 v118, v16, 0, v38
	v_lshrrev_b64 v[16:17], v99, v[38:39]
	v_cmp_eq_u64_e64 s7, v[118:119], v[68:69]
	s_delay_alu instid0(VALU_DEP_2)
	v_mov_b64_e32 v[68:69], v[16:17]
	s_and_saveexec_b32 s40, s7
; %bb.2823:                             ;   in Loop: Header=BB2_2623 Depth=2
	v_bfe_u32 v38, v16, 20, 1
	s_delay_alu instid0(VALU_DEP_1) | instskip(NEXT) | instid1(VALU_DEP_1)
	v_add_nc_u64_e32 v[68:69], v[16:17], v[38:39]
	v_add_nc_u64_e32 v[68:69], -1, v[68:69]
; %bb.2824:                             ;   in Loop: Header=BB2_2623 Depth=2
	s_or_b32 exec_lo, exec_lo, s40
	v_add_nc_u32_e32 v17, 0xffffff81, v86
	v_lshrrev_b32_e32 v38, 23, v16
	s_mov_b32 s7, exec_lo
	s_delay_alu instid0(VALU_DEP_2) | instskip(NEXT) | instid1(VALU_DEP_1)
	v_cndmask_b32_e64 v17, v17, 0xffffff82, vcc_lo
	v_add3_u32 v69, v99, v17, v38
	v_and_b32_e32 v17, 0xfffff, v68
                                        ; implicit-def: $vgpr68
	s_delay_alu instid0(VALU_DEP_1) | instskip(NEXT) | instid1(VALU_DEP_1)
	v_dual_add_nc_u32 v86, 6, v69 :: v_dual_add_nc_u32 v38, v17, v16
                                        ; implicit-def: $vgpr16_vgpr17
	v_cmpx_ne_u32_e32 0, v86
	s_xor_b32 s7, exec_lo, s7
; %bb.2825:                             ;   in Loop: Header=BB2_2623 Depth=2
	s_delay_alu instid0(VALU_DEP_2) | instskip(SKIP_1) | instid1(VALU_DEP_1)
	v_cmp_lt_u64_e32 vcc_lo, 0xffffff, v[38:39]
	v_add_nc_u32_e32 v16, 7, v69
	v_cndmask_b32_e32 v68, v86, v16, vcc_lo
	v_cndmask_b32_e64 v16, 0, 1, vcc_lo
	s_delay_alu instid0(VALU_DEP_1)
	v_lshrrev_b64 v[16:17], v16, v[38:39]
; %bb.2826:                             ;   in Loop: Header=BB2_2623 Depth=2
	s_and_not1_saveexec_b32 s7, s7
; %bb.2827:                             ;   in Loop: Header=BB2_2623 Depth=2
	v_mov_b64_e32 v[16:17], v[38:39]
	v_bfe_u32 v68, v38, 23, 1
; %bb.2828:                             ;   in Loop: Header=BB2_2623 Depth=2
	s_or_b32 exec_lo, exec_lo, s7
	s_delay_alu instid0(VALU_DEP_2) | instskip(NEXT) | instid1(VALU_DEP_2)
	v_lshrrev_b64 v[16:17], 20, v[16:17]
	v_cmp_gt_i32_e32 vcc_lo, 16, v68
	v_cmp_ne_u32_e64 s7, 0, v68
                                        ; implicit-def: $vgpr86
	s_delay_alu instid0(VALU_DEP_3) | instskip(NEXT) | instid1(VALU_DEP_1)
	v_dual_cndmask_b32 v17, 0, v17 :: v_dual_cndmask_b32 v16, 7, v16
	v_cmp_ne_u64_e32 vcc_lo, 0, v[16:17]
	s_or_b32 s7, s7, vcc_lo
	s_delay_alu instid0(SALU_CYCLE_1) | instskip(NEXT) | instid1(SALU_CYCLE_1)
	s_and_saveexec_b32 s40, s7
	s_xor_b32 s7, exec_lo, s40
; %bb.2829:                             ;   in Loop: Header=BB2_2623 Depth=2
	v_min_i32_e32 v17, 15, v68
	s_delay_alu instid0(VALU_DEP_1) | instskip(NEXT) | instid1(VALU_DEP_1)
	v_lshl_or_b32 v17, v17, 3, v96
                                        ; implicit-def: $vgpr96
	v_and_or_b32 v86, v16, 7, v17
; %bb.2830:                             ;   in Loop: Header=BB2_2623 Depth=2
	s_and_not1_saveexec_b32 s7, s7
; %bb.2831:                             ;   in Loop: Header=BB2_2623 Depth=2
	v_mov_b32_e32 v86, v96
; %bb.2832:                             ;   in Loop: Header=BB2_2623 Depth=2
	s_or_b32 exec_lo, exec_lo, s7
.LBB2_2833:                             ;   in Loop: Header=BB2_2623 Depth=2
	s_delay_alu instid0(SALU_CYCLE_1)
	s_or_b32 exec_lo, exec_lo, s29
                                        ; implicit-def: $vgpr96
.LBB2_2834:                             ;   in Loop: Header=BB2_2623 Depth=2
	s_and_not1_saveexec_b32 s7, s28
; %bb.2835:                             ;   in Loop: Header=BB2_2623 Depth=2
	v_or_b32_e32 v86, 0x7e, v96
; %bb.2836:                             ;   in Loop: Header=BB2_2623 Depth=2
	s_or_b32 exec_lo, exec_lo, s7
                                        ; implicit-def: $vgpr17
.LBB2_2837:                             ;   in Loop: Header=BB2_2623 Depth=2
	s_and_not1_saveexec_b32 s7, s27
; %bb.2838:                             ;   in Loop: Header=BB2_2623 Depth=2
	v_or_b32_e32 v86, 0x7f, v17
; %bb.2839:                             ;   in Loop: Header=BB2_2623 Depth=2
	s_or_b32 exec_lo, exec_lo, s7
	v_and_b32_e32 v38, 0xff, v85
	v_dual_mov_b32 v16, 0 :: v_dual_mov_b32 v17, 0
	s_mov_b32 s7, exec_lo
	s_delay_alu instid0(VALU_DEP_2)
	v_cmpx_ne_u16_e32 0, v38
	s_cbranch_execz .LBB2_2847
; %bb.2840:                             ;   in Loop: Header=BB2_2623 Depth=2
	v_bfrev_b32_e32 v17, 1
	s_mov_b32 s27, exec_lo
	v_cmpx_ne_u16_e32 0x80, v38
	s_cbranch_execz .LBB2_2846
; %bb.2841:                             ;   in Loop: Header=BB2_2623 Depth=2
	v_and_b32_e32 v68, 0x7f, v85
	v_mov_b32_e32 v17, 0x7f800001
	s_mov_b32 s28, exec_lo
	s_delay_alu instid0(VALU_DEP_2)
	v_cmpx_ne_u32_e32 0x7f, v68
	s_cbranch_execz .LBB2_2845
; %bb.2842:                             ;   in Loop: Header=BB2_2623 Depth=2
	v_dual_lshrrev_b32 v17, 3, v68 :: v_dual_bitop2_b32 v38, 7, v38 bitop3:0x40
	s_mov_b32 s29, exec_lo
	v_cmpx_gt_u32_e32 8, v68
; %bb.2843:                             ;   in Loop: Header=BB2_2623 Depth=2
	s_delay_alu instid0(VALU_DEP_2) | instskip(NEXT) | instid1(VALU_DEP_1)
	v_clz_i32_u32_e32 v17, v38
	v_min_u32_e32 v17, 32, v17
	s_delay_alu instid0(VALU_DEP_1) | instskip(NEXT) | instid1(VALU_DEP_1)
	v_subrev_nc_u32_e32 v68, 28, v17
	v_lshlrev_b64_e32 v[68:69], v68, v[38:39]
	s_delay_alu instid0(VALU_DEP_1)
	v_dual_sub_nc_u32 v17, 29, v17 :: v_dual_bitop2_b32 v38, 7, v68 bitop3:0x40
; %bb.2844:                             ;   in Loop: Header=BB2_2623 Depth=2
	s_or_b32 exec_lo, exec_lo, s29
	s_delay_alu instid0(VALU_DEP_1) | instskip(NEXT) | instid1(VALU_DEP_2)
	v_dual_lshlrev_b32 v68, 24, v85 :: v_dual_lshlrev_b32 v38, 20, v38
	v_lshl_add_u32 v17, v17, 23, 0x3c000000
	s_delay_alu instid0(VALU_DEP_2) | instskip(NEXT) | instid1(VALU_DEP_1)
	v_and_b32_e32 v68, 0x80000000, v68
	v_or3_b32 v17, v38, v68, v17
.LBB2_2845:                             ;   in Loop: Header=BB2_2623 Depth=2
	s_or_b32 exec_lo, exec_lo, s28
.LBB2_2846:                             ;   in Loop: Header=BB2_2623 Depth=2
	s_delay_alu instid0(SALU_CYCLE_1)
	s_or_b32 exec_lo, exec_lo, s27
.LBB2_2847:                             ;   in Loop: Header=BB2_2623 Depth=2
	s_delay_alu instid0(SALU_CYCLE_1) | instskip(SKIP_3) | instid1(VALU_DEP_1)
	s_or_b32 exec_lo, exec_lo, s7
	s_wait_loadcnt_dscnt 0x101
	v_and_b32_e32 v38, 0xff, v83
	s_mov_b32 s7, exec_lo
	v_cmpx_ne_u16_e32 0, v38
	s_cbranch_execz .LBB2_2855
; %bb.2848:                             ;   in Loop: Header=BB2_2623 Depth=2
	v_bfrev_b32_e32 v16, 1
	s_mov_b32 s27, exec_lo
	v_cmpx_ne_u16_e32 0x80, v38
	s_cbranch_execz .LBB2_2854
; %bb.2849:                             ;   in Loop: Header=BB2_2623 Depth=2
	v_and_b32_e32 v68, 0x7f, v83
	v_mov_b32_e32 v16, 0x7f800001
	s_mov_b32 s28, exec_lo
	s_delay_alu instid0(VALU_DEP_2)
	v_cmpx_ne_u32_e32 0x7f, v68
	s_cbranch_execz .LBB2_2853
; %bb.2850:                             ;   in Loop: Header=BB2_2623 Depth=2
	v_dual_lshrrev_b32 v16, 3, v68 :: v_dual_bitop2_b32 v38, 7, v38 bitop3:0x40
	s_mov_b32 s29, exec_lo
	v_cmpx_gt_u32_e32 8, v68
; %bb.2851:                             ;   in Loop: Header=BB2_2623 Depth=2
	s_delay_alu instid0(VALU_DEP_2) | instskip(NEXT) | instid1(VALU_DEP_1)
	v_clz_i32_u32_e32 v16, v38
	v_min_u32_e32 v16, 32, v16
	s_delay_alu instid0(VALU_DEP_1) | instskip(SKIP_1) | instid1(VALU_DEP_2)
	v_subrev_nc_u32_e32 v68, 28, v16
	v_sub_nc_u32_e32 v16, 29, v16
	v_lshlrev_b64_e32 v[68:69], v68, v[38:39]
	s_delay_alu instid0(VALU_DEP_1)
	v_and_b32_e32 v38, 7, v68
; %bb.2852:                             ;   in Loop: Header=BB2_2623 Depth=2
	s_or_b32 exec_lo, exec_lo, s29
	s_delay_alu instid0(VALU_DEP_1) | instskip(SKIP_1) | instid1(VALU_DEP_2)
	v_dual_lshlrev_b32 v68, 24, v83 :: v_dual_lshlrev_b32 v38, 20, v38
	v_lshl_add_u32 v16, v16, 23, 0x3c000000
	v_and_b32_e32 v68, 0x80000000, v68
	s_delay_alu instid0(VALU_DEP_1)
	v_or3_b32 v16, v38, v68, v16
.LBB2_2853:                             ;   in Loop: Header=BB2_2623 Depth=2
	s_or_b32 exec_lo, exec_lo, s28
.LBB2_2854:                             ;   in Loop: Header=BB2_2623 Depth=2
	s_delay_alu instid0(SALU_CYCLE_1)
	s_or_b32 exec_lo, exec_lo, s27
.LBB2_2855:                             ;   in Loop: Header=BB2_2623 Depth=2
	s_delay_alu instid0(SALU_CYCLE_1) | instskip(NEXT) | instid1(VALU_DEP_1)
	s_or_b32 exec_lo, exec_lo, s7
	v_mul_f32_e32 v16, v17, v16
                                        ; implicit-def: $vgpr83
	s_mov_b32 s7, exec_lo
	s_delay_alu instid0(VALU_DEP_1) | instskip(SKIP_1) | instid1(VALU_DEP_2)
	v_and_b32_e32 v38, 0x7f800000, v16
	v_lshrrev_b32_e32 v17, 24, v16
	v_cmpx_ne_u64_e32 0x7f800000, v[38:39]
	s_xor_b32 s27, exec_lo, s7
	s_cbranch_execz .LBB2_2873
; %bb.2856:                             ;   in Loop: Header=BB2_2623 Depth=2
	v_and_b32_e32 v38, 0x7fffffff, v16
	v_and_b32_e32 v85, 0x80, v17
                                        ; implicit-def: $vgpr83
	s_mov_b32 s7, exec_lo
	s_delay_alu instid0(VALU_DEP_2)
	v_cmpx_gt_u64_e32 0x43e00001, v[38:39]
	s_xor_b32 s28, exec_lo, s7
	s_cbranch_execz .LBB2_2870
; %bb.2857:                             ;   in Loop: Header=BB2_2623 Depth=2
	v_mov_b32_e32 v83, 0
	s_mov_b32 s29, exec_lo
	v_cmpx_ne_u32_e32 0, v16
	s_cbranch_execz .LBB2_2869
; %bb.2858:                             ;   in Loop: Header=BB2_2623 Depth=2
	v_bfe_u32 v83, v16, 23, 8
	v_and_b32_e32 v38, 0x7fffff, v16
	s_delay_alu instid0(VALU_DEP_2) | instskip(NEXT) | instid1(VALU_DEP_2)
	v_cmp_gt_u32_e32 vcc_lo, 0x7a, v83
	v_or_b32_e32 v68, 0x800000, v38
	v_sub_nc_u32_e32 v17, 0x79, v83
	s_delay_alu instid0(VALU_DEP_1) | instskip(SKIP_1) | instid1(VALU_DEP_2)
	v_cndmask_b32_e32 v17, 0, v17, vcc_lo
	v_cmp_eq_u32_e32 vcc_lo, 0, v83
	v_cndmask_b32_e64 v96, v17, 0x78, vcc_lo
	s_delay_alu instid0(VALU_DEP_1) | instskip(SKIP_1) | instid1(VALU_DEP_2)
	v_dual_cndmask_b32 v38, v68, v38, vcc_lo :: v_dual_add_nc_u32 v16, 20, v96
	v_add_nc_u32_e32 v69, 19, v96
	v_lshlrev_b64_e64 v[16:17], v16, -1
	s_delay_alu instid0(VALU_DEP_2) | instskip(NEXT) | instid1(VALU_DEP_2)
	v_lshlrev_b64_e64 v[68:69], v69, 1
	v_bfi_b32 v119, v17, 0, 0
	s_delay_alu instid0(VALU_DEP_3) | instskip(SKIP_1) | instid1(VALU_DEP_2)
	v_bfi_b32 v118, v16, 0, v38
	v_lshrrev_b64 v[16:17], v96, v[38:39]
	v_cmp_eq_u64_e64 s7, v[118:119], v[68:69]
	s_delay_alu instid0(VALU_DEP_2)
	v_mov_b64_e32 v[68:69], v[16:17]
	s_and_saveexec_b32 s40, s7
; %bb.2859:                             ;   in Loop: Header=BB2_2623 Depth=2
	v_bfe_u32 v38, v16, 20, 1
	s_delay_alu instid0(VALU_DEP_1) | instskip(NEXT) | instid1(VALU_DEP_1)
	v_add_nc_u64_e32 v[68:69], v[16:17], v[38:39]
	v_add_nc_u64_e32 v[68:69], -1, v[68:69]
; %bb.2860:                             ;   in Loop: Header=BB2_2623 Depth=2
	s_or_b32 exec_lo, exec_lo, s40
	v_add_nc_u32_e32 v17, 0xffffff81, v83
	v_lshrrev_b32_e32 v38, 23, v16
	s_mov_b32 s7, exec_lo
	s_delay_alu instid0(VALU_DEP_2) | instskip(NEXT) | instid1(VALU_DEP_1)
	v_cndmask_b32_e64 v17, v17, 0xffffff82, vcc_lo
	v_add3_u32 v69, v96, v17, v38
	v_and_b32_e32 v17, 0xfffff, v68
                                        ; implicit-def: $vgpr68
	s_delay_alu instid0(VALU_DEP_1) | instskip(NEXT) | instid1(VALU_DEP_1)
	v_dual_add_nc_u32 v83, 6, v69 :: v_dual_add_nc_u32 v38, v17, v16
                                        ; implicit-def: $vgpr16_vgpr17
	v_cmpx_ne_u32_e32 0, v83
	s_xor_b32 s7, exec_lo, s7
; %bb.2861:                             ;   in Loop: Header=BB2_2623 Depth=2
	s_delay_alu instid0(VALU_DEP_2) | instskip(SKIP_1) | instid1(VALU_DEP_1)
	v_cmp_lt_u64_e32 vcc_lo, 0xffffff, v[38:39]
	v_add_nc_u32_e32 v16, 7, v69
	v_cndmask_b32_e32 v68, v83, v16, vcc_lo
	v_cndmask_b32_e64 v16, 0, 1, vcc_lo
	s_delay_alu instid0(VALU_DEP_1)
	v_lshrrev_b64 v[16:17], v16, v[38:39]
; %bb.2862:                             ;   in Loop: Header=BB2_2623 Depth=2
	s_and_not1_saveexec_b32 s7, s7
; %bb.2863:                             ;   in Loop: Header=BB2_2623 Depth=2
	v_mov_b64_e32 v[16:17], v[38:39]
	v_bfe_u32 v68, v38, 23, 1
; %bb.2864:                             ;   in Loop: Header=BB2_2623 Depth=2
	s_or_b32 exec_lo, exec_lo, s7
	s_delay_alu instid0(VALU_DEP_2) | instskip(NEXT) | instid1(VALU_DEP_2)
	v_lshrrev_b64 v[16:17], 20, v[16:17]
	v_cmp_gt_i32_e32 vcc_lo, 16, v68
	v_cmp_ne_u32_e64 s7, 0, v68
                                        ; implicit-def: $vgpr83
	s_delay_alu instid0(VALU_DEP_3) | instskip(NEXT) | instid1(VALU_DEP_1)
	v_dual_cndmask_b32 v17, 0, v17 :: v_dual_cndmask_b32 v16, 7, v16
	v_cmp_ne_u64_e32 vcc_lo, 0, v[16:17]
	s_or_b32 s7, s7, vcc_lo
	s_delay_alu instid0(SALU_CYCLE_1) | instskip(NEXT) | instid1(SALU_CYCLE_1)
	s_and_saveexec_b32 s40, s7
	s_xor_b32 s7, exec_lo, s40
; %bb.2865:                             ;   in Loop: Header=BB2_2623 Depth=2
	v_min_i32_e32 v17, 15, v68
	s_delay_alu instid0(VALU_DEP_1) | instskip(NEXT) | instid1(VALU_DEP_1)
	v_lshl_or_b32 v17, v17, 3, v85
                                        ; implicit-def: $vgpr85
	v_and_or_b32 v83, v16, 7, v17
; %bb.2866:                             ;   in Loop: Header=BB2_2623 Depth=2
	s_and_not1_saveexec_b32 s7, s7
; %bb.2867:                             ;   in Loop: Header=BB2_2623 Depth=2
	v_mov_b32_e32 v83, v85
; %bb.2868:                             ;   in Loop: Header=BB2_2623 Depth=2
	s_or_b32 exec_lo, exec_lo, s7
.LBB2_2869:                             ;   in Loop: Header=BB2_2623 Depth=2
	s_delay_alu instid0(SALU_CYCLE_1)
	s_or_b32 exec_lo, exec_lo, s29
                                        ; implicit-def: $vgpr85
.LBB2_2870:                             ;   in Loop: Header=BB2_2623 Depth=2
	s_and_not1_saveexec_b32 s7, s28
; %bb.2871:                             ;   in Loop: Header=BB2_2623 Depth=2
	v_or_b32_e32 v83, 0x7e, v85
; %bb.2872:                             ;   in Loop: Header=BB2_2623 Depth=2
	s_or_b32 exec_lo, exec_lo, s7
                                        ; implicit-def: $vgpr17
.LBB2_2873:                             ;   in Loop: Header=BB2_2623 Depth=2
	s_and_not1_saveexec_b32 s7, s27
; %bb.2874:                             ;   in Loop: Header=BB2_2623 Depth=2
	v_or_b32_e32 v83, 0x7f, v17
; %bb.2875:                             ;   in Loop: Header=BB2_2623 Depth=2
	s_or_b32 exec_lo, exec_lo, s7
	v_and_b32_e32 v38, 0xff, v82
	v_dual_mov_b32 v16, 0 :: v_dual_mov_b32 v17, 0
	s_mov_b32 s7, exec_lo
	s_delay_alu instid0(VALU_DEP_2)
	v_cmpx_ne_u16_e32 0, v38
	s_cbranch_execz .LBB2_2883
; %bb.2876:                             ;   in Loop: Header=BB2_2623 Depth=2
	v_bfrev_b32_e32 v17, 1
	s_mov_b32 s27, exec_lo
	v_cmpx_ne_u16_e32 0x80, v38
	s_cbranch_execz .LBB2_2882
; %bb.2877:                             ;   in Loop: Header=BB2_2623 Depth=2
	v_and_b32_e32 v68, 0x7f, v82
	v_mov_b32_e32 v17, 0x7f800001
	s_mov_b32 s28, exec_lo
	s_delay_alu instid0(VALU_DEP_2)
	v_cmpx_ne_u32_e32 0x7f, v68
	s_cbranch_execz .LBB2_2881
; %bb.2878:                             ;   in Loop: Header=BB2_2623 Depth=2
	v_dual_lshrrev_b32 v17, 3, v68 :: v_dual_bitop2_b32 v38, 7, v38 bitop3:0x40
	s_mov_b32 s29, exec_lo
	v_cmpx_gt_u32_e32 8, v68
; %bb.2879:                             ;   in Loop: Header=BB2_2623 Depth=2
	s_delay_alu instid0(VALU_DEP_2) | instskip(NEXT) | instid1(VALU_DEP_1)
	v_clz_i32_u32_e32 v17, v38
	v_min_u32_e32 v17, 32, v17
	s_delay_alu instid0(VALU_DEP_1) | instskip(NEXT) | instid1(VALU_DEP_1)
	v_subrev_nc_u32_e32 v68, 28, v17
	v_lshlrev_b64_e32 v[68:69], v68, v[38:39]
	s_delay_alu instid0(VALU_DEP_1)
	v_dual_sub_nc_u32 v17, 29, v17 :: v_dual_bitop2_b32 v38, 7, v68 bitop3:0x40
; %bb.2880:                             ;   in Loop: Header=BB2_2623 Depth=2
	s_or_b32 exec_lo, exec_lo, s29
	v_lshlrev_b32_e32 v68, 24, v82
	s_delay_alu instid0(VALU_DEP_2) | instskip(NEXT) | instid1(VALU_DEP_3)
	v_lshlrev_b32_e32 v38, 20, v38
	v_lshl_add_u32 v17, v17, 23, 0x3c000000
	s_delay_alu instid0(VALU_DEP_3) | instskip(NEXT) | instid1(VALU_DEP_1)
	v_and_b32_e32 v68, 0x80000000, v68
	v_or3_b32 v17, v38, v68, v17
.LBB2_2881:                             ;   in Loop: Header=BB2_2623 Depth=2
	s_or_b32 exec_lo, exec_lo, s28
.LBB2_2882:                             ;   in Loop: Header=BB2_2623 Depth=2
	s_delay_alu instid0(SALU_CYCLE_1)
	s_or_b32 exec_lo, exec_lo, s27
.LBB2_2883:                             ;   in Loop: Header=BB2_2623 Depth=2
	s_delay_alu instid0(SALU_CYCLE_1) | instskip(SKIP_3) | instid1(VALU_DEP_1)
	s_or_b32 exec_lo, exec_lo, s7
	s_wait_loadcnt_dscnt 0x0
	v_and_b32_e32 v38, 0xff, v70
	s_mov_b32 s7, exec_lo
	v_cmpx_ne_u16_e32 0, v38
	s_cbranch_execz .LBB2_2891
; %bb.2884:                             ;   in Loop: Header=BB2_2623 Depth=2
	v_bfrev_b32_e32 v16, 1
	s_mov_b32 s27, exec_lo
	v_cmpx_ne_u16_e32 0x80, v38
	s_cbranch_execz .LBB2_2890
; %bb.2885:                             ;   in Loop: Header=BB2_2623 Depth=2
	v_and_b32_e32 v68, 0x7f, v70
	v_mov_b32_e32 v16, 0x7f800001
	s_mov_b32 s28, exec_lo
	s_delay_alu instid0(VALU_DEP_2)
	v_cmpx_ne_u32_e32 0x7f, v68
	s_cbranch_execz .LBB2_2889
; %bb.2886:                             ;   in Loop: Header=BB2_2623 Depth=2
	v_dual_lshrrev_b32 v16, 3, v68 :: v_dual_bitop2_b32 v38, 7, v38 bitop3:0x40
	s_mov_b32 s29, exec_lo
	v_cmpx_gt_u32_e32 8, v68
; %bb.2887:                             ;   in Loop: Header=BB2_2623 Depth=2
	s_delay_alu instid0(VALU_DEP_2) | instskip(NEXT) | instid1(VALU_DEP_1)
	v_clz_i32_u32_e32 v16, v38
	v_min_u32_e32 v16, 32, v16
	s_delay_alu instid0(VALU_DEP_1) | instskip(SKIP_1) | instid1(VALU_DEP_2)
	v_subrev_nc_u32_e32 v68, 28, v16
	v_sub_nc_u32_e32 v16, 29, v16
	v_lshlrev_b64_e32 v[68:69], v68, v[38:39]
	s_delay_alu instid0(VALU_DEP_1)
	v_and_b32_e32 v38, 7, v68
; %bb.2888:                             ;   in Loop: Header=BB2_2623 Depth=2
	s_or_b32 exec_lo, exec_lo, s29
	v_lshlrev_b32_e32 v68, 24, v70
	s_delay_alu instid0(VALU_DEP_2) | instskip(SKIP_1) | instid1(VALU_DEP_3)
	v_lshlrev_b32_e32 v38, 20, v38
	v_lshl_add_u32 v16, v16, 23, 0x3c000000
	v_and_b32_e32 v68, 0x80000000, v68
	s_delay_alu instid0(VALU_DEP_1)
	v_or3_b32 v16, v38, v68, v16
.LBB2_2889:                             ;   in Loop: Header=BB2_2623 Depth=2
	s_or_b32 exec_lo, exec_lo, s28
.LBB2_2890:                             ;   in Loop: Header=BB2_2623 Depth=2
	s_delay_alu instid0(SALU_CYCLE_1)
	s_or_b32 exec_lo, exec_lo, s27
.LBB2_2891:                             ;   in Loop: Header=BB2_2623 Depth=2
	s_delay_alu instid0(SALU_CYCLE_1) | instskip(NEXT) | instid1(VALU_DEP_1)
	s_or_b32 exec_lo, exec_lo, s7
	v_mul_f32_e32 v16, v17, v16
                                        ; implicit-def: $vgpr17
	s_mov_b32 s7, exec_lo
	s_delay_alu instid0(VALU_DEP_1) | instskip(SKIP_1) | instid1(VALU_DEP_2)
	v_and_b32_e32 v38, 0x7f800000, v16
	v_lshrrev_b32_e32 v68, 24, v16
	v_cmpx_ne_u64_e32 0x7f800000, v[38:39]
	s_xor_b32 s27, exec_lo, s7
	s_cbranch_execz .LBB2_2909
; %bb.2892:                             ;   in Loop: Header=BB2_2623 Depth=2
	v_and_b32_e32 v38, 0x7fffffff, v16
	v_and_b32_e32 v70, 0x80, v68
                                        ; implicit-def: $vgpr17
	s_mov_b32 s7, exec_lo
	s_delay_alu instid0(VALU_DEP_2)
	v_cmpx_gt_u64_e32 0x43e00001, v[38:39]
	s_xor_b32 s28, exec_lo, s7
	s_cbranch_execz .LBB2_2906
; %bb.2893:                             ;   in Loop: Header=BB2_2623 Depth=2
	v_mov_b32_e32 v17, 0
	s_mov_b32 s29, exec_lo
	v_cmpx_ne_u32_e32 0, v16
	s_cbranch_execz .LBB2_2905
; %bb.2894:                             ;   in Loop: Header=BB2_2623 Depth=2
	v_bfe_u32 v82, v16, 23, 8
	v_and_b32_e32 v38, 0x7fffff, v16
	s_delay_alu instid0(VALU_DEP_2) | instskip(SKIP_1) | instid1(VALU_DEP_3)
	v_sub_nc_u32_e32 v17, 0x79, v82
	v_cmp_gt_u32_e32 vcc_lo, 0x7a, v82
	v_or_b32_e32 v68, 0x800000, v38
	s_delay_alu instid0(VALU_DEP_3) | instskip(SKIP_1) | instid1(VALU_DEP_3)
	v_cndmask_b32_e32 v17, 0, v17, vcc_lo
	v_cmp_eq_u32_e32 vcc_lo, 0, v82
	v_cndmask_b32_e32 v38, v68, v38, vcc_lo
	s_delay_alu instid0(VALU_DEP_3) | instskip(NEXT) | instid1(VALU_DEP_1)
	v_cndmask_b32_e64 v85, v17, 0x78, vcc_lo
	v_dual_add_nc_u32 v16, 20, v85 :: v_dual_add_nc_u32 v69, 19, v85
	s_delay_alu instid0(VALU_DEP_1) | instskip(NEXT) | instid1(VALU_DEP_2)
	v_lshlrev_b64_e64 v[16:17], v16, -1
	v_lshlrev_b64_e64 v[68:69], v69, 1
	s_delay_alu instid0(VALU_DEP_2) | instskip(NEXT) | instid1(VALU_DEP_3)
	v_bfi_b32 v119, v17, 0, 0
	v_bfi_b32 v118, v16, 0, v38
	v_lshrrev_b64 v[16:17], v85, v[38:39]
	s_delay_alu instid0(VALU_DEP_2) | instskip(NEXT) | instid1(VALU_DEP_2)
	v_cmp_eq_u64_e64 s7, v[118:119], v[68:69]
	v_mov_b64_e32 v[68:69], v[16:17]
	s_and_saveexec_b32 s40, s7
; %bb.2895:                             ;   in Loop: Header=BB2_2623 Depth=2
	v_bfe_u32 v38, v16, 20, 1
	s_delay_alu instid0(VALU_DEP_1) | instskip(NEXT) | instid1(VALU_DEP_1)
	v_add_nc_u64_e32 v[68:69], v[16:17], v[38:39]
	v_add_nc_u64_e32 v[68:69], -1, v[68:69]
; %bb.2896:                             ;   in Loop: Header=BB2_2623 Depth=2
	s_or_b32 exec_lo, exec_lo, s40
	v_add_nc_u32_e32 v17, 0xffffff81, v82
	v_lshrrev_b32_e32 v38, 23, v16
	s_mov_b32 s7, exec_lo
	s_delay_alu instid0(VALU_DEP_2) | instskip(NEXT) | instid1(VALU_DEP_1)
	v_cndmask_b32_e64 v17, v17, 0xffffff82, vcc_lo
	v_add3_u32 v69, v85, v17, v38
	v_and_b32_e32 v17, 0xfffff, v68
                                        ; implicit-def: $vgpr68
	s_delay_alu instid0(VALU_DEP_1) | instskip(NEXT) | instid1(VALU_DEP_1)
	v_dual_add_nc_u32 v82, 6, v69 :: v_dual_add_nc_u32 v38, v17, v16
                                        ; implicit-def: $vgpr16_vgpr17
	v_cmpx_ne_u32_e32 0, v82
	s_xor_b32 s7, exec_lo, s7
; %bb.2897:                             ;   in Loop: Header=BB2_2623 Depth=2
	s_delay_alu instid0(VALU_DEP_2) | instskip(SKIP_1) | instid1(VALU_DEP_1)
	v_cmp_lt_u64_e32 vcc_lo, 0xffffff, v[38:39]
	v_add_nc_u32_e32 v16, 7, v69
	v_cndmask_b32_e32 v68, v82, v16, vcc_lo
	v_cndmask_b32_e64 v16, 0, 1, vcc_lo
	s_delay_alu instid0(VALU_DEP_1)
	v_lshrrev_b64 v[16:17], v16, v[38:39]
; %bb.2898:                             ;   in Loop: Header=BB2_2623 Depth=2
	s_and_not1_saveexec_b32 s7, s7
; %bb.2899:                             ;   in Loop: Header=BB2_2623 Depth=2
	v_mov_b64_e32 v[16:17], v[38:39]
	v_bfe_u32 v68, v38, 23, 1
; %bb.2900:                             ;   in Loop: Header=BB2_2623 Depth=2
	s_or_b32 exec_lo, exec_lo, s7
	s_delay_alu instid0(VALU_DEP_2) | instskip(NEXT) | instid1(VALU_DEP_2)
	v_lshrrev_b64 v[16:17], 20, v[16:17]
	v_cmp_gt_i32_e32 vcc_lo, 16, v68
	v_cmp_ne_u32_e64 s7, 0, v68
	s_delay_alu instid0(VALU_DEP_3) | instskip(NEXT) | instid1(VALU_DEP_1)
	v_dual_cndmask_b32 v17, 0, v17 :: v_dual_cndmask_b32 v16, 7, v16
	v_cmp_ne_u64_e32 vcc_lo, 0, v[16:17]
                                        ; implicit-def: $vgpr17
	s_or_b32 s7, s7, vcc_lo
	s_delay_alu instid0(SALU_CYCLE_1) | instskip(NEXT) | instid1(SALU_CYCLE_1)
	s_and_saveexec_b32 s40, s7
	s_xor_b32 s7, exec_lo, s40
; %bb.2901:                             ;   in Loop: Header=BB2_2623 Depth=2
	v_min_i32_e32 v17, 15, v68
	s_delay_alu instid0(VALU_DEP_1) | instskip(NEXT) | instid1(VALU_DEP_1)
	v_lshl_or_b32 v17, v17, 3, v70
                                        ; implicit-def: $vgpr70
	v_and_or_b32 v17, v16, 7, v17
; %bb.2902:                             ;   in Loop: Header=BB2_2623 Depth=2
	s_and_not1_saveexec_b32 s7, s7
; %bb.2903:                             ;   in Loop: Header=BB2_2623 Depth=2
	v_mov_b32_e32 v17, v70
; %bb.2904:                             ;   in Loop: Header=BB2_2623 Depth=2
	s_or_b32 exec_lo, exec_lo, s7
.LBB2_2905:                             ;   in Loop: Header=BB2_2623 Depth=2
	s_delay_alu instid0(SALU_CYCLE_1)
	s_or_b32 exec_lo, exec_lo, s29
                                        ; implicit-def: $vgpr70
.LBB2_2906:                             ;   in Loop: Header=BB2_2623 Depth=2
	s_and_not1_saveexec_b32 s7, s28
; %bb.2907:                             ;   in Loop: Header=BB2_2623 Depth=2
	v_or_b32_e32 v17, 0x7e, v70
; %bb.2908:                             ;   in Loop: Header=BB2_2623 Depth=2
	s_or_b32 exec_lo, exec_lo, s7
                                        ; implicit-def: $vgpr68
.LBB2_2909:                             ;   in Loop: Header=BB2_2623 Depth=2
	s_and_not1_saveexec_b32 s7, s27
	s_cbranch_execz .LBB2_2622
; %bb.2910:                             ;   in Loop: Header=BB2_2623 Depth=2
	v_or_b32_e32 v17, 0x7f, v68
	s_branch .LBB2_2622
.LBB2_2911:                             ;   in Loop: Header=BB2_1545 Depth=1
	s_or_b32 exec_lo, exec_lo, s26
.LBB2_2912:                             ;   in Loop: Header=BB2_1545 Depth=1
	s_delay_alu instid0(SALU_CYCLE_1) | instskip(SKIP_1) | instid1(VALU_DEP_1)
	s_or_b32 exec_lo, exec_lo, s11
	v_and_b32_e32 v10, 0x3fffff00, v116
	v_cmp_ne_u32_e32 vcc_lo, v116, v10
	s_and_b32 exec_lo, exec_lo, vcc_lo
	s_cbranch_execz .LBB2_2952
; %bb.2913:                             ;   in Loop: Header=BB2_1545 Depth=1
	v_dual_lshlrev_b32 v11, 5, v80 :: v_dual_lshlrev_b32 v12, 5, v81
	s_delay_alu instid0(VALU_DEP_1) | instskip(NEXT) | instid1(VALU_DEP_1)
	v_sub_nc_u32_e32 v11, v30, v11
	v_sub_nc_u32_e32 v11, v11, v12
	v_and_b32_e32 v12, 0xff, v116
	s_delay_alu instid0(VALU_DEP_1) | instskip(NEXT) | instid1(VALU_DEP_1)
	v_sub_nc_u32_e32 v30, v12, v11
	v_cmp_lt_i32_e32 vcc_lo, 0, v30
	s_and_b32 exec_lo, exec_lo, vcc_lo
	s_cbranch_execz .LBB2_2952
; %bb.2914:                             ;   in Loop: Header=BB2_1545 Depth=1
	s_trap 2
	ds_load_b128 v[12:15], v0
	ds_load_b64 v[16:17], v0
	v_add3_u32 v68, v10, v115, v11
	s_mov_b32 s11, 0
	s_delay_alu instid0(VALU_DEP_1) | instskip(SKIP_1) | instid1(VALU_DEP_1)
	v_ashrrev_i32_e32 v69, 31, v68
	s_wait_dscnt 0x1
	v_add_nc_u64_e32 v[10:11], v[12:13], v[68:69]
	v_add_nc_u64_e32 v[12:13], v[14:15], v[68:69]
	s_wait_dscnt 0x0
	v_add_nc_u64_e32 v[14:15], v[16:17], v[68:69]
	s_branch .LBB2_2916
.LBB2_2915:                             ;   in Loop: Header=BB2_2916 Depth=2
	s_or_b32 exec_lo, exec_lo, s7
	v_sub_nc_u32_e32 v30, v30, v54
	flat_store_b8 v[14:15], v17 th:TH_STORE_NT
	v_add_nc_u64_e32 v[10:11], v[10:11], v[54:55]
	v_add_nc_u64_e32 v[12:13], v[12:13], v[54:55]
	s_wait_xcnt 0x0
	v_add_nc_u64_e32 v[14:15], v[14:15], v[54:55]
	v_cmp_gt_i32_e32 vcc_lo, 1, v30
	s_or_b32 s11, vcc_lo, s11
	s_delay_alu instid0(SALU_CYCLE_1)
	s_and_not1_b32 exec_lo, exec_lo, s11
	s_cbranch_execz .LBB2_2952
.LBB2_2916:                             ;   Parent Loop BB2_1545 Depth=1
                                        ; =>  This Inner Loop Header: Depth=2
	flat_load_u8 v69, v[10:11] th:TH_LOAD_NT
	flat_load_u8 v16, v[12:13] th:TH_LOAD_NT
	v_dual_mov_b32 v17, 0 :: v_dual_mov_b32 v68, 0
	s_mov_b32 s7, exec_lo
	s_wait_loadcnt_dscnt 0x101
	s_wait_xcnt 0x0
	v_cmpx_ne_u16_e32 0, v69
	s_cbranch_execz .LBB2_2924
; %bb.2917:                             ;   in Loop: Header=BB2_2916 Depth=2
	v_bfrev_b32_e32 v68, 1
	s_mov_b32 s26, exec_lo
	v_cmpx_ne_u16_e32 0x80, v69
	s_cbranch_execz .LBB2_2923
; %bb.2918:                             ;   in Loop: Header=BB2_2916 Depth=2
	v_and_b32_e32 v38, 0xffff, v69
	v_mov_b32_e32 v68, 0x7f800001
	s_mov_b32 s27, exec_lo
	s_delay_alu instid0(VALU_DEP_2) | instskip(NEXT) | instid1(VALU_DEP_1)
	v_and_b32_e32 v70, 0x7f, v38
	v_cmpx_ne_u32_e32 0x7f, v70
	s_cbranch_execz .LBB2_2922
; %bb.2919:                             ;   in Loop: Header=BB2_2916 Depth=2
	v_and_b32_e32 v38, 7, v38
	v_lshrrev_b32_e32 v68, 3, v70
	s_mov_b32 s28, exec_lo
	v_cmpx_gt_u32_e32 8, v70
; %bb.2920:                             ;   in Loop: Header=BB2_2916 Depth=2
	s_delay_alu instid0(VALU_DEP_3) | instskip(NEXT) | instid1(VALU_DEP_1)
	v_clz_i32_u32_e32 v68, v38
	v_min_u32_e32 v68, 32, v68
	s_delay_alu instid0(VALU_DEP_1) | instskip(NEXT) | instid1(VALU_DEP_1)
	v_subrev_nc_u32_e32 v70, 28, v68
	v_lshlrev_b64_e32 v[70:71], v70, v[38:39]
	s_delay_alu instid0(VALU_DEP_1)
	v_dual_sub_nc_u32 v68, 29, v68 :: v_dual_bitop2_b32 v38, 7, v70 bitop3:0x40
; %bb.2921:                             ;   in Loop: Header=BB2_2916 Depth=2
	s_or_b32 exec_lo, exec_lo, s28
	s_delay_alu instid0(VALU_DEP_1) | instskip(NEXT) | instid1(VALU_DEP_2)
	v_dual_lshlrev_b32 v69, 24, v69 :: v_dual_lshlrev_b32 v38, 20, v38
	v_lshl_add_u32 v68, v68, 23, 0x3c000000
	s_delay_alu instid0(VALU_DEP_2) | instskip(NEXT) | instid1(VALU_DEP_1)
	v_and_b32_e32 v69, 0x80000000, v69
	v_or3_b32 v68, v38, v69, v68
.LBB2_2922:                             ;   in Loop: Header=BB2_2916 Depth=2
	s_or_b32 exec_lo, exec_lo, s27
.LBB2_2923:                             ;   in Loop: Header=BB2_2916 Depth=2
	s_delay_alu instid0(SALU_CYCLE_1)
	s_or_b32 exec_lo, exec_lo, s26
.LBB2_2924:                             ;   in Loop: Header=BB2_2916 Depth=2
	s_delay_alu instid0(SALU_CYCLE_1) | instskip(SKIP_3) | instid1(VALU_DEP_1)
	s_or_b32 exec_lo, exec_lo, s7
	s_wait_loadcnt_dscnt 0x0
	v_and_b32_e32 v38, 0xff, v16
	s_mov_b32 s7, exec_lo
	v_cmpx_ne_u16_e32 0, v38
	s_cbranch_execz .LBB2_2932
; %bb.2925:                             ;   in Loop: Header=BB2_2916 Depth=2
	v_bfrev_b32_e32 v17, 1
	s_mov_b32 s26, exec_lo
	v_cmpx_ne_u16_e32 0x80, v38
	s_cbranch_execz .LBB2_2931
; %bb.2926:                             ;   in Loop: Header=BB2_2916 Depth=2
	v_and_b32_e32 v69, 0x7f, v16
	v_mov_b32_e32 v17, 0x7f800001
	s_mov_b32 s27, exec_lo
	s_delay_alu instid0(VALU_DEP_2)
	v_cmpx_ne_u32_e32 0x7f, v69
	s_cbranch_execz .LBB2_2930
; %bb.2927:                             ;   in Loop: Header=BB2_2916 Depth=2
	v_dual_lshrrev_b32 v17, 3, v69 :: v_dual_bitop2_b32 v38, 7, v38 bitop3:0x40
	s_mov_b32 s28, exec_lo
	v_cmpx_gt_u32_e32 8, v69
; %bb.2928:                             ;   in Loop: Header=BB2_2916 Depth=2
	s_delay_alu instid0(VALU_DEP_2) | instskip(NEXT) | instid1(VALU_DEP_1)
	v_clz_i32_u32_e32 v17, v38
	v_min_u32_e32 v17, 32, v17
	s_delay_alu instid0(VALU_DEP_1) | instskip(NEXT) | instid1(VALU_DEP_1)
	v_subrev_nc_u32_e32 v69, 28, v17
	v_lshlrev_b64_e32 v[70:71], v69, v[38:39]
	s_delay_alu instid0(VALU_DEP_1)
	v_dual_sub_nc_u32 v17, 29, v17 :: v_dual_bitop2_b32 v38, 7, v70 bitop3:0x40
; %bb.2929:                             ;   in Loop: Header=BB2_2916 Depth=2
	s_or_b32 exec_lo, exec_lo, s28
	s_delay_alu instid0(VALU_DEP_1) | instskip(NEXT) | instid1(VALU_DEP_2)
	v_dual_lshlrev_b32 v16, 24, v16 :: v_dual_lshlrev_b32 v38, 20, v38
	v_lshl_add_u32 v17, v17, 23, 0x3c000000
	s_delay_alu instid0(VALU_DEP_2) | instskip(NEXT) | instid1(VALU_DEP_1)
	v_and_b32_e32 v16, 0x80000000, v16
	v_or3_b32 v17, v38, v16, v17
.LBB2_2930:                             ;   in Loop: Header=BB2_2916 Depth=2
	s_or_b32 exec_lo, exec_lo, s27
.LBB2_2931:                             ;   in Loop: Header=BB2_2916 Depth=2
	s_delay_alu instid0(SALU_CYCLE_1)
	s_or_b32 exec_lo, exec_lo, s26
.LBB2_2932:                             ;   in Loop: Header=BB2_2916 Depth=2
	s_delay_alu instid0(SALU_CYCLE_1) | instskip(NEXT) | instid1(VALU_DEP_1)
	s_or_b32 exec_lo, exec_lo, s7
	v_mul_f32_e32 v16, v68, v17
                                        ; implicit-def: $vgpr17
	s_mov_b32 s7, exec_lo
	s_delay_alu instid0(VALU_DEP_1) | instskip(SKIP_1) | instid1(VALU_DEP_2)
	v_and_b32_e32 v38, 0x7f800000, v16
	v_lshrrev_b32_e32 v68, 24, v16
	v_cmpx_ne_u64_e32 0x7f800000, v[38:39]
	s_xor_b32 s26, exec_lo, s7
	s_cbranch_execz .LBB2_2950
; %bb.2933:                             ;   in Loop: Header=BB2_2916 Depth=2
	v_and_b32_e32 v38, 0x7fffffff, v16
	v_and_b32_e32 v70, 0x80, v68
                                        ; implicit-def: $vgpr17
	s_mov_b32 s7, exec_lo
	s_delay_alu instid0(VALU_DEP_2)
	v_cmpx_gt_u64_e32 0x43e00001, v[38:39]
	s_xor_b32 s27, exec_lo, s7
	s_cbranch_execz .LBB2_2947
; %bb.2934:                             ;   in Loop: Header=BB2_2916 Depth=2
	v_mov_b32_e32 v17, 0
	s_mov_b32 s28, exec_lo
	v_cmpx_ne_u32_e32 0, v16
	s_cbranch_execz .LBB2_2946
; %bb.2935:                             ;   in Loop: Header=BB2_2916 Depth=2
	v_bfe_u32 v71, v16, 23, 8
	v_and_b32_e32 v38, 0x7fffff, v16
	s_delay_alu instid0(VALU_DEP_2) | instskip(NEXT) | instid1(VALU_DEP_2)
	v_cmp_gt_u32_e32 vcc_lo, 0x7a, v71
	v_or_b32_e32 v68, 0x800000, v38
	v_sub_nc_u32_e32 v17, 0x79, v71
	s_delay_alu instid0(VALU_DEP_1) | instskip(SKIP_1) | instid1(VALU_DEP_2)
	v_cndmask_b32_e32 v17, 0, v17, vcc_lo
	v_cmp_eq_u32_e32 vcc_lo, 0, v71
	v_cndmask_b32_e64 v80, v17, 0x78, vcc_lo
	s_delay_alu instid0(VALU_DEP_1) | instskip(SKIP_1) | instid1(VALU_DEP_2)
	v_dual_cndmask_b32 v38, v68, v38, vcc_lo :: v_dual_add_nc_u32 v16, 20, v80
	v_add_nc_u32_e32 v69, 19, v80
	v_lshlrev_b64_e64 v[16:17], v16, -1
	s_delay_alu instid0(VALU_DEP_2) | instskip(NEXT) | instid1(VALU_DEP_2)
	v_lshlrev_b64_e64 v[68:69], v69, 1
	v_bfi_b32 v83, v17, 0, 0
	s_delay_alu instid0(VALU_DEP_3) | instskip(SKIP_1) | instid1(VALU_DEP_2)
	v_bfi_b32 v82, v16, 0, v38
	v_lshrrev_b64 v[16:17], v80, v[38:39]
	v_cmp_eq_u64_e64 s7, v[82:83], v[68:69]
	s_delay_alu instid0(VALU_DEP_2)
	v_mov_b64_e32 v[68:69], v[16:17]
	s_and_saveexec_b32 s29, s7
; %bb.2936:                             ;   in Loop: Header=BB2_2916 Depth=2
	v_bfe_u32 v38, v16, 20, 1
	s_delay_alu instid0(VALU_DEP_1) | instskip(NEXT) | instid1(VALU_DEP_1)
	v_add_nc_u64_e32 v[68:69], v[16:17], v[38:39]
	v_add_nc_u64_e32 v[68:69], -1, v[68:69]
; %bb.2937:                             ;   in Loop: Header=BB2_2916 Depth=2
	s_or_b32 exec_lo, exec_lo, s29
	v_add_nc_u32_e32 v17, 0xffffff81, v71
	v_lshrrev_b32_e32 v38, 23, v16
	s_mov_b32 s7, exec_lo
	s_delay_alu instid0(VALU_DEP_2) | instskip(NEXT) | instid1(VALU_DEP_1)
	v_cndmask_b32_e64 v17, v17, 0xffffff82, vcc_lo
	v_add3_u32 v69, v80, v17, v38
	v_and_b32_e32 v17, 0xfffff, v68
                                        ; implicit-def: $vgpr68
	s_delay_alu instid0(VALU_DEP_1) | instskip(NEXT) | instid1(VALU_DEP_1)
	v_dual_add_nc_u32 v71, 6, v69 :: v_dual_add_nc_u32 v38, v17, v16
                                        ; implicit-def: $vgpr16_vgpr17
	v_cmpx_ne_u32_e32 0, v71
	s_xor_b32 s7, exec_lo, s7
; %bb.2938:                             ;   in Loop: Header=BB2_2916 Depth=2
	s_delay_alu instid0(VALU_DEP_2) | instskip(SKIP_1) | instid1(VALU_DEP_1)
	v_cmp_lt_u64_e32 vcc_lo, 0xffffff, v[38:39]
	v_add_nc_u32_e32 v16, 7, v69
	v_cndmask_b32_e32 v68, v71, v16, vcc_lo
	v_cndmask_b32_e64 v16, 0, 1, vcc_lo
	s_delay_alu instid0(VALU_DEP_1)
	v_lshrrev_b64 v[16:17], v16, v[38:39]
; %bb.2939:                             ;   in Loop: Header=BB2_2916 Depth=2
	s_and_not1_saveexec_b32 s7, s7
; %bb.2940:                             ;   in Loop: Header=BB2_2916 Depth=2
	v_mov_b64_e32 v[16:17], v[38:39]
	v_bfe_u32 v68, v38, 23, 1
; %bb.2941:                             ;   in Loop: Header=BB2_2916 Depth=2
	s_or_b32 exec_lo, exec_lo, s7
	s_delay_alu instid0(VALU_DEP_2) | instskip(NEXT) | instid1(VALU_DEP_2)
	v_lshrrev_b64 v[16:17], 20, v[16:17]
	v_cmp_gt_i32_e32 vcc_lo, 16, v68
	v_cmp_ne_u32_e64 s7, 0, v68
	s_delay_alu instid0(VALU_DEP_3) | instskip(NEXT) | instid1(VALU_DEP_1)
	v_dual_cndmask_b32 v17, 0, v17 :: v_dual_cndmask_b32 v16, 7, v16
	v_cmp_ne_u64_e32 vcc_lo, 0, v[16:17]
                                        ; implicit-def: $vgpr17
	s_or_b32 s7, s7, vcc_lo
	s_delay_alu instid0(SALU_CYCLE_1) | instskip(NEXT) | instid1(SALU_CYCLE_1)
	s_and_saveexec_b32 s29, s7
	s_xor_b32 s7, exec_lo, s29
; %bb.2942:                             ;   in Loop: Header=BB2_2916 Depth=2
	v_min_i32_e32 v17, 15, v68
	s_delay_alu instid0(VALU_DEP_1) | instskip(NEXT) | instid1(VALU_DEP_1)
	v_lshl_or_b32 v17, v17, 3, v70
                                        ; implicit-def: $vgpr70
	v_and_or_b32 v17, v16, 7, v17
; %bb.2943:                             ;   in Loop: Header=BB2_2916 Depth=2
	s_and_not1_saveexec_b32 s7, s7
; %bb.2944:                             ;   in Loop: Header=BB2_2916 Depth=2
	v_mov_b32_e32 v17, v70
; %bb.2945:                             ;   in Loop: Header=BB2_2916 Depth=2
	s_or_b32 exec_lo, exec_lo, s7
.LBB2_2946:                             ;   in Loop: Header=BB2_2916 Depth=2
	s_delay_alu instid0(SALU_CYCLE_1)
	s_or_b32 exec_lo, exec_lo, s28
                                        ; implicit-def: $vgpr70
.LBB2_2947:                             ;   in Loop: Header=BB2_2916 Depth=2
	s_and_not1_saveexec_b32 s7, s27
; %bb.2948:                             ;   in Loop: Header=BB2_2916 Depth=2
	v_or_b32_e32 v17, 0x7e, v70
; %bb.2949:                             ;   in Loop: Header=BB2_2916 Depth=2
	s_or_b32 exec_lo, exec_lo, s7
                                        ; implicit-def: $vgpr68
.LBB2_2950:                             ;   in Loop: Header=BB2_2916 Depth=2
	s_and_not1_saveexec_b32 s7, s26
	s_cbranch_execz .LBB2_2915
; %bb.2951:                             ;   in Loop: Header=BB2_2916 Depth=2
	v_or_b32_e32 v17, 0x7f, v68
	s_branch .LBB2_2915
.LBB2_2952:                             ;   in Loop: Header=BB2_1545 Depth=1
	s_or_b32 exec_lo, exec_lo, s10
	v_cmp_ne_u32_e64 s7, 0, v114
	s_and_saveexec_b32 s10, s2
	s_cbranch_execz .LBB2_2971
.LBB2_2953:                             ;   in Loop: Header=BB2_1545 Depth=1
	s_and_saveexec_b32 s11, s3
	s_delay_alu instid0(SALU_CYCLE_1)
	s_xor_b32 s11, exec_lo, s11
	s_cbranch_execz .LBB2_2968
; %bb.2954:                             ;   in Loop: Header=BB2_1545 Depth=1
	s_and_saveexec_b32 s26, s4
	s_cbranch_execz .LBB2_2967
; %bb.2955:                             ;   in Loop: Header=BB2_1545 Depth=1
	s_mov_b32 s28, exec_lo
	s_mov_b32 s27, exec_lo
	v_mbcnt_lo_u32_b32 v10, s28, 0
	global_wb scope:SCOPE_DEV
	s_wait_storecnt 0x0
	s_wait_loadcnt_dscnt 0x0
	global_inv scope:SCOPE_DEV
	v_cmpx_eq_u32_e32 0, v10
	s_cbranch_execz .LBB2_2957
; %bb.2956:                             ;   in Loop: Header=BB2_1545 Depth=1
	s_bcnt1_i32_b32 s28, s28
	s_delay_alu instid0(SALU_CYCLE_1)
	v_mov_b32_e32 v38, s28
	s_wait_loadcnt 0x0
	ds_add_u64 v0, v[38:39]
	s_trap 2
.LBB2_2957:                             ;   in Loop: Header=BB2_1545 Depth=1
	s_or_b32 exec_lo, exec_lo, s27
	s_trap 2
	ds_load_b64 v[10:11], v0
	s_wait_dscnt 0x0
	v_add_nc_u64_e32 v[32:33], v[32:33], v[36:37]
	s_mov_b32 s27, exec_lo
	s_delay_alu instid0(VALU_DEP_1)
	v_cmpx_lt_u64_e64 v[10:11], v[32:33]
	s_cbranch_execz .LBB2_2966
; %bb.2958:                             ;   in Loop: Header=BB2_1545 Depth=1
	s_mov_b32 s28, 0
	s_mov_b32 s41, 0
                                        ; implicit-def: $sgpr29
                                        ; implicit-def: $sgpr40
	s_branch .LBB2_2960
.LBB2_2959:                             ;   in Loop: Header=BB2_2960 Depth=2
	s_or_b32 exec_lo, exec_lo, s43
	s_delay_alu instid0(SALU_CYCLE_1) | instskip(NEXT) | instid1(SALU_CYCLE_1)
	s_and_b32 s42, exec_lo, s44
	s_or_b32 s28, s42, s28
	s_and_not1_b32 s29, s29, exec_lo
	s_and_b32 s42, s40, exec_lo
	s_delay_alu instid0(SALU_CYCLE_1)
	s_or_b32 s29, s29, s42
	s_and_not1_b32 exec_lo, exec_lo, s28
	s_cbranch_execz .LBB2_2964
.LBB2_2960:                             ;   Parent Loop BB2_1545 Depth=1
                                        ; =>  This Inner Loop Header: Depth=2
	s_add_co_i32 s41, s41, 1
	s_delay_alu instid0(SALU_CYCLE_1) | instskip(SKIP_1) | instid1(SALU_CYCLE_1)
	s_cmp_lg_u32 s41, 0x2710
	s_cselect_b32 s42, -1, 0
	s_and_b32 vcc_lo, exec_lo, s42
	s_cbranch_vccz .LBB2_2962
; %bb.2961:                             ;   in Loop: Header=BB2_2960 Depth=2
	s_mov_b32 s44, -1
	s_or_b32 s40, s40, exec_lo
	s_and_saveexec_b32 s43, s42
	s_cbranch_execz .LBB2_2959
	s_branch .LBB2_2963
.LBB2_2962:                             ;   in Loop: Header=BB2_2960 Depth=2
	s_trap 2
	ds_load_b64 v[10:11], v0
	s_and_not1_b32 s42, s42, exec_lo
	s_mov_b32 s41, 0
	s_wait_loadcnt_dscnt 0x0
	flat_load_b32 v10, v[10:11] scope:SCOPE_SYS
	s_wait_loadcnt_dscnt 0x0
	global_inv scope:SCOPE_SYS
	v_cmp_eq_u32_e32 vcc_lo, 0, v10
	s_and_b32 s43, vcc_lo, exec_lo
	s_delay_alu instid0(SALU_CYCLE_1)
	s_or_b32 s42, s42, s43
	s_mov_b32 s44, -1
	s_or_b32 s40, s40, exec_lo
	s_and_saveexec_b32 s43, s42
	s_cbranch_execz .LBB2_2959
.LBB2_2963:                             ;   in Loop: Header=BB2_2960 Depth=2
	s_sleep 1
	s_trap 2
	ds_load_b64 v[10:11], v0
	s_wait_dscnt 0x0
	s_and_not1_b32 s40, s40, exec_lo
	v_cmp_ge_u64_e32 vcc_lo, v[10:11], v[32:33]
	s_or_not1_b32 s44, vcc_lo, exec_lo
	s_branch .LBB2_2959
.LBB2_2964:                             ;   in Loop: Header=BB2_1545 Depth=1
	s_or_b32 exec_lo, exec_lo, s28
	s_and_saveexec_b32 s28, s29
	s_delay_alu instid0(SALU_CYCLE_1)
	s_xor_b32 s28, exec_lo, s28
	s_cbranch_execz .LBB2_2966
; %bb.2965:                             ;   in Loop: Header=BB2_1545 Depth=1
	ds_store_b32 v0, v102
	s_trap 2
.LBB2_2966:                             ;   in Loop: Header=BB2_1545 Depth=1
	s_or_b32 exec_lo, exec_lo, s27
	;;#ASMSTART
	s_wakeup
	;;#ASMEND
.LBB2_2967:                             ;   in Loop: Header=BB2_1545 Depth=1
	s_or_b32 exec_lo, exec_lo, s26
.LBB2_2968:                             ;   in Loop: Header=BB2_1545 Depth=1
	s_and_not1_saveexec_b32 s11, s11
	s_cbranch_execz .LBB2_2970
; %bb.2969:                             ;   in Loop: Header=BB2_1545 Depth=1
	global_wb scope:SCOPE_DEV
	s_wait_storecnt 0x0
	s_wait_loadcnt_dscnt 0x0
	global_inv scope:SCOPE_DEV
	s_barrier_signal -1
	s_barrier_wait -1
.LBB2_2970:                             ;   in Loop: Header=BB2_1545 Depth=1
	s_or_b32 exec_lo, exec_lo, s11
.LBB2_2971:                             ;   in Loop: Header=BB2_1545 Depth=1
	s_delay_alu instid0(SALU_CYCLE_1) | instskip(SKIP_1) | instid1(VALU_DEP_1)
	s_or_b32 exec_lo, exec_lo, s10
	v_and_b32_e32 v10, 16, v112
	v_cmp_ne_u32_e32 vcc_lo, 0, v10
	s_and_b32 s10, vcc_lo, s7
	s_delay_alu instid0(SALU_CYCLE_1)
	s_and_saveexec_b32 s7, s10
	s_cbranch_execz .LBB2_2973
; %bb.2972:                             ;   in Loop: Header=BB2_1545 Depth=1
	global_wb scope:SCOPE_SYS
	s_wait_storecnt 0x0
	s_wait_loadcnt_dscnt 0x0
	global_inv scope:SCOPE_SYS
.LBB2_2973:                             ;   in Loop: Header=BB2_1545 Depth=1
	s_or_b32 exec_lo, exec_lo, s7
	v_and_b32_e32 v10, 32, v112
	s_mov_b32 s7, exec_lo
	s_delay_alu instid0(VALU_DEP_1)
	v_cmpx_ne_u32_e32 0, v10
	s_cbranch_execz .LBB2_2975
; %bb.2974:                             ;   in Loop: Header=BB2_1545 Depth=1
	v_add_nc_u64_e32 v[8:9], 1, v[8:9]
	global_wb scope:SCOPE_SYS
	s_wait_storecnt 0x0
	s_wait_loadcnt_dscnt 0x0
	flat_store_b64 v[22:23], v[8:9] scope:SCOPE_SYS
.LBB2_2975:                             ;   in Loop: Header=BB2_1545 Depth=1
	s_wait_xcnt 0x0
	s_or_b32 exec_lo, exec_lo, s7
	v_mov_b32_e32 v14, v67
.LBB2_2976:                             ;   in Loop: Header=BB2_1545 Depth=1
	s_or_b32 exec_lo, exec_lo, s25
	s_and_saveexec_b32 s10, s24
	s_cbranch_execz .LBB2_1544
; %bb.2977:                             ;   in Loop: Header=BB2_1545 Depth=1
	v_and_b32_e32 v10, 4, v112
	s_mov_b32 s11, exec_lo
	s_delay_alu instid0(VALU_DEP_1)
	v_cmpx_ne_u32_e32 0, v10
	s_cbranch_execz .LBB2_2999
; %bb.2978:                             ;   in Loop: Header=BB2_1545 Depth=1
	v_add_nc_u64_e32 v[10:11], 1, v[8:9]
	s_mov_b32 s24, exec_lo
	s_wait_loadcnt 0x0
	s_delay_alu instid0(VALU_DEP_1)
	v_cmpx_lt_u64_e64 v[28:29], v[10:11]
	s_cbranch_execz .LBB2_2990
; %bb.2979:                             ;   in Loop: Header=BB2_1545 Depth=1
	v_and_b32_e32 v9, 64, v112
	s_mov_b32 s25, 0
	s_mov_b32 s29, 0
                                        ; implicit-def: $sgpr26
                                        ; implicit-def: $sgpr27
                                        ; implicit-def: $sgpr28
	s_delay_alu instid0(VALU_DEP_1)
	v_cmp_eq_u32_e32 vcc_lo, 0, v9
	s_branch .LBB2_2983
.LBB2_2980:                             ;   in Loop: Header=BB2_2983 Depth=2
	s_wait_loadcnt_dscnt 0x0
	v_cmp_ge_u64_e64 s7, v[28:29], v[10:11]
	s_or_b32 s42, s42, exec_lo
	s_or_not1_b32 s41, s7, exec_lo
.LBB2_2981:                             ;   in Loop: Header=BB2_2983 Depth=2
	s_or_b32 exec_lo, exec_lo, s44
	s_delay_alu instid0(SALU_CYCLE_1)
	s_and_not1_b32 s7, s28, exec_lo
	s_and_b32 s28, s42, exec_lo
	s_and_not1_b32 s27, s27, exec_lo
	s_and_b32 s41, s41, exec_lo
	s_or_b32 s28, s7, s28
	s_or_b32 s27, s27, s41
.LBB2_2982:                             ;   in Loop: Header=BB2_2983 Depth=2
	s_or_b32 exec_lo, exec_lo, s40
	s_delay_alu instid0(SALU_CYCLE_1) | instskip(NEXT) | instid1(SALU_CYCLE_1)
	s_and_b32 s7, exec_lo, s27
	s_or_b32 s25, s7, s25
	s_and_not1_b32 s7, s26, exec_lo
	s_and_b32 s26, s28, exec_lo
	s_delay_alu instid0(SALU_CYCLE_1)
	s_or_b32 s26, s7, s26
	s_and_not1_b32 exec_lo, exec_lo, s25
	s_cbranch_execz .LBB2_2987
.LBB2_2983:                             ;   Parent Loop BB2_1545 Depth=1
                                        ; =>  This Inner Loop Header: Depth=2
	s_sleep 1
	s_wait_loadcnt_dscnt 0x0
	flat_load_b64 v[28:29], v[22:23] scope:SCOPE_SYS
	s_or_b32 s28, s28, exec_lo
	s_or_b32 s27, s27, exec_lo
                                        ; implicit-def: $vgpr9
	s_wait_xcnt 0x0
	s_and_saveexec_b32 s40, vcc_lo
	s_cbranch_execz .LBB2_2982
; %bb.2984:                             ;   in Loop: Header=BB2_2983 Depth=2
	s_cmp_lt_i32 s29, 0x270f
	s_mov_b32 s41, -1
	s_cselect_b32 s43, -1, 0
	s_cmp_gt_i32 s29, 0x270e
	s_cbranch_scc0 .LBB2_2986
; %bb.2985:                             ;   in Loop: Header=BB2_2983 Depth=2
	s_trap 2
	ds_load_b64 v[12:13], v0
	s_and_not1_b32 s29, s43, exec_lo
	s_mov_b32 s42, 0
	s_wait_storecnt 0x0
	s_wait_loadcnt_dscnt 0x0
	flat_load_b32 v9, v[12:13] scope:SCOPE_SYS
	s_wait_loadcnt_dscnt 0x0
	global_inv scope:SCOPE_SYS
	v_cmp_eq_u32_e64 s7, 0, v9
	s_and_b32 s7, s7, exec_lo
	s_delay_alu instid0(SALU_CYCLE_1)
	s_or_b32 s43, s29, s7
	s_mov_b32 s29, 0
	s_and_saveexec_b32 s44, s43
	s_cbranch_execz .LBB2_2981
	s_branch .LBB2_2980
.LBB2_2986:                             ;   in Loop: Header=BB2_2983 Depth=2
	s_add_co_i32 s29, s29, 1
	s_mov_b32 s42, -1
                                        ; implicit-def: $vgpr9
	s_and_saveexec_b32 s44, s43
	s_cbranch_execz .LBB2_2981
	s_branch .LBB2_2980
.LBB2_2987:                             ;   in Loop: Header=BB2_1545 Depth=1
	s_or_b32 exec_lo, exec_lo, s25
	s_xor_b32 s7, s26, -1
	s_delay_alu instid0(SALU_CYCLE_1) | instskip(NEXT) | instid1(SALU_CYCLE_1)
	s_and_saveexec_b32 s25, s7
	s_xor_b32 s7, exec_lo, s25
	s_cbranch_execz .LBB2_2989
; %bb.2988:                             ;   in Loop: Header=BB2_1545 Depth=1
	v_or_b32_e32 v112, 64, v112
	s_wait_storecnt 0x0
	s_wait_loadcnt_dscnt 0x0
	ds_store_b32 v0, v9
	s_trap 2
.LBB2_2989:                             ;   in Loop: Header=BB2_1545 Depth=1
	s_or_b32 exec_lo, exec_lo, s7
.LBB2_2990:                             ;   in Loop: Header=BB2_1545 Depth=1
	s_delay_alu instid0(SALU_CYCLE_1) | instskip(SKIP_4) | instid1(VALU_DEP_2)
	s_or_b32 exec_lo, exec_lo, s24
	v_and_b32_e32 v9, 0x100, v112
	v_and_b32_e32 v38, 7, v8
	s_mov_b32 s7, -1
	;;#ASMSTART
	s_wakeup
	;;#ASMEND
	v_cmp_ne_u32_e32 vcc_lo, 0, v9
                                        ; implicit-def: $vgpr8_vgpr9
	s_and_saveexec_b32 s24, vcc_lo
	s_cbranch_execz .LBB2_2994
; %bb.2991:                             ;   in Loop: Header=BB2_1545 Depth=1
	v_mad_nc_u64_u32 v[12:13], v38, 24, v[6:7]
	flat_load_b32 v8, v[12:13]
	s_wait_loadcnt_dscnt 0x0
	v_cmp_eq_u32_e64 s7, 1, v8
	v_cmp_ne_u32_e32 vcc_lo, 1, v8
                                        ; implicit-def: $vgpr8_vgpr9
	s_wait_xcnt 0x0
	s_and_saveexec_b32 s25, s7
	s_cbranch_execz .LBB2_2993
; %bb.2992:                             ;   in Loop: Header=BB2_1545 Depth=1
	flat_load_b32 v8, v[12:13] offset:4 scope:SCOPE_SYS
	s_wait_loadcnt_dscnt 0x0
	v_ashrrev_i32_e32 v9, 31, v8
.LBB2_2993:                             ;   in Loop: Header=BB2_1545 Depth=1
	s_wait_xcnt 0x0
	s_or_b32 exec_lo, exec_lo, s25
	s_delay_alu instid0(SALU_CYCLE_1)
	s_or_not1_b32 s7, vcc_lo, exec_lo
.LBB2_2994:                             ;   in Loop: Header=BB2_1545 Depth=1
	s_or_b32 exec_lo, exec_lo, s24
	s_and_saveexec_b32 s24, s7
; %bb.2995:                             ;   in Loop: Header=BB2_1545 Depth=1
	v_mul_u64_e32 v[8:9], v[38:39], v[24:25]
; %bb.2996:                             ;   in Loop: Header=BB2_1545 Depth=1
	s_or_b32 exec_lo, exec_lo, s24
	s_delay_alu instid0(VALU_DEP_1)
	v_add_nc_u64_e32 v[8:9], v[26:27], v[8:9]
	v_and_b32_e32 v12, 0x2000, v112
	s_mov_b32 s7, exec_lo
	ds_store_b64 v0, v[8:9] offset:728
	v_cmpx_ne_u32_e32 0, v12
	s_cbranch_execz .LBB2_2998
; %bb.2997:                             ;   in Loop: Header=BB2_1545 Depth=1
	ds_load_b64 v[8:9], v0 offset:872
	s_wait_dscnt 0x0
	v_add_nc_u64_e32 v[8:9], 1, v[8:9]
	ds_store_b64 v0, v[8:9] offset:872
.LBB2_2998:                             ;   in Loop: Header=BB2_1545 Depth=1
	s_or_b32 exec_lo, exec_lo, s7
	v_mov_b64_e32 v[8:9], v[10:11]
.LBB2_2999:                             ;   in Loop: Header=BB2_1545 Depth=1
	s_or_b32 exec_lo, exec_lo, s11
	s_and_saveexec_b32 s7, s2
	s_cbranch_execz .LBB2_3018
; %bb.3000:                             ;   in Loop: Header=BB2_1545 Depth=1
	s_and_saveexec_b32 s11, s3
	s_delay_alu instid0(SALU_CYCLE_1)
	s_xor_b32 s11, exec_lo, s11
	s_cbranch_execz .LBB2_3015
; %bb.3001:                             ;   in Loop: Header=BB2_1545 Depth=1
	s_and_saveexec_b32 s24, s4
	s_cbranch_execz .LBB2_3014
; %bb.3002:                             ;   in Loop: Header=BB2_1545 Depth=1
	s_mov_b32 s26, exec_lo
	s_mov_b32 s25, exec_lo
	v_mbcnt_lo_u32_b32 v10, s26, 0
	global_wb scope:SCOPE_DEV
	s_wait_storecnt 0x0
	s_wait_loadcnt_dscnt 0x0
	global_inv scope:SCOPE_DEV
	v_cmpx_eq_u32_e32 0, v10
	s_cbranch_execz .LBB2_3004
; %bb.3003:                             ;   in Loop: Header=BB2_1545 Depth=1
	s_bcnt1_i32_b32 s26, s26
	s_delay_alu instid0(SALU_CYCLE_1)
	v_mov_b32_e32 v38, s26
	s_wait_loadcnt 0x0
	ds_add_u64 v0, v[38:39]
	s_trap 2
.LBB2_3004:                             ;   in Loop: Header=BB2_1545 Depth=1
	s_or_b32 exec_lo, exec_lo, s25
	s_trap 2
	ds_load_b64 v[10:11], v0
	s_wait_dscnt 0x0
	v_add_nc_u64_e32 v[32:33], v[32:33], v[36:37]
	s_mov_b32 s25, exec_lo
	s_delay_alu instid0(VALU_DEP_1)
	v_cmpx_lt_u64_e64 v[10:11], v[32:33]
	s_cbranch_execz .LBB2_3013
; %bb.3005:                             ;   in Loop: Header=BB2_1545 Depth=1
	s_mov_b32 s26, 0
	s_mov_b32 s29, 0
                                        ; implicit-def: $sgpr27
                                        ; implicit-def: $sgpr28
	s_branch .LBB2_3007
.LBB2_3006:                             ;   in Loop: Header=BB2_3007 Depth=2
	s_or_b32 exec_lo, exec_lo, s41
	s_delay_alu instid0(SALU_CYCLE_1) | instskip(NEXT) | instid1(SALU_CYCLE_1)
	s_and_b32 s40, exec_lo, s42
	s_or_b32 s26, s40, s26
	s_and_not1_b32 s27, s27, exec_lo
	s_and_b32 s40, s28, exec_lo
	s_delay_alu instid0(SALU_CYCLE_1)
	s_or_b32 s27, s27, s40
	s_and_not1_b32 exec_lo, exec_lo, s26
	s_cbranch_execz .LBB2_3011
.LBB2_3007:                             ;   Parent Loop BB2_1545 Depth=1
                                        ; =>  This Inner Loop Header: Depth=2
	s_add_co_i32 s29, s29, 1
	s_delay_alu instid0(SALU_CYCLE_1) | instskip(SKIP_1) | instid1(SALU_CYCLE_1)
	s_cmp_lg_u32 s29, 0x2710
	s_cselect_b32 s40, -1, 0
	s_and_b32 vcc_lo, exec_lo, s40
	s_cbranch_vccz .LBB2_3009
; %bb.3008:                             ;   in Loop: Header=BB2_3007 Depth=2
	s_mov_b32 s42, -1
	s_or_b32 s28, s28, exec_lo
	s_and_saveexec_b32 s41, s40
	s_cbranch_execz .LBB2_3006
	s_branch .LBB2_3010
.LBB2_3009:                             ;   in Loop: Header=BB2_3007 Depth=2
	s_trap 2
	ds_load_b64 v[10:11], v0
	s_and_not1_b32 s40, s40, exec_lo
	s_mov_b32 s29, 0
	s_wait_loadcnt_dscnt 0x0
	flat_load_b32 v10, v[10:11] scope:SCOPE_SYS
	s_wait_loadcnt_dscnt 0x0
	global_inv scope:SCOPE_SYS
	v_cmp_eq_u32_e32 vcc_lo, 0, v10
	s_and_b32 s41, vcc_lo, exec_lo
	s_delay_alu instid0(SALU_CYCLE_1)
	s_or_b32 s40, s40, s41
	s_mov_b32 s42, -1
	s_or_b32 s28, s28, exec_lo
	s_and_saveexec_b32 s41, s40
	s_cbranch_execz .LBB2_3006
.LBB2_3010:                             ;   in Loop: Header=BB2_3007 Depth=2
	s_sleep 1
	s_trap 2
	ds_load_b64 v[10:11], v0
	s_wait_dscnt 0x0
	s_and_not1_b32 s28, s28, exec_lo
	v_cmp_ge_u64_e32 vcc_lo, v[10:11], v[32:33]
	s_or_not1_b32 s42, vcc_lo, exec_lo
	s_branch .LBB2_3006
.LBB2_3011:                             ;   in Loop: Header=BB2_1545 Depth=1
	s_or_b32 exec_lo, exec_lo, s26
	s_and_saveexec_b32 s26, s27
	s_delay_alu instid0(SALU_CYCLE_1)
	s_xor_b32 s26, exec_lo, s26
	s_cbranch_execz .LBB2_3013
; %bb.3012:                             ;   in Loop: Header=BB2_1545 Depth=1
	ds_store_b32 v0, v102
	s_trap 2
.LBB2_3013:                             ;   in Loop: Header=BB2_1545 Depth=1
	s_or_b32 exec_lo, exec_lo, s25
	;;#ASMSTART
	s_wakeup
	;;#ASMEND
.LBB2_3014:                             ;   in Loop: Header=BB2_1545 Depth=1
	s_or_b32 exec_lo, exec_lo, s24
.LBB2_3015:                             ;   in Loop: Header=BB2_1545 Depth=1
	s_and_not1_saveexec_b32 s11, s11
	s_cbranch_execz .LBB2_3017
; %bb.3016:                             ;   in Loop: Header=BB2_1545 Depth=1
	global_wb scope:SCOPE_DEV
	s_wait_storecnt 0x0
	s_wait_loadcnt_dscnt 0x0
	global_inv scope:SCOPE_DEV
	s_barrier_signal -1
	s_barrier_wait -1
.LBB2_3017:                             ;   in Loop: Header=BB2_1545 Depth=1
	s_or_b32 exec_lo, exec_lo, s11
.LBB2_3018:                             ;   in Loop: Header=BB2_1545 Depth=1
	s_delay_alu instid0(SALU_CYCLE_1)
	s_or_b32 exec_lo, exec_lo, s7
	s_trap 2
	ds_load_b32 v10, v0
	v_sub_nc_u32_e32 v11, v66, v14
	s_wait_dscnt 0x0
	v_readfirstlane_b32 s7, v10
	v_and_b32_e32 v10, 16, v112
	s_delay_alu instid0(VALU_DEP_3) | instskip(SKIP_1) | instid1(VALU_DEP_2)
	v_min_i32_e32 v11, v67, v11
	s_cmp_eq_u32 s7, 0
	v_cmp_ne_u32_e64 s7, 0, v10
	s_delay_alu instid0(VALU_DEP_2) | instskip(SKIP_1) | instid1(SALU_CYCLE_1)
	v_cmp_lt_i32_e32 vcc_lo, 0, v11
	s_cselect_b32 s11, -1, 0
	s_and_b32 s11, vcc_lo, s11
	s_delay_alu instid0(SALU_CYCLE_1) | instskip(NEXT) | instid1(SALU_CYCLE_1)
	s_and_b32 s11, s7, s11
	s_and_saveexec_b32 s7, s11
	s_cbranch_execz .LBB2_3020
; %bb.3019:                             ;   in Loop: Header=BB2_1545 Depth=1
	global_wb scope:SCOPE_SYS
	s_wait_loadcnt 0x0
	s_wait_storecnt 0x0
	global_inv scope:SCOPE_SYS
.LBB2_3020:                             ;   in Loop: Header=BB2_1545 Depth=1
	s_or_b32 exec_lo, exec_lo, s7
	v_and_b32_e32 v10, 32, v112
	s_mov_b32 s7, exec_lo
	s_delay_alu instid0(VALU_DEP_1)
	v_cmpx_ne_u32_e32 0, v10
	s_cbranch_execz .LBB2_1543
; %bb.3021:                             ;   in Loop: Header=BB2_1545 Depth=1
	v_add_nc_u64_e32 v[8:9], 1, v[8:9]
	global_wb scope:SCOPE_SYS
	s_wait_loadcnt 0x0
	s_wait_storecnt 0x0
	flat_store_b64 v[22:23], v[8:9] scope:SCOPE_SYS
	s_branch .LBB2_1543
.LBB2_3022:
	s_or_b32 exec_lo, exec_lo, s21
.LBB2_3023:
	s_delay_alu instid0(SALU_CYCLE_1)
	s_or_b32 exec_lo, exec_lo, s17
.LBB2_3024:
	s_delay_alu instid0(SALU_CYCLE_1)
	s_or_b32 exec_lo, exec_lo, s16
                                        ; implicit-def: $vgpr18_vgpr19
                                        ; implicit-def: $vgpr4_vgpr5
                                        ; implicit-def: $vgpr36_vgpr37
                                        ; implicit-def: $vgpr24
                                        ; implicit-def: $vgpr28_vgpr29
                                        ; implicit-def: $vgpr26_vgpr27
                                        ; implicit-def: $vgpr22_vgpr23
                                        ; implicit-def: $vgpr0
                                        ; implicit-def: $vgpr15
                                        ; implicit-def: $vgpr34_vgpr35
.LBB2_3025:
	s_and_not1_saveexec_b32 s11, s20
	s_cbranch_execz .LBB2_3199
; %bb.3026:
	s_wait_dscnt 0x0
	v_mov_b64_e32 v[32:33], 0
	s_mov_b32 s12, exec_lo
	v_cmpx_ne_u64_e32 0, v[4:5]
	s_cbranch_execz .LBB2_3198
; %bb.3027:
	v_dual_ashrrev_i32 v10, 31, v0 :: v_dual_bitop2_b32 v11, 31, v31 bitop3:0x40
	v_ashrrev_i32_e32 v25, 31, v24
	s_ashr_i32 s4, s19, 31
	v_cmp_eq_u32_e32 vcc_lo, 32, v1
	s_delay_alu instid0(VALU_DEP_3)
	v_lshrrev_b32_e32 v10, 27, v10
	s_lshr_b32 s4, s4, 24
	v_mov_b64_e32 v[52:53], 0
	s_add_co_i32 s19, s19, s4
	v_cmp_eq_u32_e64 s4, 0, v11
	v_dual_add_nc_u32 v12, v0, v10 :: v_dual_lshrrev_b32 v10, 5, v1
	v_mov_b32_e32 v13, 0
	v_cmp_ne_u64_e64 s7, 0, v[36:37]
	v_mov_b64_e32 v[54:55], 0
	s_delay_alu instid0(VALU_DEP_4) | instskip(NEXT) | instid1(VALU_DEP_4)
	v_and_b32_e32 v16, 0xffffffe0, v12
	v_dual_mov_b32 v11, v13 :: v_dual_ashrrev_i32 v30, 5, v12
	v_mov_b64_e32 v[32:33], 0
	v_cmp_ge_i32_e64 s1, v0, v1
	s_delay_alu instid0(VALU_DEP_3)
	v_dual_sub_nc_u32 v82, v0, v16 :: v_dual_lshlrev_b32 v12, 10, v30
	v_mov_b32_e32 v17, v13
	v_cmp_ne_u32_e64 s2, 32, v1
	v_cmp_ne_u32_e64 s3, v1, v113
	v_and_b32_e32 v14, 0x1fe0, v1
	v_lshl_add_u32 v48, v82, 4, v12
	v_dual_lshlrev_b32 v16, 10, v10 :: v_dual_lshlrev_b32 v38, 9, v10
	v_dual_mov_b32 v39, v13 :: v_dual_lshlrev_b32 v50, 8, v10
	s_delay_alu instid0(VALU_DEP_3)
	v_dual_mov_b32 v51, v13 :: v_dual_ashrrev_i32 v49, 31, v48
	v_cmp_gt_i32_e64 s5, 1, v82
	v_cmp_lt_i32_e64 s6, v82, v15
	v_dual_mov_b32 v15, v13 :: v_dual_mov_b32 v83, 1
	s_ashr_i32 s14, s19, 8
	s_mov_b32 s13, 0
	s_xor_b32 s15, vcc_lo, -1
	s_trap 2
	s_branch .LBB2_3031
.LBB2_3028:                             ;   in Loop: Header=BB2_3031 Depth=1
	s_wait_xcnt 0x0
	s_or_b32 exec_lo, exec_lo, s16
	v_add_nc_u64_e32 v[8:9], 1, v[8:9]
	global_wb scope:SCOPE_SYS
	s_wait_storecnt 0x0
	s_wait_loadcnt_dscnt 0x0
	flat_store_b64 v[22:23], v[8:9] scope:SCOPE_SYS
.LBB2_3029:                             ;   in Loop: Header=BB2_3031 Depth=1
	s_wait_xcnt 0x0
	s_or_b32 exec_lo, exec_lo, s10
.LBB2_3030:                             ;   in Loop: Header=BB2_3031 Depth=1
	s_delay_alu instid0(SALU_CYCLE_1) | instskip(SKIP_1) | instid1(VALU_DEP_1)
	s_or_b32 exec_lo, exec_lo, s17
	v_add_nc_u64_e32 v[54:55], v[54:55], v[34:35]
	v_cmp_ge_u64_e32 vcc_lo, v[54:55], v[4:5]
	s_or_b32 s13, vcc_lo, s13
	s_delay_alu instid0(SALU_CYCLE_1)
	s_and_not1_b32 exec_lo, exec_lo, s13
	s_cbranch_execz .LBB2_3197
.LBB2_3031:                             ; =>This Loop Header: Depth=1
                                        ;     Child Loop BB2_3040 Depth 2
                                        ;     Child Loop BB2_3064 Depth 2
	;; [unrolled: 1-line block ×10, first 2 shown]
	v_sub_nc_u64_e32 v[64:65], v[4:5], v[54:55]
	s_delay_alu instid0(VALU_DEP_1) | instskip(NEXT) | instid1(VALU_DEP_1)
	v_min_u64 v[64:65], v[34:35], v[64:65]
	v_add_nc_u32_e32 v12, 15, v64
	s_delay_alu instid0(VALU_DEP_2) | instskip(NEXT) | instid1(VALU_DEP_2)
	v_cmp_eq_u64_e32 vcc_lo, 0, v[64:65]
	v_and_b32_e32 v12, 0x7ffffff0, v12
	s_or_b32 s16, s1, vcc_lo
	s_delay_alu instid0(SALU_CYCLE_1) | instskip(NEXT) | instid1(VALU_DEP_1)
	s_xor_b32 s10, s16, -1
	v_dual_mov_b32 v12, 0 :: v_dual_max_i32 v66, s14, v12
	s_and_saveexec_b32 s17, s10
	s_cbranch_execz .LBB2_3150
; %bb.3032:                             ;   in Loop: Header=BB2_3031 Depth=1
	s_and_saveexec_b32 s10, s0
	s_cbranch_execz .LBB2_3034
; %bb.3033:                             ;   in Loop: Header=BB2_3031 Depth=1
	s_trap 2
	ds_load_b64 v[68:69], v0
	s_wait_dscnt 0x0
	v_add_nc_u64_e32 v[68:69], v[68:69], v[18:19]
	s_delay_alu instid0(VALU_DEP_1)
	v_add_nc_u64_e32 v[68:69], v[68:69], v[54:55]
	ds_store_b64 v0, v[68:69]
	ds_store_b64 v0, v[52:53]
.LBB2_3034:                             ;   in Loop: Header=BB2_3031 Depth=1
	s_or_b32 exec_lo, exec_lo, s10
	v_and_b32_e32 v12, 8, v112
	v_min_u32_e32 v66, v66, v64
	s_mov_b32 s19, exec_lo
	s_delay_alu instid0(VALU_DEP_2)
	v_cmpx_ne_u32_e32 0, v12
	s_cbranch_execz .LBB2_3056
; %bb.3035:                             ;   in Loop: Header=BB2_3031 Depth=1
	s_wait_loadcnt 0x0
	v_add_nc_u64_e32 v[70:71], 8, v[28:29]
	v_add_nc_u64_e32 v[68:69], 1, v[8:9]
	s_mov_b32 s20, exec_lo
	s_delay_alu instid0(VALU_DEP_1)
	v_cmpx_lt_u64_e64 v[70:71], v[68:69]
	s_cbranch_execz .LBB2_3047
; %bb.3036:                             ;   in Loop: Header=BB2_3031 Depth=1
	v_and_b32_e32 v9, 64, v112
	s_mov_b32 s21, 0
	s_mov_b32 s25, 0
                                        ; implicit-def: $sgpr22
                                        ; implicit-def: $sgpr23
                                        ; implicit-def: $sgpr24
	s_delay_alu instid0(VALU_DEP_1)
	v_cmp_eq_u32_e32 vcc_lo, 0, v9
	s_branch .LBB2_3040
.LBB2_3037:                             ;   in Loop: Header=BB2_3040 Depth=2
	s_wait_loadcnt_dscnt 0x0
	v_add_nc_u64_e32 v[70:71], 8, v[28:29]
	s_or_b32 s28, s28, exec_lo
	s_delay_alu instid0(VALU_DEP_1)
	v_cmp_ge_u64_e64 s10, v[70:71], v[68:69]
	s_or_not1_b32 s27, s10, exec_lo
.LBB2_3038:                             ;   in Loop: Header=BB2_3040 Depth=2
	s_or_b32 exec_lo, exec_lo, s40
	s_delay_alu instid0(SALU_CYCLE_1)
	s_and_not1_b32 s10, s24, exec_lo
	s_and_b32 s24, s28, exec_lo
	s_and_not1_b32 s23, s23, exec_lo
	s_and_b32 s27, s27, exec_lo
	s_or_b32 s24, s10, s24
	s_or_b32 s23, s23, s27
.LBB2_3039:                             ;   in Loop: Header=BB2_3040 Depth=2
	s_or_b32 exec_lo, exec_lo, s26
	s_delay_alu instid0(SALU_CYCLE_1) | instskip(NEXT) | instid1(SALU_CYCLE_1)
	s_and_b32 s10, exec_lo, s23
	s_or_b32 s21, s10, s21
	s_and_not1_b32 s10, s22, exec_lo
	s_and_b32 s22, s24, exec_lo
	s_delay_alu instid0(SALU_CYCLE_1)
	s_or_b32 s22, s10, s22
	s_and_not1_b32 exec_lo, exec_lo, s21
	s_cbranch_execz .LBB2_3044
.LBB2_3040:                             ;   Parent Loop BB2_3031 Depth=1
                                        ; =>  This Inner Loop Header: Depth=2
	s_sleep 1
	s_wait_loadcnt_dscnt 0x0
	flat_load_b64 v[28:29], v[22:23] scope:SCOPE_SYS
	s_or_b32 s24, s24, exec_lo
	s_or_b32 s23, s23, exec_lo
                                        ; implicit-def: $vgpr9
	s_wait_xcnt 0x0
	s_and_saveexec_b32 s26, vcc_lo
	s_cbranch_execz .LBB2_3039
; %bb.3041:                             ;   in Loop: Header=BB2_3040 Depth=2
	s_cmp_lt_i32 s25, 0x270f
	s_mov_b32 s27, -1
	s_cselect_b32 s29, -1, 0
	s_cmp_gt_i32 s25, 0x270e
	s_cbranch_scc0 .LBB2_3043
; %bb.3042:                             ;   in Loop: Header=BB2_3040 Depth=2
	s_trap 2
	ds_load_b64 v[70:71], v0
	s_and_not1_b32 s25, s29, exec_lo
	s_mov_b32 s28, 0
	s_wait_storecnt 0x0
	s_wait_loadcnt_dscnt 0x0
	flat_load_b32 v9, v[70:71] scope:SCOPE_SYS
	s_wait_loadcnt_dscnt 0x0
	global_inv scope:SCOPE_SYS
	v_cmp_eq_u32_e64 s10, 0, v9
	s_and_b32 s10, s10, exec_lo
	s_delay_alu instid0(SALU_CYCLE_1)
	s_or_b32 s29, s25, s10
	s_mov_b32 s25, 0
	s_and_saveexec_b32 s40, s29
	s_cbranch_execz .LBB2_3038
	s_branch .LBB2_3037
.LBB2_3043:                             ;   in Loop: Header=BB2_3040 Depth=2
	s_add_co_i32 s25, s25, 1
	s_mov_b32 s28, -1
                                        ; implicit-def: $vgpr9
	s_and_saveexec_b32 s40, s29
	s_cbranch_execz .LBB2_3038
	s_branch .LBB2_3037
.LBB2_3044:                             ;   in Loop: Header=BB2_3031 Depth=1
	s_or_b32 exec_lo, exec_lo, s21
	s_xor_b32 s10, s22, -1
	s_delay_alu instid0(SALU_CYCLE_1) | instskip(NEXT) | instid1(SALU_CYCLE_1)
	s_and_saveexec_b32 s21, s10
	s_xor_b32 s10, exec_lo, s21
	s_cbranch_execz .LBB2_3046
; %bb.3045:                             ;   in Loop: Header=BB2_3031 Depth=1
	v_or_b32_e32 v112, 64, v112
	s_wait_storecnt 0x0
	s_wait_loadcnt_dscnt 0x0
	ds_store_b32 v0, v9
	s_trap 2
.LBB2_3046:                             ;   in Loop: Header=BB2_3031 Depth=1
	s_or_b32 exec_lo, exec_lo, s10
.LBB2_3047:                             ;   in Loop: Header=BB2_3031 Depth=1
	s_delay_alu instid0(SALU_CYCLE_1) | instskip(SKIP_4) | instid1(VALU_DEP_2)
	s_or_b32 exec_lo, exec_lo, s20
	v_and_b32_e32 v9, 0x100, v112
	v_and_b32_e32 v12, 7, v8
	s_mov_b32 s10, -1
	;;#ASMSTART
	s_wakeup
	;;#ASMEND
	v_cmp_ne_u32_e32 vcc_lo, 0, v9
                                        ; implicit-def: $vgpr8_vgpr9
	s_and_saveexec_b32 s20, vcc_lo
	s_cbranch_execz .LBB2_3051
; %bb.3048:                             ;   in Loop: Header=BB2_3031 Depth=1
	v_mad_nc_u64_u32 v[70:71], v12, 24, v[6:7]
	v_mov_b32_e32 v67, v13
	s_clause 0x1
	flat_load_b32 v8, v[70:71]
	flat_store_b64 v[70:71], v[66:67] offset:8
	s_wait_loadcnt_dscnt 0x1
	v_cmp_eq_u32_e64 s10, 1, v8
	v_cmp_ne_u32_e32 vcc_lo, 1, v8
                                        ; implicit-def: $vgpr8_vgpr9
	s_wait_xcnt 0x0
	s_and_saveexec_b32 s21, s10
	s_cbranch_execz .LBB2_3050
; %bb.3049:                             ;   in Loop: Header=BB2_3031 Depth=1
	flat_load_b32 v8, v[70:71] offset:4 scope:SCOPE_SYS
	s_wait_loadcnt_dscnt 0x0
	v_ashrrev_i32_e32 v9, 31, v8
.LBB2_3050:                             ;   in Loop: Header=BB2_3031 Depth=1
	s_wait_xcnt 0x0
	s_or_b32 exec_lo, exec_lo, s21
	s_delay_alu instid0(SALU_CYCLE_1)
	s_or_not1_b32 s10, vcc_lo, exec_lo
.LBB2_3051:                             ;   in Loop: Header=BB2_3031 Depth=1
	s_or_b32 exec_lo, exec_lo, s20
	s_and_saveexec_b32 s20, s10
; %bb.3052:                             ;   in Loop: Header=BB2_3031 Depth=1
	v_mul_u64_e32 v[8:9], v[12:13], v[24:25]
; %bb.3053:                             ;   in Loop: Header=BB2_3031 Depth=1
	s_or_b32 exec_lo, exec_lo, s20
	s_delay_alu instid0(VALU_DEP_1)
	v_add_nc_u64_e32 v[8:9], v[26:27], v[8:9]
	v_and_b32_e32 v12, 0x2000, v112
	s_mov_b32 s10, exec_lo
	ds_store_b64 v0, v[8:9] offset:784
	v_cmpx_ne_u32_e32 0, v12
	s_cbranch_execz .LBB2_3055
; %bb.3054:                             ;   in Loop: Header=BB2_3031 Depth=1
	ds_load_b64 v[8:9], v0 offset:872
	s_wait_dscnt 0x0
	v_add_nc_u64_e32 v[8:9], 1, v[8:9]
	ds_store_b64 v0, v[8:9] offset:872
.LBB2_3055:                             ;   in Loop: Header=BB2_3031 Depth=1
	s_or_b32 exec_lo, exec_lo, s10
	v_mov_b64_e32 v[8:9], v[68:69]
.LBB2_3056:                             ;   in Loop: Header=BB2_3031 Depth=1
	s_or_b32 exec_lo, exec_lo, s19
	s_and_saveexec_b32 s10, s2
	s_cbranch_execz .LBB2_3075
; %bb.3057:                             ;   in Loop: Header=BB2_3031 Depth=1
	s_and_saveexec_b32 s19, s3
	s_delay_alu instid0(SALU_CYCLE_1)
	s_xor_b32 s19, exec_lo, s19
	s_cbranch_execz .LBB2_3072
; %bb.3058:                             ;   in Loop: Header=BB2_3031 Depth=1
	s_and_saveexec_b32 s20, s4
	s_cbranch_execz .LBB2_3071
; %bb.3059:                             ;   in Loop: Header=BB2_3031 Depth=1
	s_mov_b32 s22, exec_lo
	s_mov_b32 s21, exec_lo
	v_mbcnt_lo_u32_b32 v12, s22, 0
	global_wb scope:SCOPE_DEV
	s_wait_storecnt 0x0
	s_wait_loadcnt_dscnt 0x0
	global_inv scope:SCOPE_DEV
	v_cmpx_eq_u32_e32 0, v12
	s_cbranch_execz .LBB2_3061
; %bb.3060:                             ;   in Loop: Header=BB2_3031 Depth=1
	s_bcnt1_i32_b32 s22, s22
	s_delay_alu instid0(SALU_CYCLE_1)
	v_mov_b32_e32 v12, s22
	s_wait_loadcnt 0x0
	ds_add_u64 v0, v[12:13]
	s_trap 2
.LBB2_3061:                             ;   in Loop: Header=BB2_3031 Depth=1
	s_or_b32 exec_lo, exec_lo, s21
	s_trap 2
	ds_load_b64 v[68:69], v0
	s_wait_dscnt 0x0
	v_add_nc_u64_e32 v[32:33], v[32:33], v[10:11]
	s_mov_b32 s21, exec_lo
	s_delay_alu instid0(VALU_DEP_1)
	v_cmpx_lt_u64_e64 v[68:69], v[32:33]
	s_cbranch_execz .LBB2_3070
; %bb.3062:                             ;   in Loop: Header=BB2_3031 Depth=1
	s_mov_b32 s22, 0
	s_mov_b32 s25, 0
                                        ; implicit-def: $sgpr23
                                        ; implicit-def: $sgpr24
	s_branch .LBB2_3064
.LBB2_3063:                             ;   in Loop: Header=BB2_3064 Depth=2
	s_or_b32 exec_lo, exec_lo, s27
	s_delay_alu instid0(SALU_CYCLE_1) | instskip(NEXT) | instid1(SALU_CYCLE_1)
	s_and_b32 s26, exec_lo, s28
	s_or_b32 s22, s26, s22
	s_and_not1_b32 s23, s23, exec_lo
	s_and_b32 s26, s24, exec_lo
	s_delay_alu instid0(SALU_CYCLE_1)
	s_or_b32 s23, s23, s26
	s_and_not1_b32 exec_lo, exec_lo, s22
	s_cbranch_execz .LBB2_3068
.LBB2_3064:                             ;   Parent Loop BB2_3031 Depth=1
                                        ; =>  This Inner Loop Header: Depth=2
	s_add_co_i32 s25, s25, 1
	s_delay_alu instid0(SALU_CYCLE_1) | instskip(SKIP_1) | instid1(SALU_CYCLE_1)
	s_cmp_lg_u32 s25, 0x2710
	s_cselect_b32 s26, -1, 0
	s_and_b32 vcc_lo, exec_lo, s26
	s_cbranch_vccz .LBB2_3066
; %bb.3065:                             ;   in Loop: Header=BB2_3064 Depth=2
	s_mov_b32 s28, -1
	s_or_b32 s24, s24, exec_lo
	s_and_saveexec_b32 s27, s26
	s_cbranch_execz .LBB2_3063
	s_branch .LBB2_3067
.LBB2_3066:                             ;   in Loop: Header=BB2_3064 Depth=2
	s_trap 2
	ds_load_b64 v[68:69], v0
	s_and_not1_b32 s26, s26, exec_lo
	s_mov_b32 s25, 0
	s_wait_loadcnt_dscnt 0x0
	flat_load_b32 v12, v[68:69] scope:SCOPE_SYS
	s_wait_loadcnt_dscnt 0x0
	global_inv scope:SCOPE_SYS
	v_cmp_eq_u32_e32 vcc_lo, 0, v12
	s_and_b32 s27, vcc_lo, exec_lo
	s_delay_alu instid0(SALU_CYCLE_1)
	s_or_b32 s26, s26, s27
	s_mov_b32 s28, -1
	s_or_b32 s24, s24, exec_lo
	s_and_saveexec_b32 s27, s26
	s_cbranch_execz .LBB2_3063
.LBB2_3067:                             ;   in Loop: Header=BB2_3064 Depth=2
	s_sleep 1
	s_trap 2
	ds_load_b64 v[68:69], v0
	s_wait_dscnt 0x0
	s_and_not1_b32 s24, s24, exec_lo
	v_cmp_ge_u64_e32 vcc_lo, v[68:69], v[32:33]
	s_or_not1_b32 s28, vcc_lo, exec_lo
	s_branch .LBB2_3063
.LBB2_3068:                             ;   in Loop: Header=BB2_3031 Depth=1
	s_or_b32 exec_lo, exec_lo, s22
	s_and_saveexec_b32 s22, s23
	s_delay_alu instid0(SALU_CYCLE_1)
	s_xor_b32 s22, exec_lo, s22
	s_cbranch_execz .LBB2_3070
; %bb.3069:                             ;   in Loop: Header=BB2_3031 Depth=1
	ds_store_b32 v0, v83
	s_trap 2
.LBB2_3070:                             ;   in Loop: Header=BB2_3031 Depth=1
	s_or_b32 exec_lo, exec_lo, s21
	;;#ASMSTART
	s_wakeup
	;;#ASMEND
.LBB2_3071:                             ;   in Loop: Header=BB2_3031 Depth=1
	s_or_b32 exec_lo, exec_lo, s20
.LBB2_3072:                             ;   in Loop: Header=BB2_3031 Depth=1
	s_and_not1_saveexec_b32 s19, s19
	s_cbranch_execz .LBB2_3074
; %bb.3073:                             ;   in Loop: Header=BB2_3031 Depth=1
	global_wb scope:SCOPE_DEV
	s_wait_storecnt 0x0
	s_wait_loadcnt_dscnt 0x0
	global_inv scope:SCOPE_DEV
	s_barrier_signal -1
	s_barrier_wait -1
.LBB2_3074:                             ;   in Loop: Header=BB2_3031 Depth=1
	s_or_b32 exec_lo, exec_lo, s19
.LBB2_3075:                             ;   in Loop: Header=BB2_3031 Depth=1
	s_delay_alu instid0(SALU_CYCLE_1) | instskip(SKIP_3) | instid1(VALU_DEP_1)
	s_or_b32 exec_lo, exec_lo, s10
	s_trap 2
	ds_load_b32 v65, v0
	v_and_b32_e32 v12, 0x4000, v112
	v_cmp_ne_u32_e32 vcc_lo, 0, v12
	s_and_b32 s19, s15, vcc_lo
	s_delay_alu instid0(SALU_CYCLE_1)
	s_and_saveexec_b32 s10, s19
	s_cbranch_execz .LBB2_3094
; %bb.3076:                             ;   in Loop: Header=BB2_3031 Depth=1
	s_and_saveexec_b32 s19, s3
	s_delay_alu instid0(SALU_CYCLE_1)
	s_xor_b32 s19, exec_lo, s19
	s_cbranch_execz .LBB2_3091
; %bb.3077:                             ;   in Loop: Header=BB2_3031 Depth=1
	s_and_saveexec_b32 s20, s4
	s_cbranch_execz .LBB2_3090
; %bb.3078:                             ;   in Loop: Header=BB2_3031 Depth=1
	s_mov_b32 s22, exec_lo
	s_mov_b32 s21, exec_lo
	v_mbcnt_lo_u32_b32 v12, s22, 0
	global_wb scope:SCOPE_DEV
	s_wait_storecnt 0x0
	s_wait_loadcnt_dscnt 0x0
	global_inv scope:SCOPE_DEV
	v_cmpx_eq_u32_e32 0, v12
	s_cbranch_execz .LBB2_3080
; %bb.3079:                             ;   in Loop: Header=BB2_3031 Depth=1
	s_bcnt1_i32_b32 s22, s22
	s_delay_alu instid0(SALU_CYCLE_1)
	v_mov_b32_e32 v12, s22
	s_wait_loadcnt 0x0
	ds_add_u64 v0, v[12:13]
	s_trap 2
.LBB2_3080:                             ;   in Loop: Header=BB2_3031 Depth=1
	s_or_b32 exec_lo, exec_lo, s21
	s_trap 2
	ds_load_b64 v[68:69], v0
	s_wait_dscnt 0x0
	v_add_nc_u64_e32 v[32:33], v[32:33], v[10:11]
	s_mov_b32 s21, exec_lo
	s_delay_alu instid0(VALU_DEP_1)
	v_cmpx_lt_u64_e64 v[68:69], v[32:33]
	s_cbranch_execz .LBB2_3089
; %bb.3081:                             ;   in Loop: Header=BB2_3031 Depth=1
	s_mov_b32 s22, 0
	s_mov_b32 s25, 0
                                        ; implicit-def: $sgpr23
                                        ; implicit-def: $sgpr24
	s_branch .LBB2_3083
.LBB2_3082:                             ;   in Loop: Header=BB2_3083 Depth=2
	s_or_b32 exec_lo, exec_lo, s27
	s_delay_alu instid0(SALU_CYCLE_1) | instskip(NEXT) | instid1(SALU_CYCLE_1)
	s_and_b32 s26, exec_lo, s28
	s_or_b32 s22, s26, s22
	s_and_not1_b32 s23, s23, exec_lo
	s_and_b32 s26, s24, exec_lo
	s_delay_alu instid0(SALU_CYCLE_1)
	s_or_b32 s23, s23, s26
	s_and_not1_b32 exec_lo, exec_lo, s22
	s_cbranch_execz .LBB2_3087
.LBB2_3083:                             ;   Parent Loop BB2_3031 Depth=1
                                        ; =>  This Inner Loop Header: Depth=2
	s_add_co_i32 s25, s25, 1
	s_delay_alu instid0(SALU_CYCLE_1) | instskip(SKIP_1) | instid1(SALU_CYCLE_1)
	s_cmp_lg_u32 s25, 0x2710
	s_cselect_b32 s26, -1, 0
	s_and_b32 vcc_lo, exec_lo, s26
	s_cbranch_vccz .LBB2_3085
; %bb.3084:                             ;   in Loop: Header=BB2_3083 Depth=2
	s_mov_b32 s28, -1
	s_or_b32 s24, s24, exec_lo
	s_and_saveexec_b32 s27, s26
	s_cbranch_execz .LBB2_3082
	s_branch .LBB2_3086
.LBB2_3085:                             ;   in Loop: Header=BB2_3083 Depth=2
	s_trap 2
	ds_load_b64 v[68:69], v0
	s_and_not1_b32 s26, s26, exec_lo
	s_mov_b32 s25, 0
	s_wait_loadcnt_dscnt 0x0
	flat_load_b32 v12, v[68:69] scope:SCOPE_SYS
	s_wait_loadcnt_dscnt 0x0
	global_inv scope:SCOPE_SYS
	v_cmp_eq_u32_e32 vcc_lo, 0, v12
	s_and_b32 s27, vcc_lo, exec_lo
	s_delay_alu instid0(SALU_CYCLE_1)
	s_or_b32 s26, s26, s27
	s_mov_b32 s28, -1
	s_or_b32 s24, s24, exec_lo
	s_and_saveexec_b32 s27, s26
	s_cbranch_execz .LBB2_3082
.LBB2_3086:                             ;   in Loop: Header=BB2_3083 Depth=2
	s_sleep 1
	s_trap 2
	ds_load_b64 v[68:69], v0
	s_wait_dscnt 0x0
	s_and_not1_b32 s24, s24, exec_lo
	v_cmp_ge_u64_e32 vcc_lo, v[68:69], v[32:33]
	s_or_not1_b32 s28, vcc_lo, exec_lo
	s_branch .LBB2_3082
.LBB2_3087:                             ;   in Loop: Header=BB2_3031 Depth=1
	s_or_b32 exec_lo, exec_lo, s22
	s_and_saveexec_b32 s22, s23
	s_delay_alu instid0(SALU_CYCLE_1)
	s_xor_b32 s22, exec_lo, s22
	s_cbranch_execz .LBB2_3089
; %bb.3088:                             ;   in Loop: Header=BB2_3031 Depth=1
	ds_store_b32 v0, v83
	s_trap 2
.LBB2_3089:                             ;   in Loop: Header=BB2_3031 Depth=1
	s_or_b32 exec_lo, exec_lo, s21
	;;#ASMSTART
	s_wakeup
	;;#ASMEND
.LBB2_3090:                             ;   in Loop: Header=BB2_3031 Depth=1
	s_or_b32 exec_lo, exec_lo, s20
.LBB2_3091:                             ;   in Loop: Header=BB2_3031 Depth=1
	s_and_not1_saveexec_b32 s19, s19
	s_cbranch_execz .LBB2_3093
; %bb.3092:                             ;   in Loop: Header=BB2_3031 Depth=1
	global_wb scope:SCOPE_DEV
	s_wait_storecnt 0x0
	s_wait_loadcnt_dscnt 0x0
	global_inv scope:SCOPE_DEV
	s_barrier_signal -1
	s_barrier_wait -1
.LBB2_3093:                             ;   in Loop: Header=BB2_3031 Depth=1
	s_or_b32 exec_lo, exec_lo, s19
.LBB2_3094:                             ;   in Loop: Header=BB2_3031 Depth=1
	s_delay_alu instid0(SALU_CYCLE_1)
	s_or_b32 exec_lo, exec_lo, s10
	s_trap 2
	ds_load_b64 v[68:69], v0
	s_wait_dscnt 0x0
	v_cmp_eq_u64_e32 vcc_lo, 0, v[68:69]
	s_cbranch_vccnz .LBB2_3102
; %bb.3095:                             ;   in Loop: Header=BB2_3031 Depth=1
	s_trap 2
	ds_load_b64 v[70:71], v0
	s_wait_dscnt 0x0
	v_cmp_eq_u64_e32 vcc_lo, 0, v[70:71]
	s_cbranch_vccnz .LBB2_3102
; %bb.3096:                             ;   in Loop: Header=BB2_3031 Depth=1
	s_mov_b32 s10, -1
	s_and_saveexec_b32 s19, s5
	s_cbranch_execz .LBB2_3098
; %bb.3097:                             ;   in Loop: Header=BB2_3031 Depth=1
	ds_load_b32 v12, v0 offset:720
	s_wait_dscnt 0x0
	v_and_b32_e32 v12, 15, v12
	s_delay_alu instid0(VALU_DEP_1)
	v_cmp_eq_u32_e32 vcc_lo, 0, v12
	s_or_not1_b32 s10, vcc_lo, exec_lo
.LBB2_3098:                             ;   in Loop: Header=BB2_3031 Depth=1
	s_or_b32 exec_lo, exec_lo, s19
	s_and_saveexec_b32 s19, s6
	s_cbranch_execz .LBB2_3100
; %bb.3099:                             ;   in Loop: Header=BB2_3031 Depth=1
	ds_load_b32 v12, v0 offset:784
	s_wait_dscnt 0x0
	v_and_b32_e32 v12, 15, v12
	s_delay_alu instid0(VALU_DEP_1) | instskip(SKIP_3) | instid1(SALU_CYCLE_1)
	v_cmp_eq_u32_e32 vcc_lo, 0, v12
	s_and_b32 s20, s10, vcc_lo
	s_and_not1_b32 s10, s10, exec_lo
	s_and_b32 s20, s20, exec_lo
	s_or_b32 s10, s10, s20
.LBB2_3100:                             ;   in Loop: Header=BB2_3031 Depth=1
	s_or_b32 exec_lo, exec_lo, s19
	v_cmp_eq_u32_e32 vcc_lo, 0, v65
	s_xor_b32 s10, s10, -1
	v_mov_b32_e32 v80, v30
	v_cndmask_b32_e64 v67, 0, 1, s10
	s_mov_b32 s20, -1
	v_dual_cndmask_b32 v12, 0, v66 :: v_dual_mov_b32 v65, 0
	v_mov_b32_e32 v84, v0
	s_delay_alu instid0(VALU_DEP_3) | instskip(NEXT) | instid1(VALU_DEP_3)
	v_cmp_ne_u32_e32 vcc_lo, 0, v67
	v_mov_b32_e32 v67, v12
	s_cbranch_vccz .LBB2_3103
; %bb.3101:                             ;   in Loop: Header=BB2_3031 Depth=1
	s_and_saveexec_b32 s10, s20
	s_cbranch_execnz .LBB2_3116
	s_branch .LBB2_3124
.LBB2_3102:                             ;   in Loop: Header=BB2_3031 Depth=1
	s_mov_b32 s10, 0
	s_and_saveexec_b32 s19, s2
	s_cbranch_execnz .LBB2_3125
	s_branch .LBB2_3143
.LBB2_3103:                             ;   in Loop: Header=BB2_3031 Depth=1
	v_lshrrev_b32_e32 v65, 10, v12
	s_mov_b32 s10, exec_lo
	s_delay_alu instid0(VALU_DEP_1) | instskip(NEXT) | instid1(VALU_DEP_1)
	v_sub_nc_u32_e32 v85, v65, v30
	v_cmpx_lt_i32_e32 0, v85
	s_cbranch_execz .LBB2_3107
; %bb.3104:                             ;   in Loop: Header=BB2_3031 Depth=1
	v_mov_b64_e32 v[80:81], v[48:49]
	s_mov_b32 s19, 0
.LBB2_3105:                             ;   Parent Loop BB2_3031 Depth=1
                                        ; =>  This Inner Loop Header: Depth=2
	s_delay_alu instid0(VALU_DEP_1)
	v_add_nc_u64_e32 v[86:87], v[68:69], v[80:81]
	v_sub_nc_u32_e32 v85, v85, v10
	s_clause 0x1
	global_load_b128 v[96:99], v[86:87], off th:TH_LOAD_NT
	global_load_b128 v[100:103], v[86:87], off offset:512 th:TH_LOAD_NT
	s_wait_xcnt 0x0
	v_add_nc_u64_e32 v[86:87], v[70:71], v[80:81]
	v_cmp_gt_i32_e32 vcc_lo, 1, v85
	v_add_nc_u64_e32 v[80:81], v[80:81], v[16:17]
	s_wait_loadcnt 0x1
	global_store_b128 v[86:87], v[96:99], off th:TH_STORE_NT
	s_wait_loadcnt 0x0
	global_store_b128 v[86:87], v[100:103], off offset:512 th:TH_STORE_NT
	s_or_b32 s19, vcc_lo, s19
	s_wait_xcnt 0x0
	s_and_not1_b32 exec_lo, exec_lo, s19
	s_cbranch_execnz .LBB2_3105
; %bb.3106:                             ;   in Loop: Header=BB2_3031 Depth=1
	s_or_b32 exec_lo, exec_lo, s19
.LBB2_3107:                             ;   in Loop: Header=BB2_3031 Depth=1
	s_delay_alu instid0(SALU_CYCLE_1) | instskip(SKIP_4) | instid1(VALU_DEP_2)
	s_or_b32 exec_lo, exec_lo, s10
	v_and_b32_e32 v81, 0x3ffffc00, v12
	v_mov_b32_e32 v65, 0
	s_mov_b32 s20, 0
	s_mov_b32 s19, exec_lo
                                        ; implicit-def: $vgpr67
                                        ; implicit-def: $vgpr84
                                        ; implicit-def: $vgpr80
	v_cmpx_ne_u32_e64 v12, v81
	s_cbranch_execz .LBB2_3115
; %bb.3108:                             ;   in Loop: Header=BB2_3031 Depth=1
	v_lshlrev_b32_e32 v65, 5, v85
	v_bfe_u32 v87, v12, 9, 1
	v_and_b32_e32 v86, 0x3ff, v12
	s_mov_b32 s20, exec_lo
	s_delay_alu instid0(VALU_DEP_3) | instskip(NEXT) | instid1(VALU_DEP_1)
	v_sub_nc_u32_e32 v65, v82, v65
	v_ashrrev_i32_e32 v67, 31, v65
	s_delay_alu instid0(VALU_DEP_1) | instskip(NEXT) | instid1(VALU_DEP_1)
	v_lshrrev_b32_e32 v67, 27, v67
	v_add_nc_u32_e32 v67, v65, v67
	s_delay_alu instid0(VALU_DEP_1) | instskip(NEXT) | instid1(VALU_DEP_1)
	v_and_b32_e32 v80, 0xffffffe0, v67
	v_dual_ashrrev_i32 v84, 5, v67 :: v_dual_sub_nc_u32 v85, v65, v80
	v_and_b32_e32 v65, 0x1ff, v12
	s_delay_alu instid0(VALU_DEP_2) | instskip(NEXT) | instid1(VALU_DEP_2)
	v_lshlrev_b32_e32 v67, 4, v85
	v_cmp_lt_u32_e32 vcc_lo, 15, v65
	s_delay_alu instid0(VALU_DEP_2) | instskip(SKIP_1) | instid1(VALU_DEP_2)
	v_lshl_add_u32 v80, v84, 9, v67
	v_add_co_ci_u32_e64 v87, null, 0, v87, vcc_lo
	v_sub_nc_u32_e32 v67, v86, v80
	s_delay_alu instid0(VALU_DEP_2) | instskip(NEXT) | instid1(VALU_DEP_2)
	v_sub_nc_u32_e32 v86, v87, v84
	v_cmpx_lt_i32_e32 15, v67
	s_cbranch_execz .LBB2_3112
; %bb.3109:                             ;   in Loop: Header=BB2_3031 Depth=1
	v_add_nc_u32_e32 v80, v80, v81
	s_mov_b32 s21, 0
	s_delay_alu instid0(VALU_DEP_1)
	v_ashrrev_i32_e32 v81, 31, v80
.LBB2_3110:                             ;   Parent Loop BB2_3031 Depth=1
                                        ; =>  This Inner Loop Header: Depth=2
	s_delay_alu instid0(VALU_DEP_1) | instskip(SKIP_4) | instid1(VALU_DEP_4)
	v_add_nc_u64_e32 v[96:97], v[68:69], v[80:81]
	v_sub_nc_u32_e32 v67, v67, v38
	v_add_nc_u64_e32 v[100:101], v[70:71], v[80:81]
	v_add_nc_u64_e32 v[80:81], v[80:81], v[38:39]
	v_sub_nc_u32_e32 v86, v86, v10
	v_cmp_gt_i32_e64 s10, 16, v67
	global_load_b128 v[96:99], v[96:97], off th:TH_LOAD_NT
	s_or_b32 s21, s10, s21
	s_wait_loadcnt 0x0
	global_store_b128 v[100:101], v[96:99], off th:TH_STORE_NT
	s_wait_xcnt 0x0
	s_and_not1_b32 exec_lo, exec_lo, s21
	s_cbranch_execnz .LBB2_3110
; %bb.3111:                             ;   in Loop: Header=BB2_3031 Depth=1
	s_or_b32 exec_lo, exec_lo, s21
.LBB2_3112:                             ;   in Loop: Header=BB2_3031 Depth=1
	s_delay_alu instid0(SALU_CYCLE_1) | instskip(SKIP_3) | instid1(VALU_DEP_1)
	s_or_b32 exec_lo, exec_lo, s20
	v_and_b32_e32 v67, 15, v12
	s_mov_b32 s20, 0
	s_mov_b32 s21, exec_lo
                                        ; implicit-def: $vgpr84
                                        ; implicit-def: $vgpr80
	v_dual_cndmask_b32 v67, v65, v67, vcc_lo :: v_dual_mov_b32 v65, 0
	s_delay_alu instid0(VALU_DEP_1)
	v_cmpx_ne_u32_e32 0, v67
	s_cbranch_execz .LBB2_3114
; %bb.3113:                             ;   in Loop: Header=BB2_3031 Depth=1
	v_cmp_lt_i32_e64 s10, 0, v86
	v_and_b32_e32 v80, 0x1f0, v12
	s_mov_b32 s20, exec_lo
	s_delay_alu instid0(VALU_DEP_1) | instskip(NEXT) | instid1(VALU_DEP_1)
	v_dual_cndmask_b32 v65, 0, v10, s10 :: v_dual_cndmask_b32 v80, 0, v80, vcc_lo
	v_sub_nc_u32_e32 v65, v65, v86
	s_delay_alu instid0(VALU_DEP_1) | instskip(NEXT) | instid1(VALU_DEP_1)
	v_lshl_add_u32 v84, v65, 5, v85
	v_ashrrev_i32_e32 v65, 31, v84
	s_delay_alu instid0(VALU_DEP_1) | instskip(NEXT) | instid1(VALU_DEP_1)
	v_lshrrev_b32_e32 v65, 27, v65
	v_add_nc_u32_e32 v81, v84, v65
	v_and_or_b32 v65, 0x3ffffe00, v12, v80
	s_delay_alu instid0(VALU_DEP_2)
	v_ashrrev_i32_e32 v80, 5, v81
.LBB2_3114:                             ;   in Loop: Header=BB2_3031 Depth=1
	s_or_b32 exec_lo, exec_lo, s21
	s_delay_alu instid0(SALU_CYCLE_1)
	s_and_b32 s20, s20, exec_lo
.LBB2_3115:                             ;   in Loop: Header=BB2_3031 Depth=1
	s_or_b32 exec_lo, exec_lo, s19
	s_and_saveexec_b32 s10, s20
	s_cbranch_execz .LBB2_3124
.LBB2_3116:                             ;   in Loop: Header=BB2_3031 Depth=1
	v_lshrrev_b32_e32 v81, 8, v67
	s_mov_b32 s19, exec_lo
	s_delay_alu instid0(VALU_DEP_1) | instskip(SKIP_1) | instid1(VALU_DEP_1)
	v_sub_nc_u32_e32 v85, v81, v80
	v_ashrrev_i32_e32 v81, 31, v84
	v_lshrrev_b32_e32 v86, 27, v81
	s_delay_alu instid0(VALU_DEP_3)
	v_cmpx_lt_i32_e32 0, v85
	s_cbranch_execz .LBB2_3120
; %bb.3117:                             ;   in Loop: Header=BB2_3031 Depth=1
	s_delay_alu instid0(VALU_DEP_2) | instskip(SKIP_1) | instid1(VALU_DEP_1)
	v_dual_add_nc_u32 v81, v84, v86 :: v_dual_lshlrev_b32 v80, 8, v80
	s_mov_b32 s20, 0
	v_and_b32_e32 v81, 0xffffffe0, v81
	s_delay_alu instid0(VALU_DEP_1) | instskip(NEXT) | instid1(VALU_DEP_1)
	v_sub_nc_u32_e32 v81, v84, v81
	v_add3_u32 v80, v65, v81, v80
	s_delay_alu instid0(VALU_DEP_1)
	v_ashrrev_i32_e32 v81, 31, v80
.LBB2_3118:                             ;   Parent Loop BB2_3031 Depth=1
                                        ; =>  This Inner Loop Header: Depth=2
	s_delay_alu instid0(VALU_DEP_1)
	v_add_nc_u64_e32 v[96:97], v[80:81], v[68:69]
	v_sub_nc_u32_e32 v85, v85, v10
	v_add_nc_u64_e32 v[68:69], v[68:69], v[50:51]
	s_clause 0x7
	flat_load_u8 v87, v[96:97] th:TH_LOAD_NT
	flat_load_u8 v98, v[96:97] offset:32 th:TH_LOAD_NT
	flat_load_u8 v99, v[96:97] offset:64 th:TH_LOAD_NT
	;; [unrolled: 1-line block ×7, first 2 shown]
	s_wait_xcnt 0x0
	v_add_nc_u64_e32 v[96:97], v[80:81], v[70:71]
	v_add_nc_u64_e32 v[70:71], v[70:71], v[50:51]
	v_cmp_gt_i32_e32 vcc_lo, 1, v85
	s_wait_loadcnt_dscnt 0x707
	flat_store_b8 v[96:97], v87 th:TH_STORE_NT
	s_wait_loadcnt_dscnt 0x607
	flat_store_b8 v[96:97], v98 offset:32 th:TH_STORE_NT
	s_wait_loadcnt_dscnt 0x507
	flat_store_b8 v[96:97], v99 offset:64 th:TH_STORE_NT
	;; [unrolled: 2-line block ×7, first 2 shown]
	s_or_b32 s20, vcc_lo, s20
	s_wait_xcnt 0x0
	s_and_not1_b32 exec_lo, exec_lo, s20
	s_cbranch_execnz .LBB2_3118
; %bb.3119:                             ;   in Loop: Header=BB2_3031 Depth=1
	s_or_b32 exec_lo, exec_lo, s20
.LBB2_3120:                             ;   in Loop: Header=BB2_3031 Depth=1
	s_delay_alu instid0(SALU_CYCLE_1) | instskip(SKIP_1) | instid1(VALU_DEP_1)
	s_or_b32 exec_lo, exec_lo, s19
	v_and_b32_e32 v70, 0xffffff00, v67
	v_cmp_ne_u32_e32 vcc_lo, v67, v70
	s_and_b32 exec_lo, exec_lo, vcc_lo
	s_cbranch_execz .LBB2_3124
; %bb.3121:                             ;   in Loop: Header=BB2_3031 Depth=1
	v_dual_add_nc_u32 v68, v84, v86 :: v_dual_lshlrev_b32 v69, 5, v85
	v_and_b32_e32 v67, 0xff, v67
	s_delay_alu instid0(VALU_DEP_2) | instskip(NEXT) | instid1(VALU_DEP_1)
	v_and_b32_e32 v68, 0xffffffe0, v68
	v_sub_nc_u32_e32 v68, v84, v68
	s_delay_alu instid0(VALU_DEP_1) | instskip(NEXT) | instid1(VALU_DEP_1)
	v_sub_nc_u32_e32 v71, v68, v69
	v_sub_nc_u32_e32 v67, v67, v71
	s_delay_alu instid0(VALU_DEP_1)
	v_cmp_lt_i32_e32 vcc_lo, 0, v67
	s_and_b32 exec_lo, exec_lo, vcc_lo
	s_cbranch_execz .LBB2_3124
; %bb.3122:                             ;   in Loop: Header=BB2_3031 Depth=1
	s_trap 2
	ds_load_b64 v[68:69], v0
	v_add3_u32 v70, v70, v65, v71
	s_mov_b32 s19, 0
	s_delay_alu instid0(VALU_DEP_1)
	v_ashrrev_i32_e32 v71, 31, v70
.LBB2_3123:                             ;   Parent Loop BB2_3031 Depth=1
                                        ; =>  This Inner Loop Header: Depth=2
	s_wait_dscnt 0x0
	s_delay_alu instid0(VALU_DEP_1) | instskip(SKIP_2) | instid1(VALU_DEP_2)
	v_add_nc_u64_e32 v[80:81], v[68:69], v[70:71]
	v_sub_nc_u32_e32 v67, v67, v14
	v_add_nc_u64_e32 v[70:71], v[70:71], v[14:15]
	v_cmp_gt_i32_e32 vcc_lo, 1, v67
	flat_load_u8 v65, v[80:81] th:TH_LOAD_NT
	s_or_b32 s19, vcc_lo, s19
	s_wait_loadcnt_dscnt 0x0
	flat_store_b8 v[80:81], v65 th:TH_STORE_NT
	s_wait_xcnt 0x0
	s_and_not1_b32 exec_lo, exec_lo, s19
	s_cbranch_execnz .LBB2_3123
.LBB2_3124:                             ;   in Loop: Header=BB2_3031 Depth=1
	s_or_b32 exec_lo, exec_lo, s10
	v_cmp_ne_u32_e64 s10, 0, v12
	s_and_saveexec_b32 s19, s2
	s_cbranch_execz .LBB2_3143
.LBB2_3125:                             ;   in Loop: Header=BB2_3031 Depth=1
	s_and_saveexec_b32 s20, s3
	s_delay_alu instid0(SALU_CYCLE_1)
	s_xor_b32 s20, exec_lo, s20
	s_cbranch_execz .LBB2_3140
; %bb.3126:                             ;   in Loop: Header=BB2_3031 Depth=1
	s_and_saveexec_b32 s21, s4
	s_cbranch_execz .LBB2_3139
; %bb.3127:                             ;   in Loop: Header=BB2_3031 Depth=1
	s_mov_b32 s23, exec_lo
	s_mov_b32 s22, exec_lo
	v_mbcnt_lo_u32_b32 v12, s23, 0
	global_wb scope:SCOPE_DEV
	s_wait_storecnt 0x0
	s_wait_loadcnt_dscnt 0x0
	global_inv scope:SCOPE_DEV
	v_cmpx_eq_u32_e32 0, v12
	s_cbranch_execz .LBB2_3129
; %bb.3128:                             ;   in Loop: Header=BB2_3031 Depth=1
	s_bcnt1_i32_b32 s23, s23
	s_delay_alu instid0(SALU_CYCLE_1)
	v_mov_b32_e32 v12, s23
	s_wait_loadcnt 0x0
	ds_add_u64 v0, v[12:13]
	s_trap 2
.LBB2_3129:                             ;   in Loop: Header=BB2_3031 Depth=1
	s_or_b32 exec_lo, exec_lo, s22
	s_trap 2
	ds_load_b64 v[68:69], v0
	s_wait_dscnt 0x0
	v_add_nc_u64_e32 v[32:33], v[32:33], v[10:11]
	s_mov_b32 s22, exec_lo
	s_delay_alu instid0(VALU_DEP_1)
	v_cmpx_lt_u64_e64 v[68:69], v[32:33]
	s_cbranch_execz .LBB2_3138
; %bb.3130:                             ;   in Loop: Header=BB2_3031 Depth=1
	s_mov_b32 s23, 0
	s_mov_b32 s26, 0
                                        ; implicit-def: $sgpr24
                                        ; implicit-def: $sgpr25
	s_branch .LBB2_3132
.LBB2_3131:                             ;   in Loop: Header=BB2_3132 Depth=2
	s_or_b32 exec_lo, exec_lo, s28
	s_delay_alu instid0(SALU_CYCLE_1) | instskip(NEXT) | instid1(SALU_CYCLE_1)
	s_and_b32 s27, exec_lo, s29
	s_or_b32 s23, s27, s23
	s_and_not1_b32 s24, s24, exec_lo
	s_and_b32 s27, s25, exec_lo
	s_delay_alu instid0(SALU_CYCLE_1)
	s_or_b32 s24, s24, s27
	s_and_not1_b32 exec_lo, exec_lo, s23
	s_cbranch_execz .LBB2_3136
.LBB2_3132:                             ;   Parent Loop BB2_3031 Depth=1
                                        ; =>  This Inner Loop Header: Depth=2
	s_add_co_i32 s26, s26, 1
	s_delay_alu instid0(SALU_CYCLE_1) | instskip(SKIP_1) | instid1(SALU_CYCLE_1)
	s_cmp_lg_u32 s26, 0x2710
	s_cselect_b32 s27, -1, 0
	s_and_b32 vcc_lo, exec_lo, s27
	s_cbranch_vccz .LBB2_3134
; %bb.3133:                             ;   in Loop: Header=BB2_3132 Depth=2
	s_mov_b32 s29, -1
	s_or_b32 s25, s25, exec_lo
	s_and_saveexec_b32 s28, s27
	s_cbranch_execz .LBB2_3131
	s_branch .LBB2_3135
.LBB2_3134:                             ;   in Loop: Header=BB2_3132 Depth=2
	s_trap 2
	ds_load_b64 v[68:69], v0
	s_and_not1_b32 s27, s27, exec_lo
	s_mov_b32 s26, 0
	s_wait_loadcnt_dscnt 0x0
	flat_load_b32 v12, v[68:69] scope:SCOPE_SYS
	s_wait_loadcnt_dscnt 0x0
	global_inv scope:SCOPE_SYS
	v_cmp_eq_u32_e32 vcc_lo, 0, v12
	s_and_b32 s28, vcc_lo, exec_lo
	s_delay_alu instid0(SALU_CYCLE_1)
	s_or_b32 s27, s27, s28
	s_mov_b32 s29, -1
	s_or_b32 s25, s25, exec_lo
	s_and_saveexec_b32 s28, s27
	s_cbranch_execz .LBB2_3131
.LBB2_3135:                             ;   in Loop: Header=BB2_3132 Depth=2
	s_sleep 1
	s_trap 2
	ds_load_b64 v[68:69], v0
	s_wait_dscnt 0x0
	s_and_not1_b32 s25, s25, exec_lo
	v_cmp_ge_u64_e32 vcc_lo, v[68:69], v[32:33]
	s_or_not1_b32 s29, vcc_lo, exec_lo
	s_branch .LBB2_3131
.LBB2_3136:                             ;   in Loop: Header=BB2_3031 Depth=1
	s_or_b32 exec_lo, exec_lo, s23
	s_and_saveexec_b32 s23, s24
	s_delay_alu instid0(SALU_CYCLE_1)
	s_xor_b32 s23, exec_lo, s23
	s_cbranch_execz .LBB2_3138
; %bb.3137:                             ;   in Loop: Header=BB2_3031 Depth=1
	ds_store_b32 v0, v83
	s_trap 2
.LBB2_3138:                             ;   in Loop: Header=BB2_3031 Depth=1
	s_or_b32 exec_lo, exec_lo, s22
	;;#ASMSTART
	s_wakeup
	;;#ASMEND
.LBB2_3139:                             ;   in Loop: Header=BB2_3031 Depth=1
	s_or_b32 exec_lo, exec_lo, s21
.LBB2_3140:                             ;   in Loop: Header=BB2_3031 Depth=1
	s_and_not1_saveexec_b32 s20, s20
	s_cbranch_execz .LBB2_3142
; %bb.3141:                             ;   in Loop: Header=BB2_3031 Depth=1
	global_wb scope:SCOPE_DEV
	s_wait_storecnt 0x0
	s_wait_loadcnt_dscnt 0x0
	global_inv scope:SCOPE_DEV
	s_barrier_signal -1
	s_barrier_wait -1
.LBB2_3142:                             ;   in Loop: Header=BB2_3031 Depth=1
	s_or_b32 exec_lo, exec_lo, s20
.LBB2_3143:                             ;   in Loop: Header=BB2_3031 Depth=1
	s_delay_alu instid0(SALU_CYCLE_1) | instskip(SKIP_1) | instid1(VALU_DEP_1)
	s_or_b32 exec_lo, exec_lo, s19
	v_and_b32_e32 v12, 16, v112
	v_cmp_ne_u32_e32 vcc_lo, 0, v12
	s_and_b32 s19, vcc_lo, s10
	s_delay_alu instid0(SALU_CYCLE_1)
	s_and_saveexec_b32 s10, s19
	s_cbranch_execz .LBB2_3145
; %bb.3144:                             ;   in Loop: Header=BB2_3031 Depth=1
	global_wb scope:SCOPE_SYS
	s_wait_storecnt 0x0
	s_wait_loadcnt_dscnt 0x0
	global_inv scope:SCOPE_SYS
.LBB2_3145:                             ;   in Loop: Header=BB2_3031 Depth=1
	s_or_b32 exec_lo, exec_lo, s10
	s_delay_alu instid0(SALU_CYCLE_1)
	s_mov_b32 s10, exec_lo
	v_cmpx_ne_u32_e32 0, v12
	s_cbranch_execz .LBB2_3149
; %bb.3146:                             ;   in Loop: Header=BB2_3031 Depth=1
	s_and_saveexec_b32 s19, s7
	s_cbranch_execz .LBB2_3148
; %bb.3147:                             ;   in Loop: Header=BB2_3031 Depth=1
	global_wb scope:SCOPE_SYS
	s_wait_storecnt 0x0
	s_wait_loadcnt_dscnt 0x0
	flat_store_b32 v[36:37], v83 scope:SCOPE_SYS
.LBB2_3148:                             ;   in Loop: Header=BB2_3031 Depth=1
	s_wait_xcnt 0x0
	s_or_b32 exec_lo, exec_lo, s19
	v_add_nc_u64_e32 v[8:9], 1, v[8:9]
	global_wb scope:SCOPE_SYS
	s_wait_storecnt 0x0
	s_wait_loadcnt_dscnt 0x0
	flat_store_b64 v[22:23], v[8:9] scope:SCOPE_SYS
.LBB2_3149:                             ;   in Loop: Header=BB2_3031 Depth=1
	s_wait_xcnt 0x0
	s_or_b32 exec_lo, exec_lo, s10
	v_mov_b32_e32 v12, v66
.LBB2_3150:                             ;   in Loop: Header=BB2_3031 Depth=1
	s_or_b32 exec_lo, exec_lo, s17
	s_and_saveexec_b32 s17, s16
	s_cbranch_execz .LBB2_3030
; %bb.3151:                             ;   in Loop: Header=BB2_3031 Depth=1
	s_delay_alu instid0(VALU_DEP_1) | instskip(SKIP_2) | instid1(VALU_DEP_2)
	v_sub_nc_u32_e32 v12, v64, v12
	v_and_b32_e32 v65, 8, v112
	s_mov_b32 s16, exec_lo
	v_min_i32_e32 v64, v66, v12
	s_delay_alu instid0(VALU_DEP_2)
	v_cmpx_ne_u32_e32 0, v65
	s_cbranch_execz .LBB2_3173
; %bb.3152:                             ;   in Loop: Header=BB2_3031 Depth=1
	s_wait_loadcnt 0x0
	v_add_nc_u64_e32 v[68:69], 8, v[28:29]
	v_add_nc_u64_e32 v[66:67], 1, v[8:9]
	s_mov_b32 s19, exec_lo
	s_delay_alu instid0(VALU_DEP_1)
	v_cmpx_lt_u64_e64 v[68:69], v[66:67]
	s_cbranch_execz .LBB2_3164
; %bb.3153:                             ;   in Loop: Header=BB2_3031 Depth=1
	v_and_b32_e32 v9, 64, v112
	s_mov_b32 s20, 0
	s_mov_b32 s24, 0
                                        ; implicit-def: $sgpr21
                                        ; implicit-def: $sgpr22
                                        ; implicit-def: $sgpr23
	s_delay_alu instid0(VALU_DEP_1)
	v_cmp_eq_u32_e32 vcc_lo, 0, v9
	s_branch .LBB2_3157
.LBB2_3154:                             ;   in Loop: Header=BB2_3157 Depth=2
	s_wait_loadcnt_dscnt 0x0
	v_add_nc_u64_e32 v[68:69], 8, v[28:29]
	s_or_b32 s27, s27, exec_lo
	s_delay_alu instid0(VALU_DEP_1)
	v_cmp_ge_u64_e64 s10, v[68:69], v[66:67]
	s_or_not1_b32 s26, s10, exec_lo
.LBB2_3155:                             ;   in Loop: Header=BB2_3157 Depth=2
	s_or_b32 exec_lo, exec_lo, s29
	s_delay_alu instid0(SALU_CYCLE_1)
	s_and_not1_b32 s10, s23, exec_lo
	s_and_b32 s23, s27, exec_lo
	s_and_not1_b32 s22, s22, exec_lo
	s_and_b32 s26, s26, exec_lo
	s_or_b32 s23, s10, s23
	s_or_b32 s22, s22, s26
.LBB2_3156:                             ;   in Loop: Header=BB2_3157 Depth=2
	s_or_b32 exec_lo, exec_lo, s25
	s_delay_alu instid0(SALU_CYCLE_1) | instskip(NEXT) | instid1(SALU_CYCLE_1)
	s_and_b32 s10, exec_lo, s22
	s_or_b32 s20, s10, s20
	s_and_not1_b32 s10, s21, exec_lo
	s_and_b32 s21, s23, exec_lo
	s_delay_alu instid0(SALU_CYCLE_1)
	s_or_b32 s21, s10, s21
	s_and_not1_b32 exec_lo, exec_lo, s20
	s_cbranch_execz .LBB2_3161
.LBB2_3157:                             ;   Parent Loop BB2_3031 Depth=1
                                        ; =>  This Inner Loop Header: Depth=2
	s_sleep 1
	s_wait_loadcnt_dscnt 0x0
	flat_load_b64 v[28:29], v[22:23] scope:SCOPE_SYS
	s_or_b32 s23, s23, exec_lo
	s_or_b32 s22, s22, exec_lo
                                        ; implicit-def: $vgpr9
	s_wait_xcnt 0x0
	s_and_saveexec_b32 s25, vcc_lo
	s_cbranch_execz .LBB2_3156
; %bb.3158:                             ;   in Loop: Header=BB2_3157 Depth=2
	s_cmp_lt_i32 s24, 0x270f
	s_mov_b32 s26, -1
	s_cselect_b32 s28, -1, 0
	s_cmp_gt_i32 s24, 0x270e
	s_cbranch_scc0 .LBB2_3160
; %bb.3159:                             ;   in Loop: Header=BB2_3157 Depth=2
	s_trap 2
	ds_load_b64 v[68:69], v0
	s_and_not1_b32 s24, s28, exec_lo
	s_mov_b32 s27, 0
	s_wait_storecnt 0x0
	s_wait_loadcnt_dscnt 0x0
	flat_load_b32 v9, v[68:69] scope:SCOPE_SYS
	s_wait_loadcnt_dscnt 0x0
	global_inv scope:SCOPE_SYS
	v_cmp_eq_u32_e64 s10, 0, v9
	s_and_b32 s10, s10, exec_lo
	s_delay_alu instid0(SALU_CYCLE_1)
	s_or_b32 s28, s24, s10
	s_mov_b32 s24, 0
	s_and_saveexec_b32 s29, s28
	s_cbranch_execz .LBB2_3155
	s_branch .LBB2_3154
.LBB2_3160:                             ;   in Loop: Header=BB2_3157 Depth=2
	s_add_co_i32 s24, s24, 1
	s_mov_b32 s27, -1
                                        ; implicit-def: $vgpr9
	s_and_saveexec_b32 s29, s28
	s_cbranch_execz .LBB2_3155
	s_branch .LBB2_3154
.LBB2_3161:                             ;   in Loop: Header=BB2_3031 Depth=1
	s_or_b32 exec_lo, exec_lo, s20
	s_xor_b32 s10, s21, -1
	s_delay_alu instid0(SALU_CYCLE_1) | instskip(NEXT) | instid1(SALU_CYCLE_1)
	s_and_saveexec_b32 s20, s10
	s_xor_b32 s10, exec_lo, s20
	s_cbranch_execz .LBB2_3163
; %bb.3162:                             ;   in Loop: Header=BB2_3031 Depth=1
	v_or_b32_e32 v112, 64, v112
	s_wait_storecnt 0x0
	s_wait_loadcnt_dscnt 0x0
	ds_store_b32 v0, v9
	s_trap 2
.LBB2_3163:                             ;   in Loop: Header=BB2_3031 Depth=1
	s_or_b32 exec_lo, exec_lo, s10
.LBB2_3164:                             ;   in Loop: Header=BB2_3031 Depth=1
	s_delay_alu instid0(SALU_CYCLE_1) | instskip(SKIP_4) | instid1(VALU_DEP_2)
	s_or_b32 exec_lo, exec_lo, s19
	v_and_b32_e32 v9, 0x100, v112
	v_and_b32_e32 v12, 7, v8
	s_mov_b32 s10, -1
	;;#ASMSTART
	s_wakeup
	;;#ASMEND
	v_cmp_ne_u32_e32 vcc_lo, 0, v9
                                        ; implicit-def: $vgpr8_vgpr9
	s_and_saveexec_b32 s19, vcc_lo
	s_cbranch_execz .LBB2_3168
; %bb.3165:                             ;   in Loop: Header=BB2_3031 Depth=1
	v_mad_nc_u64_u32 v[68:69], v12, 24, v[6:7]
	v_ashrrev_i32_e32 v65, 31, v64
	s_clause 0x1
	flat_load_b32 v8, v[68:69]
	flat_store_b64 v[68:69], v[64:65] offset:8
	s_wait_loadcnt_dscnt 0x1
	v_cmp_eq_u32_e64 s10, 1, v8
	v_cmp_ne_u32_e32 vcc_lo, 1, v8
                                        ; implicit-def: $vgpr8_vgpr9
	s_wait_xcnt 0x0
	s_and_saveexec_b32 s20, s10
	s_cbranch_execz .LBB2_3167
; %bb.3166:                             ;   in Loop: Header=BB2_3031 Depth=1
	flat_load_b32 v8, v[68:69] offset:4 scope:SCOPE_SYS
	s_wait_loadcnt_dscnt 0x0
	v_ashrrev_i32_e32 v9, 31, v8
.LBB2_3167:                             ;   in Loop: Header=BB2_3031 Depth=1
	s_wait_xcnt 0x0
	s_or_b32 exec_lo, exec_lo, s20
	s_delay_alu instid0(SALU_CYCLE_1)
	s_or_not1_b32 s10, vcc_lo, exec_lo
.LBB2_3168:                             ;   in Loop: Header=BB2_3031 Depth=1
	s_or_b32 exec_lo, exec_lo, s19
	s_and_saveexec_b32 s19, s10
; %bb.3169:                             ;   in Loop: Header=BB2_3031 Depth=1
	v_mul_u64_e32 v[8:9], v[12:13], v[24:25]
; %bb.3170:                             ;   in Loop: Header=BB2_3031 Depth=1
	s_or_b32 exec_lo, exec_lo, s19
	s_delay_alu instid0(VALU_DEP_1)
	v_add_nc_u64_e32 v[8:9], v[26:27], v[8:9]
	v_and_b32_e32 v12, 0x2000, v112
	s_mov_b32 s10, exec_lo
	ds_store_b64 v0, v[8:9] offset:784
	v_cmpx_ne_u32_e32 0, v12
	s_cbranch_execz .LBB2_3172
; %bb.3171:                             ;   in Loop: Header=BB2_3031 Depth=1
	ds_load_b64 v[8:9], v0 offset:872
	s_wait_dscnt 0x0
	v_add_nc_u64_e32 v[8:9], 1, v[8:9]
	ds_store_b64 v0, v[8:9] offset:872
.LBB2_3172:                             ;   in Loop: Header=BB2_3031 Depth=1
	s_or_b32 exec_lo, exec_lo, s10
	v_mov_b64_e32 v[8:9], v[66:67]
.LBB2_3173:                             ;   in Loop: Header=BB2_3031 Depth=1
	s_or_b32 exec_lo, exec_lo, s16
	s_and_saveexec_b32 s10, s2
	s_cbranch_execz .LBB2_3192
; %bb.3174:                             ;   in Loop: Header=BB2_3031 Depth=1
	s_and_saveexec_b32 s16, s3
	s_delay_alu instid0(SALU_CYCLE_1)
	s_xor_b32 s16, exec_lo, s16
	s_cbranch_execz .LBB2_3189
; %bb.3175:                             ;   in Loop: Header=BB2_3031 Depth=1
	s_and_saveexec_b32 s19, s4
	s_cbranch_execz .LBB2_3188
; %bb.3176:                             ;   in Loop: Header=BB2_3031 Depth=1
	s_mov_b32 s21, exec_lo
	s_mov_b32 s20, exec_lo
	v_mbcnt_lo_u32_b32 v12, s21, 0
	global_wb scope:SCOPE_DEV
	s_wait_storecnt 0x0
	s_wait_loadcnt_dscnt 0x0
	global_inv scope:SCOPE_DEV
	v_cmpx_eq_u32_e32 0, v12
	s_cbranch_execz .LBB2_3178
; %bb.3177:                             ;   in Loop: Header=BB2_3031 Depth=1
	s_bcnt1_i32_b32 s21, s21
	s_delay_alu instid0(SALU_CYCLE_1)
	v_mov_b32_e32 v12, s21
	s_wait_loadcnt 0x0
	ds_add_u64 v0, v[12:13]
	s_trap 2
.LBB2_3178:                             ;   in Loop: Header=BB2_3031 Depth=1
	s_or_b32 exec_lo, exec_lo, s20
	s_trap 2
	ds_load_b64 v[66:67], v0
	s_wait_dscnt 0x0
	v_add_nc_u64_e32 v[32:33], v[32:33], v[10:11]
	s_mov_b32 s20, exec_lo
	s_delay_alu instid0(VALU_DEP_1)
	v_cmpx_lt_u64_e64 v[66:67], v[32:33]
	s_cbranch_execz .LBB2_3187
; %bb.3179:                             ;   in Loop: Header=BB2_3031 Depth=1
	s_mov_b32 s21, 0
	s_mov_b32 s24, 0
                                        ; implicit-def: $sgpr22
                                        ; implicit-def: $sgpr23
	s_branch .LBB2_3181
.LBB2_3180:                             ;   in Loop: Header=BB2_3181 Depth=2
	s_or_b32 exec_lo, exec_lo, s26
	s_delay_alu instid0(SALU_CYCLE_1) | instskip(NEXT) | instid1(SALU_CYCLE_1)
	s_and_b32 s25, exec_lo, s27
	s_or_b32 s21, s25, s21
	s_and_not1_b32 s22, s22, exec_lo
	s_and_b32 s25, s23, exec_lo
	s_delay_alu instid0(SALU_CYCLE_1)
	s_or_b32 s22, s22, s25
	s_and_not1_b32 exec_lo, exec_lo, s21
	s_cbranch_execz .LBB2_3185
.LBB2_3181:                             ;   Parent Loop BB2_3031 Depth=1
                                        ; =>  This Inner Loop Header: Depth=2
	s_add_co_i32 s24, s24, 1
	s_delay_alu instid0(SALU_CYCLE_1) | instskip(SKIP_1) | instid1(SALU_CYCLE_1)
	s_cmp_lg_u32 s24, 0x2710
	s_cselect_b32 s25, -1, 0
	s_and_b32 vcc_lo, exec_lo, s25
	s_cbranch_vccz .LBB2_3183
; %bb.3182:                             ;   in Loop: Header=BB2_3181 Depth=2
	s_mov_b32 s27, -1
	s_or_b32 s23, s23, exec_lo
	s_and_saveexec_b32 s26, s25
	s_cbranch_execz .LBB2_3180
	s_branch .LBB2_3184
.LBB2_3183:                             ;   in Loop: Header=BB2_3181 Depth=2
	s_trap 2
	ds_load_b64 v[66:67], v0
	s_and_not1_b32 s25, s25, exec_lo
	s_mov_b32 s24, 0
	s_wait_loadcnt_dscnt 0x0
	flat_load_b32 v12, v[66:67] scope:SCOPE_SYS
	s_wait_loadcnt_dscnt 0x0
	global_inv scope:SCOPE_SYS
	v_cmp_eq_u32_e32 vcc_lo, 0, v12
	s_and_b32 s26, vcc_lo, exec_lo
	s_delay_alu instid0(SALU_CYCLE_1)
	s_or_b32 s25, s25, s26
	s_mov_b32 s27, -1
	s_or_b32 s23, s23, exec_lo
	s_and_saveexec_b32 s26, s25
	s_cbranch_execz .LBB2_3180
.LBB2_3184:                             ;   in Loop: Header=BB2_3181 Depth=2
	s_sleep 1
	s_trap 2
	ds_load_b64 v[66:67], v0
	s_wait_dscnt 0x0
	s_and_not1_b32 s23, s23, exec_lo
	v_cmp_ge_u64_e32 vcc_lo, v[66:67], v[32:33]
	s_or_not1_b32 s27, vcc_lo, exec_lo
	s_branch .LBB2_3180
.LBB2_3185:                             ;   in Loop: Header=BB2_3031 Depth=1
	s_or_b32 exec_lo, exec_lo, s21
	s_and_saveexec_b32 s21, s22
	s_delay_alu instid0(SALU_CYCLE_1)
	s_xor_b32 s21, exec_lo, s21
	s_cbranch_execz .LBB2_3187
; %bb.3186:                             ;   in Loop: Header=BB2_3031 Depth=1
	ds_store_b32 v0, v83
	s_trap 2
.LBB2_3187:                             ;   in Loop: Header=BB2_3031 Depth=1
	s_or_b32 exec_lo, exec_lo, s20
	;;#ASMSTART
	s_wakeup
	;;#ASMEND
.LBB2_3188:                             ;   in Loop: Header=BB2_3031 Depth=1
	s_or_b32 exec_lo, exec_lo, s19
.LBB2_3189:                             ;   in Loop: Header=BB2_3031 Depth=1
	s_and_not1_saveexec_b32 s16, s16
	s_cbranch_execz .LBB2_3191
; %bb.3190:                             ;   in Loop: Header=BB2_3031 Depth=1
	global_wb scope:SCOPE_DEV
	s_wait_storecnt 0x0
	s_wait_loadcnt_dscnt 0x0
	global_inv scope:SCOPE_DEV
	s_barrier_signal -1
	s_barrier_wait -1
.LBB2_3191:                             ;   in Loop: Header=BB2_3031 Depth=1
	s_or_b32 exec_lo, exec_lo, s16
.LBB2_3192:                             ;   in Loop: Header=BB2_3031 Depth=1
	s_delay_alu instid0(SALU_CYCLE_1)
	s_or_b32 exec_lo, exec_lo, s10
	s_trap 2
	ds_load_b32 v12, v0
	v_cmp_lt_i32_e32 vcc_lo, 0, v64
	s_wait_dscnt 0x0
	v_readfirstlane_b32 s10, v12
	v_and_b32_e32 v12, 16, v112
	s_cmp_eq_u32 s10, 0
	s_delay_alu instid0(VALU_DEP_1) | instskip(SKIP_1) | instid1(SALU_CYCLE_1)
	v_cmp_ne_u32_e64 s10, 0, v12
	s_cselect_b32 s16, -1, 0
	s_and_b32 s16, vcc_lo, s16
	s_delay_alu instid0(SALU_CYCLE_1) | instskip(NEXT) | instid1(SALU_CYCLE_1)
	s_and_b32 s16, s10, s16
	s_and_saveexec_b32 s10, s16
	s_cbranch_execz .LBB2_3194
; %bb.3193:                             ;   in Loop: Header=BB2_3031 Depth=1
	global_wb scope:SCOPE_SYS
	s_wait_loadcnt 0x0
	s_wait_storecnt 0x0
	global_inv scope:SCOPE_SYS
.LBB2_3194:                             ;   in Loop: Header=BB2_3031 Depth=1
	s_or_b32 exec_lo, exec_lo, s10
	s_delay_alu instid0(SALU_CYCLE_1)
	s_mov_b32 s10, exec_lo
	v_cmpx_ne_u32_e32 0, v12
	s_cbranch_execz .LBB2_3029
; %bb.3195:                             ;   in Loop: Header=BB2_3031 Depth=1
	s_and_saveexec_b32 s16, s7
	s_cbranch_execz .LBB2_3028
; %bb.3196:                             ;   in Loop: Header=BB2_3031 Depth=1
	global_wb scope:SCOPE_SYS
	s_wait_loadcnt 0x0
	s_wait_storecnt 0x0
	flat_store_b32 v[36:37], v83 scope:SCOPE_SYS
	s_branch .LBB2_3028
.LBB2_3197:
	s_or_b32 exec_lo, exec_lo, s13
.LBB2_3198:
	s_delay_alu instid0(SALU_CYCLE_1)
	s_or_b32 exec_lo, exec_lo, s12
.LBB2_3199:
	s_delay_alu instid0(SALU_CYCLE_1) | instskip(SKIP_2) | instid1(VALU_DEP_1)
	s_or_b32 exec_lo, exec_lo, s11
	v_and_b32_e32 v0, 0x800, v112
	s_mov_b32 s1, exec_lo
	v_cmpx_eq_u32_e32 0, v0
	s_cbranch_execz .LBB2_3232
; %bb.3200:
	v_and_b32_e32 v0, 48, v112
	s_mov_b32 s0, exec_lo
	s_delay_alu instid0(VALU_DEP_1)
	v_cmpx_ne_u32_e32 0, v0
	s_cbranch_execz .LBB2_3202
; %bb.3201:
	s_wait_dscnt 0x0
	flat_store_b64 v[20:21], v[8:9] offset:104
.LBB2_3202:
	s_wait_xcnt 0x0
	s_or_b32 exec_lo, exec_lo, s0
	v_and_b32_e32 v0, 0x88, v112
	s_mov_b32 s2, exec_lo
	s_delay_alu instid0(VALU_DEP_1)
	v_cmpx_eq_u32_e32 0x88, v0
	s_cbranch_execz .LBB2_3212
; %bb.3203:
	s_wait_dscnt 0x0
	v_add_nc_u32_e32 v0, -1, v8
	s_mov_b32 s3, 0
	s_delay_alu instid0(VALU_DEP_1) | instskip(NEXT) | instid1(VALU_DEP_1)
	v_and_b32_e32 v0, 7, v0
	v_mad_nc_u64_u32 v[4:5], v0, 24, v[6:7]
	v_and_b32_e32 v0, 64, v112
	s_delay_alu instid0(VALU_DEP_1)
	v_cmp_eq_u32_e64 s0, 0, v0
	flat_load_b64 v[6:7], v[4:5] offset:8 scope:SCOPE_SYS
	s_wait_loadcnt_dscnt 0x0
	v_cmp_ne_u64_e32 vcc_lo, -1, v[6:7]
	s_and_b32 s0, vcc_lo, s0
	s_wait_xcnt 0x0
	s_and_b32 exec_lo, exec_lo, s0
	s_cbranch_execz .LBB2_3212
; %bb.3204:
	s_mov_b32 s5, 0
                                        ; implicit-def: $sgpr0
                                        ; implicit-def: $sgpr4
	s_branch .LBB2_3207
.LBB2_3205:                             ;   in Loop: Header=BB2_3207 Depth=1
	flat_load_b64 v[6:7], v[4:5] offset:8 scope:SCOPE_SYS
	s_wait_loadcnt 0x0
	s_and_not1_b32 s4, s4, exec_lo
	s_wait_dscnt 0x0
	v_cmp_eq_u64_e32 vcc_lo, -1, v[6:7]
	s_or_not1_b32 s7, vcc_lo, exec_lo
.LBB2_3206:                             ;   in Loop: Header=BB2_3207 Depth=1
	s_wait_xcnt 0x0
	s_or_b32 exec_lo, exec_lo, s10
	s_delay_alu instid0(SALU_CYCLE_1) | instskip(NEXT) | instid1(SALU_CYCLE_1)
	s_and_b32 s6, exec_lo, s7
	s_or_b32 s3, s6, s3
	s_and_not1_b32 s0, s0, exec_lo
	s_and_b32 s6, s4, exec_lo
	s_delay_alu instid0(SALU_CYCLE_1)
	s_or_b32 s0, s0, s6
	s_and_not1_b32 exec_lo, exec_lo, s3
	s_cbranch_execz .LBB2_3210
.LBB2_3207:                             ; =>This Inner Loop Header: Depth=1
	s_cmp_lt_i32 s5, 0x270f
	s_cselect_b32 s6, -1, 0
	s_delay_alu instid0(SALU_CYCLE_1)
	s_and_b32 vcc_lo, exec_lo, s6
	s_cbranch_vccnz .LBB2_3209
; %bb.3208:                             ;   in Loop: Header=BB2_3207 Depth=1
	s_trap 2
	ds_load_b64 v[6:7], v0
	s_and_not1_b32 s6, s6, exec_lo
	s_mov_b32 s5, 0
	s_wait_storecnt_dscnt 0x0
	flat_load_b32 v0, v[6:7] scope:SCOPE_SYS
	s_wait_loadcnt_dscnt 0x0
	global_inv scope:SCOPE_SYS
	v_cmp_eq_u32_e32 vcc_lo, 0, v0
	s_and_b32 s7, vcc_lo, exec_lo
	s_delay_alu instid0(SALU_CYCLE_1)
	s_or_b32 s6, s6, s7
	s_mov_b32 s7, -1
	s_or_b32 s4, s4, exec_lo
	s_wait_xcnt 0x0
	s_and_saveexec_b32 s10, s6
	s_cbranch_execz .LBB2_3206
	s_branch .LBB2_3205
.LBB2_3209:                             ;   in Loop: Header=BB2_3207 Depth=1
	s_add_co_i32 s5, s5, 1
                                        ; implicit-def: $vgpr0
	s_mov_b32 s7, -1
	s_or_b32 s4, s4, exec_lo
	s_and_saveexec_b32 s10, s6
	s_cbranch_execz .LBB2_3206
	s_branch .LBB2_3205
.LBB2_3210:
	s_or_b32 exec_lo, exec_lo, s3
	s_and_saveexec_b32 s3, s0
	s_delay_alu instid0(SALU_CYCLE_1)
	s_xor_b32 s3, exec_lo, s3
	s_cbranch_execz .LBB2_3212
; %bb.3211:
	s_wait_loadcnt 0x0
	s_wait_storecnt 0x0
	ds_store_b32 v0, v0
	s_trap 2
.LBB2_3212:
	s_or_b32 exec_lo, exec_lo, s2
	v_and_b32_e32 v0, 0x2000, v112
	s_mov_b32 s0, exec_lo
	s_delay_alu instid0(VALU_DEP_1)
	v_cmpx_ne_u32_e32 0, v0
	s_cbranch_execz .LBB2_3214
; %bb.3213:
	s_trap 2
	ds_load_b64 v[4:5], v0
	s_wait_dscnt 0x0
	flat_store_b64 v[2:3], v[4:5] offset:16
.LBB2_3214:
	s_wait_xcnt 0x0
	s_or_b32 exec_lo, exec_lo, s0
	v_cmp_ne_u32_e32 vcc_lo, 32, v1
	s_and_b32 exec_lo, exec_lo, vcc_lo
	s_cbranch_execz .LBB2_3232
; %bb.3215:
	s_mov_b32 s0, exec_lo
	v_cmpx_ne_u32_e64 v1, v113
	s_xor_b32 s0, exec_lo, s0
	s_cbranch_execz .LBB2_3230
; %bb.3216:
	v_and_b32_e32 v0, 31, v31
	s_mov_b32 s2, exec_lo
	s_delay_alu instid0(VALU_DEP_1)
	v_cmpx_eq_u32_e32 0, v0
	s_cbranch_execz .LBB2_3229
; %bb.3217:
	s_mov_b32 s4, exec_lo
	s_mov_b32 s3, exec_lo
	v_mbcnt_lo_u32_b32 v0, s4, 0
	global_wb scope:SCOPE_DEV
	s_wait_storecnt 0x0
	s_wait_loadcnt_dscnt 0x0
	global_inv scope:SCOPE_DEV
	v_cmpx_eq_u32_e32 0, v0
	s_cbranch_execz .LBB2_3219
; %bb.3218:
	s_bcnt1_i32_b32 s4, s4
	s_delay_alu instid0(SALU_CYCLE_1)
	v_dual_mov_b32 v3, 0 :: v_dual_mov_b32 v2, s4
	s_wait_loadcnt 0x0
	ds_add_u64 v0, v[2:3]
	s_trap 2
.LBB2_3219:
	s_or_b32 exec_lo, exec_lo, s3
	s_trap 2
	ds_load_b64 v[2:3], v0
	s_wait_dscnt 0x0
	v_dual_mov_b32 v1, 0 :: v_dual_lshrrev_b32 v0, 5, v1
	s_mov_b32 s3, exec_lo
	s_delay_alu instid0(VALU_DEP_1) | instskip(NEXT) | instid1(VALU_DEP_1)
	v_add_nc_u64_e32 v[0:1], v[32:33], v[0:1]
	v_cmpx_lt_u64_e64 v[2:3], v[0:1]
	s_cbranch_execz .LBB2_3228
; %bb.3220:
	s_mov_b32 s4, 0
	s_mov_b32 s7, 0
                                        ; implicit-def: $sgpr5
                                        ; implicit-def: $sgpr6
	s_branch .LBB2_3222
.LBB2_3221:                             ;   in Loop: Header=BB2_3222 Depth=1
	s_or_b32 exec_lo, exec_lo, s11
	s_delay_alu instid0(SALU_CYCLE_1) | instskip(NEXT) | instid1(SALU_CYCLE_1)
	s_and_b32 s10, exec_lo, s12
	s_or_b32 s4, s10, s4
	s_and_not1_b32 s5, s5, exec_lo
	s_and_b32 s10, s6, exec_lo
	s_delay_alu instid0(SALU_CYCLE_1)
	s_or_b32 s5, s5, s10
	s_and_not1_b32 exec_lo, exec_lo, s4
	s_cbranch_execz .LBB2_3226
.LBB2_3222:                             ; =>This Inner Loop Header: Depth=1
	s_add_co_i32 s7, s7, 1
	s_delay_alu instid0(SALU_CYCLE_1) | instskip(SKIP_1) | instid1(SALU_CYCLE_1)
	s_cmp_lg_u32 s7, 0x2710
	s_cselect_b32 s10, -1, 0
	s_and_b32 vcc_lo, exec_lo, s10
	s_cbranch_vccz .LBB2_3224
; %bb.3223:                             ;   in Loop: Header=BB2_3222 Depth=1
	s_mov_b32 s12, -1
	s_or_b32 s6, s6, exec_lo
	s_and_saveexec_b32 s11, s10
	s_cbranch_execz .LBB2_3221
	s_branch .LBB2_3225
.LBB2_3224:                             ;   in Loop: Header=BB2_3222 Depth=1
	s_trap 2
	ds_load_b64 v[2:3], v0
	s_and_not1_b32 s10, s10, exec_lo
	s_mov_b32 s7, 0
	s_wait_loadcnt_dscnt 0x0
	flat_load_b32 v2, v[2:3] scope:SCOPE_SYS
	s_wait_loadcnt_dscnt 0x0
	global_inv scope:SCOPE_SYS
	v_cmp_eq_u32_e32 vcc_lo, 0, v2
	s_and_b32 s11, vcc_lo, exec_lo
	s_delay_alu instid0(SALU_CYCLE_1)
	s_or_b32 s10, s10, s11
	s_mov_b32 s12, -1
	s_or_b32 s6, s6, exec_lo
	s_and_saveexec_b32 s11, s10
	s_cbranch_execz .LBB2_3221
.LBB2_3225:                             ;   in Loop: Header=BB2_3222 Depth=1
	s_sleep 1
	s_trap 2
	ds_load_b64 v[2:3], v0
	s_wait_dscnt 0x0
	s_and_not1_b32 s6, s6, exec_lo
	v_cmp_ge_u64_e32 vcc_lo, v[2:3], v[0:1]
	s_or_not1_b32 s12, vcc_lo, exec_lo
	s_branch .LBB2_3221
.LBB2_3226:
	s_or_b32 exec_lo, exec_lo, s4
	s_and_saveexec_b32 s4, s5
	s_delay_alu instid0(SALU_CYCLE_1)
	s_xor_b32 s4, exec_lo, s4
	s_cbranch_execz .LBB2_3228
; %bb.3227:
	v_mov_b32_e32 v0, 1
	ds_store_b32 v0, v0
	s_trap 2
.LBB2_3228:
	s_or_b32 exec_lo, exec_lo, s3
	;;#ASMSTART
	s_wakeup
	;;#ASMEND
.LBB2_3229:
	s_or_b32 exec_lo, exec_lo, s2
.LBB2_3230:
	s_and_not1_saveexec_b32 s0, s0
	s_cbranch_execz .LBB2_3232
; %bb.3231:
	global_wb scope:SCOPE_DEV
	s_wait_storecnt 0x0
	s_wait_loadcnt_dscnt 0x0
	global_inv scope:SCOPE_DEV
	s_barrier_signal -1
	s_barrier_wait -1
.LBB2_3232:
	s_or_b32 exec_lo, exec_lo, s1
.LBB2_3233:
	s_and_not1_saveexec_b32 s21, s18
	s_cbranch_execz .LBB2_3235
; %bb.3234:
	s_get_pc_i64 s[0:1]
	s_add_nc_u64 s[0:1], s[0:1], __PRETTY_FUNCTION__._ZN10PrimitivesI14__hip_fp8_e4m38FuncProdIS0_E12FanSymmetricILi1EELi0E11ProtoSimpleILi1ELi1ELi0ELi1ELi0ELi0EELi0ELb0ELi0ELi0ELi0EEC2EiiPKiS9_PKvPvmhhhP15ncclDevWorkCollP14ncclDevWorkP2pii@rel64+4
	s_get_pc_i64 s[2:3]
	s_add_nc_u64 s[2:3], s[2:3], __assert_fail@rel64+4
	v_dual_mov_b32 v0, s0 :: v_dual_mov_b32 v1, s1
	s_swap_pc_i64 s[30:31], s[2:3]
	; divergent unreachable
.LBB2_3235:
	s_or_b32 exec_lo, exec_lo, s21
	s_clause 0xf
	scratch_load_b32 v63, off, s33
	scratch_load_b32 v62, off, s33 offset:4
	scratch_load_b32 v61, off, s33 offset:8
	;; [unrolled: 1-line block ×15, first 2 shown]
	v_readlane_b32 s30, v72, 0
	v_readlane_b32 s31, v72, 1
	s_mov_b32 s32, s33
	s_wait_xcnt 0x0
	s_or_saveexec_b32 s0, -1
	scratch_load_b32 v72, off, s33 offset:64 ; 4-byte Folded Reload
	s_wait_xcnt 0x0
	s_mov_b32 exec_lo, s0
	s_mov_b32 s33, s47
	s_wait_loadcnt_dscnt 0x0
	s_set_pc_i64 s[30:31]
.Lfunc_end2:
	.size	_ZN12_GLOBAL__N_17runRingI14__hip_fp8_e4m38FuncProdIS1_E11ProtoSimpleILi1ELi1ELi0ELi1ELi0ELi0EELi0ELi1ELi0EEEviiP15ncclDevWorkColl, .Lfunc_end2-_ZN12_GLOBAL__N_17runRingI14__hip_fp8_e4m38FuncProdIS1_E11ProtoSimpleILi1ELi1ELi0ELi1ELi0ELi0EELi0ELi1ELi0EEEviiP15ncclDevWorkColl
                                        ; -- End function
	.set .L_ZN12_GLOBAL__N_17runRingI14__hip_fp8_e4m38FuncProdIS1_E11ProtoSimpleILi1ELi1ELi0ELi1ELi0ELi0EELi0ELi1ELi0EEEviiP15ncclDevWorkColl.num_vgpr, max(120, .L__assert_fail.num_vgpr)
	.set .L_ZN12_GLOBAL__N_17runRingI14__hip_fp8_e4m38FuncProdIS1_E11ProtoSimpleILi1ELi1ELi0ELi1ELi0ELi0EELi0ELi1ELi0EEEviiP15ncclDevWorkColl.num_agpr, max(0, .L__assert_fail.num_agpr)
	.set .L_ZN12_GLOBAL__N_17runRingI14__hip_fp8_e4m38FuncProdIS1_E11ProtoSimpleILi1ELi1ELi0ELi1ELi0ELi0EELi0ELi1ELi0EEEviiP15ncclDevWorkColl.numbered_sgpr, max(48, .L__assert_fail.numbered_sgpr)
	.set .L_ZN12_GLOBAL__N_17runRingI14__hip_fp8_e4m38FuncProdIS1_E11ProtoSimpleILi1ELi1ELi0ELi1ELi0ELi0EELi0ELi1ELi0EEEviiP15ncclDevWorkColl.num_named_barrier, max(0, .L__assert_fail.num_named_barrier)
	.set .L_ZN12_GLOBAL__N_17runRingI14__hip_fp8_e4m38FuncProdIS1_E11ProtoSimpleILi1ELi1ELi0ELi1ELi0ELi0EELi0ELi1ELi0EEEviiP15ncclDevWorkColl.private_seg_size, 80+max(.L__assert_fail.private_seg_size)
	.set .L_ZN12_GLOBAL__N_17runRingI14__hip_fp8_e4m38FuncProdIS1_E11ProtoSimpleILi1ELi1ELi0ELi1ELi0ELi0EELi0ELi1ELi0EEEviiP15ncclDevWorkColl.uses_vcc, or(1, .L__assert_fail.uses_vcc)
	.set .L_ZN12_GLOBAL__N_17runRingI14__hip_fp8_e4m38FuncProdIS1_E11ProtoSimpleILi1ELi1ELi0ELi1ELi0ELi0EELi0ELi1ELi0EEEviiP15ncclDevWorkColl.uses_flat_scratch, or(1, .L__assert_fail.uses_flat_scratch)
	.set .L_ZN12_GLOBAL__N_17runRingI14__hip_fp8_e4m38FuncProdIS1_E11ProtoSimpleILi1ELi1ELi0ELi1ELi0ELi0EELi0ELi1ELi0EEEviiP15ncclDevWorkColl.has_dyn_sized_stack, or(0, .L__assert_fail.has_dyn_sized_stack)
	.set .L_ZN12_GLOBAL__N_17runRingI14__hip_fp8_e4m38FuncProdIS1_E11ProtoSimpleILi1ELi1ELi0ELi1ELi0ELi0EELi0ELi1ELi0EEEviiP15ncclDevWorkColl.has_recursion, or(1, .L__assert_fail.has_recursion)
	.set .L_ZN12_GLOBAL__N_17runRingI14__hip_fp8_e4m38FuncProdIS1_E11ProtoSimpleILi1ELi1ELi0ELi1ELi0ELi0EELi0ELi1ELi0EEEviiP15ncclDevWorkColl.has_indirect_call, or(0, .L__assert_fail.has_indirect_call)
	.section	.AMDGPU.csdata,"",@progbits
; Function info:
; codeLenInByte = 106568
; TotalNumSgprs: 50
; NumVgprs: 120
; ScratchSize: 144
; MemoryBound: 1
	.text
	.p2align	2                               ; -- Begin function _Z48ncclDevFunc_Reduce_RING_SIMPLE_Prod_f8e4m3_0_0_1v
	.type	_Z48ncclDevFunc_Reduce_RING_SIMPLE_Prod_f8e4m3_0_0_1v,@function
_Z48ncclDevFunc_Reduce_RING_SIMPLE_Prod_f8e4m3_0_0_1v: ; @_Z48ncclDevFunc_Reduce_RING_SIMPLE_Prod_f8e4m3_0_0_1v
; %bb.0:
	s_wait_loadcnt_dscnt 0x0
	s_wait_kmcnt 0x0
	s_mov_b32 s63, s33
	s_mov_b32 s33, s32
	s_or_saveexec_b32 s0, -1
	scratch_store_b32 off, v42, s33 offset:12 ; 4-byte Folded Spill
	s_wait_xcnt 0x0
	s_mov_b32 exec_lo, s0
	s_add_co_i32 s32, s32, 32
	s_clause 0x2
	scratch_store_b32 off, v40, s33 offset:8
	; meta instruction
	scratch_store_b32 off, v41, s33 offset:4
	; meta instruction
	scratch_store_b32 off, v72, s33
	v_writelane_b32 v42, s30, 0
	v_writelane_b32 v42, s31, 1
	s_trap 2
	ds_load_b32 v0, v0
	s_wait_xcnt 0x2
	v_mov_b32_e32 v40, v31
	s_wait_dscnt 0x0
	v_cmp_gt_i32_e32 vcc_lo, 1, v0
	s_cbranch_vccnz .LBB3_8
; %bb.1:
	s_wait_xcnt 0x1
	v_and_b32_e32 v41, 0x3ff, v40
	s_mov_b32 s58, s12
	s_mov_b64 s[56:57], s[8:9]
	s_mov_b32 s59, 0
	s_get_pc_i64 s[60:61]
	s_add_nc_u64 s[60:61], s[60:61], _ZN12_GLOBAL__N_17runRingI14__hip_fp8_e4m38FuncProdIS1_E11ProtoSimpleILi1ELi1ELi0ELi1ELi0ELi0EELi0ELi1ELi0EEEviiP15ncclDevWorkColl@rel64+4
	s_branch .LBB3_3
.LBB3_2:                                ;   in Loop: Header=BB3_3 Depth=1
	s_or_b32 exec_lo, exec_lo, s62
	s_trap 2
	ds_load_b32 v0, v0
	s_add_co_i32 s59, s59, 1
	s_wait_dscnt 0x0
	v_cmp_lt_i32_e32 vcc_lo, s59, v0
	s_cbranch_vccz .LBB3_8
.LBB3_3:                                ; =>This Inner Loop Header: Depth=1
	s_trap 2
	ds_load_b32 v0, v0
	s_cmp_eq_u32 s59, 0
	s_cbranch_scc1 .LBB3_6
; %bb.4:                                ;   in Loop: Header=BB3_3 Depth=1
	s_trap 2
	s_wait_dscnt 0x0
	ds_load_b32 v1, v0
	s_wait_dscnt 0x0
	v_xor_b32_e32 v1, v1, v0
	s_delay_alu instid0(VALU_DEP_1) | instskip(NEXT) | instid1(VALU_DEP_1)
	v_and_b32_e32 v1, 0xff0000, v1
	v_cmp_eq_u32_e32 vcc_lo, 0, v1
	s_cbranch_vccnz .LBB3_6
; %bb.5:                                ;   in Loop: Header=BB3_3 Depth=1
	s_wait_storecnt 0x0
	s_barrier_signal -1
	s_barrier_wait -1
	ds_load_b32 v0, v0
.LBB3_6:                                ;   in Loop: Header=BB3_3 Depth=1
	s_wait_dscnt 0x0
	v_lshrrev_b32_e32 v0, 11, v0
	s_mov_b32 s62, exec_lo
	s_delay_alu instid0(VALU_DEP_1) | instskip(SKIP_1) | instid1(VALU_DEP_1)
	v_and_b32_e32 v1, 0x1fe0, v0
	s_wait_xcnt 0x0
	v_cmpx_lt_u32_e64 v41, v1
	s_cbranch_execz .LBB3_2
; %bb.7:                                ;   in Loop: Header=BB3_3 Depth=1
	s_mov_b64 s[0:1], src_shared_base
	v_dual_mov_b32 v31, v40 :: v_dual_mov_b32 v0, v41
	v_mov_b32_e32 v3, s1
	s_mov_b64 s[8:9], s[56:57]
	s_mov_b32 s12, s58
	s_swap_pc_i64 s[30:31], s[60:61]
	s_branch .LBB3_2
.LBB3_8:
	s_clause 0x2
	scratch_load_b32 v72, off, s33
	scratch_load_b32 v41, off, s33 offset:4
	scratch_load_b32 v40, off, s33 offset:8
	v_readlane_b32 s30, v42, 0
	v_readlane_b32 s31, v42, 1
	s_mov_b32 s32, s33
	s_wait_xcnt 0x0
	s_or_saveexec_b32 s0, -1
	scratch_load_b32 v42, off, s33 offset:12 ; 4-byte Folded Reload
	s_wait_xcnt 0x0
	s_mov_b32 exec_lo, s0
	s_mov_b32 s33, s63
	s_wait_loadcnt 0x0
	s_set_pc_i64 s[30:31]
.Lfunc_end3:
	.size	_Z48ncclDevFunc_Reduce_RING_SIMPLE_Prod_f8e4m3_0_0_1v, .Lfunc_end3-_Z48ncclDevFunc_Reduce_RING_SIMPLE_Prod_f8e4m3_0_0_1v
                                        ; -- End function
	.set .L_Z48ncclDevFunc_Reduce_RING_SIMPLE_Prod_f8e4m3_0_0_1v.num_vgpr, max(73, .L_ZN12_GLOBAL__N_17runRingI14__hip_fp8_e4m38FuncProdIS1_E11ProtoSimpleILi1ELi1ELi0ELi1ELi0ELi0EELi0ELi1ELi0EEEviiP15ncclDevWorkColl.num_vgpr)
	.set .L_Z48ncclDevFunc_Reduce_RING_SIMPLE_Prod_f8e4m3_0_0_1v.num_agpr, max(0, .L_ZN12_GLOBAL__N_17runRingI14__hip_fp8_e4m38FuncProdIS1_E11ProtoSimpleILi1ELi1ELi0ELi1ELi0ELi0EELi0ELi1ELi0EEEviiP15ncclDevWorkColl.num_agpr)
	.set .L_Z48ncclDevFunc_Reduce_RING_SIMPLE_Prod_f8e4m3_0_0_1v.numbered_sgpr, max(64, .L_ZN12_GLOBAL__N_17runRingI14__hip_fp8_e4m38FuncProdIS1_E11ProtoSimpleILi1ELi1ELi0ELi1ELi0ELi0EELi0ELi1ELi0EEEviiP15ncclDevWorkColl.numbered_sgpr)
	.set .L_Z48ncclDevFunc_Reduce_RING_SIMPLE_Prod_f8e4m3_0_0_1v.num_named_barrier, max(0, .L_ZN12_GLOBAL__N_17runRingI14__hip_fp8_e4m38FuncProdIS1_E11ProtoSimpleILi1ELi1ELi0ELi1ELi0ELi0EELi0ELi1ELi0EEEviiP15ncclDevWorkColl.num_named_barrier)
	.set .L_Z48ncclDevFunc_Reduce_RING_SIMPLE_Prod_f8e4m3_0_0_1v.private_seg_size, 32+max(.L_ZN12_GLOBAL__N_17runRingI14__hip_fp8_e4m38FuncProdIS1_E11ProtoSimpleILi1ELi1ELi0ELi1ELi0ELi0EELi0ELi1ELi0EEEviiP15ncclDevWorkColl.private_seg_size)
	.set .L_Z48ncclDevFunc_Reduce_RING_SIMPLE_Prod_f8e4m3_0_0_1v.uses_vcc, or(1, .L_ZN12_GLOBAL__N_17runRingI14__hip_fp8_e4m38FuncProdIS1_E11ProtoSimpleILi1ELi1ELi0ELi1ELi0ELi0EELi0ELi1ELi0EEEviiP15ncclDevWorkColl.uses_vcc)
	.set .L_Z48ncclDevFunc_Reduce_RING_SIMPLE_Prod_f8e4m3_0_0_1v.uses_flat_scratch, or(1, .L_ZN12_GLOBAL__N_17runRingI14__hip_fp8_e4m38FuncProdIS1_E11ProtoSimpleILi1ELi1ELi0ELi1ELi0ELi0EELi0ELi1ELi0EEEviiP15ncclDevWorkColl.uses_flat_scratch)
	.set .L_Z48ncclDevFunc_Reduce_RING_SIMPLE_Prod_f8e4m3_0_0_1v.has_dyn_sized_stack, or(0, .L_ZN12_GLOBAL__N_17runRingI14__hip_fp8_e4m38FuncProdIS1_E11ProtoSimpleILi1ELi1ELi0ELi1ELi0ELi0EELi0ELi1ELi0EEEviiP15ncclDevWorkColl.has_dyn_sized_stack)
	.set .L_Z48ncclDevFunc_Reduce_RING_SIMPLE_Prod_f8e4m3_0_0_1v.has_recursion, or(1, .L_ZN12_GLOBAL__N_17runRingI14__hip_fp8_e4m38FuncProdIS1_E11ProtoSimpleILi1ELi1ELi0ELi1ELi0ELi0EELi0ELi1ELi0EEEviiP15ncclDevWorkColl.has_recursion)
	.set .L_Z48ncclDevFunc_Reduce_RING_SIMPLE_Prod_f8e4m3_0_0_1v.has_indirect_call, or(0, .L_ZN12_GLOBAL__N_17runRingI14__hip_fp8_e4m38FuncProdIS1_E11ProtoSimpleILi1ELi1ELi0ELi1ELi0ELi0EELi0ELi1ELi0EEEviiP15ncclDevWorkColl.has_indirect_call)
	.section	.AMDGPU.csdata,"",@progbits
; Function info:
; codeLenInByte = 464
; TotalNumSgprs: 66
; NumVgprs: 120
; ScratchSize: 176
; MemoryBound: 0
	.text
	.p2align	2                               ; -- Begin function _ZN12_GLOBAL__N_17runRingI14__hip_fp8_e4m38FuncProdIS1_E11ProtoSimpleILi1ELi1ELi0ELi2ELi0ELi0EELi0ELi2ELi0EEEviiP15ncclDevWorkColl
	.type	_ZN12_GLOBAL__N_17runRingI14__hip_fp8_e4m38FuncProdIS1_E11ProtoSimpleILi1ELi1ELi0ELi2ELi0ELi0EELi0ELi2ELi0EEEviiP15ncclDevWorkColl,@function
_ZN12_GLOBAL__N_17runRingI14__hip_fp8_e4m38FuncProdIS1_E11ProtoSimpleILi1ELi1ELi0ELi2ELi0ELi0EELi0ELi2ELi0EEEviiP15ncclDevWorkColl: ; @_ZN12_GLOBAL__N_17runRingI14__hip_fp8_e4m38FuncProdIS1_E11ProtoSimpleILi1ELi1ELi0ELi2ELi0ELi0EELi0ELi2ELi0EEEviiP15ncclDevWorkColl
; %bb.0:
	s_wait_loadcnt_dscnt 0x0
	s_wait_kmcnt 0x0
	s_mov_b32 s47, s33
	s_mov_b32 s33, s32
	s_or_saveexec_b32 s0, -1
	scratch_store_b32 off, v94, s33 offset:120 ; 4-byte Folded Spill
	s_wait_xcnt 0x0
	s_mov_b32 exec_lo, s0
	s_addk_co_i32 s32, 0x80
	s_clause 0x1d
	scratch_store_b32 off, v40, s33 offset:116
	; meta instruction
	scratch_store_b32 off, v41, s33 offset:112
	; meta instruction
	;; [unrolled: 2-line block ×29, first 2 shown]
	scratch_store_b32 off, v93, s33
	v_writelane_b32 v94, s30, 0
	v_writelane_b32 v94, s31, 1
	s_trap 2
	ds_load_b64 v[14:15], v0
	ds_load_b32 v9, v0
	flat_load_b64 v[6:7], v[2:3]
                                        ; implicit-def: $vgpr18_vgpr19
                                        ; implicit-def: $vgpr4_vgpr5
                                        ; implicit-def: $vgpr26_vgpr27
	s_wait_dscnt 0x2
	v_readfirstlane_b32 s0, v14
	v_readfirstlane_b32 s1, v15
	flat_load_u16 v17, v[2:3] offset:8
	flat_load_b32 v24, v15, s[0:1] offset:-4 scale_offset
	s_wait_xcnt 0x0
	s_mov_b32 s0, exec_lo
	s_wait_loadcnt_dscnt 0x202
	v_and_b32_e32 v8, 0xff, v6
	v_mov_b32_e32 v16, v7
	s_delay_alu instid0(VALU_DEP_2)
	v_cmpx_ne_u32_e64 v9, v8
	s_xor_b32 s0, exec_lo, s0
	s_cbranch_execz .LBB4_6
; %bb.1:
	v_bfe_u32 v10, v6, 8, 8
	v_not_b32_e32 v8, v8
	s_mov_b32 s1, exec_lo
                                        ; implicit-def: $vgpr18_vgpr19
                                        ; implicit-def: $vgpr4_vgpr5
                                        ; implicit-def: $vgpr26_vgpr27
	s_delay_alu instid0(VALU_DEP_2)
	v_cmpx_ne_u32_e64 v9, v10
	s_xor_b32 s1, exec_lo, s1
	s_cbranch_execz .LBB4_3
; %bb.2:
	s_clause 0x1
	flat_load_b128 v[4:7], v[2:3] offset:72
	flat_load_b64 v[10:11], v[2:3] offset:96
	v_add_nc_u32_e32 v8, v9, v8
	s_wait_loadcnt_dscnt 0x101
	s_delay_alu instid0(VALU_DEP_1) | instskip(SKIP_3) | instid1(VALU_DEP_3)
	v_mad_nc_u64_u32 v[26:27], v6, v8, v[4:5]
	v_ashrrev_i32_e32 v5, 31, v8
	s_wait_loadcnt_dscnt 0x0
	v_lshrrev_b64 v[18:19], 12, v[10:11]
                                        ; implicit-def: $vgpr10
	v_mad_u32 v4, v7, v8, v27
                                        ; implicit-def: $vgpr8
	s_delay_alu instid0(VALU_DEP_1)
	v_mad_u32 v27, v6, v5, v4
	v_mov_b64_e32 v[4:5], v[6:7]
.LBB4_3:
	s_wait_xcnt 0x0
	s_and_not1_saveexec_b32 s1, s1
	s_cbranch_execz .LBB4_5
; %bb.4:
	s_clause 0x1
	flat_load_b128 v[18:21], v[2:3] offset:72
	flat_load_b128 v[4:7], v[2:3] offset:88
	s_wait_loadcnt_dscnt 0x0
	v_add_nc_u32_e32 v6, v10, v8
	s_delay_alu instid0(VALU_DEP_1) | instskip(SKIP_1) | instid1(VALU_DEP_2)
	v_mad_nc_u64_u32 v[26:27], v20, v6, v[18:19]
	v_lshrrev_b32_e32 v18, 1, v7
	v_mad_u32 v8, v21, v6, v27
	v_ashrrev_i32_e32 v6, 31, v6
	s_delay_alu instid0(VALU_DEP_1)
	v_mad_u32 v27, v20, v6, v8
.LBB4_5:
	s_wait_xcnt 0x0
	s_or_b32 exec_lo, exec_lo, s1
.LBB4_6:
	s_and_not1_saveexec_b32 s0, s0
	s_cbranch_execz .LBB4_8
; %bb.7:
	s_clause 0x1
	flat_load_b64 v[6:7], v[2:3] offset:96
	flat_load_b64 v[4:5], v[2:3] offset:72
	v_mov_b64_e32 v[26:27], 0
	s_wait_loadcnt_dscnt 0x101
	v_lshlrev_b64_e32 v[18:19], 9, v[6:7]
.LBB4_8:
	s_wait_xcnt 0x0
	s_or_b32 exec_lo, exec_lo, s0
	s_trap 2
	ds_load_b64 v[6:7], v0
	s_mov_b32 s1, 0
	s_mov_b32 s2, exec_lo
	s_wait_dscnt 0x0
	v_cmp_ne_u32_e32 vcc_lo, -1, v6
	v_cndmask_b32_e64 v15, 0, 1, vcc_lo
	v_cmp_ne_u32_e32 vcc_lo, -1, v7
	s_delay_alu instid0(VALU_DEP_2) | instskip(NEXT) | instid1(VALU_DEP_1)
	v_add_co_ci_u32_e64 v6, null, 0, v15, vcc_lo
	v_lshlrev_b32_e32 v7, 1, v6
	s_delay_alu instid0(VALU_DEP_1)
	v_cmpx_le_u32_e64 v7, v1
	s_xor_b32 s18, exec_lo, s2
	s_cbranch_execnz .LBB4_9
; %bb.4808:
	s_add_pc_i64 .LBB4_4805-.Lpost_addpc0
.Lpost_addpc0:
.LBB4_9:
	s_clause 0x1
	flat_load_b128 v[10:13], v[2:3] offset:16
	flat_load_b64 v[20:21], v[2:3] offset:104
	s_trap 2
	s_load_b32 s0, s[8:9], 0x0
	s_bfe_u32 s2, ttmp6, 0x4000c
	s_and_b32 s3, ttmp6, 15
	s_add_co_i32 s2, s2, 1
	s_getreg_b32 s4, hwreg(HW_REG_IB_STS2, 6, 4)
	s_mul_i32 s2, ttmp9, s2
	v_dual_mov_b32 v2, 0 :: v_dual_mov_b32 v30, 4
	s_add_co_i32 s3, s3, s2
	s_cmp_eq_u32 s4, 0
	s_cselect_b32 s2, ttmp9, s3
	s_wait_kmcnt 0x0
	s_cmp_lt_u32 s2, s0
	s_cselect_b32 s0, 12, 18
	s_delay_alu instid0(SALU_CYCLE_1)
	s_add_nc_u64 s[0:1], s[8:9], s[0:1]
	global_load_u16 v19, v2, s[0:1]
	s_wait_xcnt 0x0
	ds_load_b32 v2, v0
	s_mov_b32 s1, exec_lo
	s_wait_dscnt 0x0
	v_readfirstlane_b32 s19, v2
	v_cmpx_ge_i32_e64 v0, v15
	s_cbranch_execz .LBB4_19
; %bb.10:
	v_cmp_ge_u32_e64 s0, v0, v6
                                        ; implicit-def: $vgpr30
	s_and_saveexec_b32 s2, s0
	s_delay_alu instid0(SALU_CYCLE_1)
	s_xor_b32 s0, exec_lo, s2
	s_cbranch_execz .LBB4_16
; %bb.11:
	v_cndmask_b32_e64 v2, 0, 1, vcc_lo
	s_mov_b32 s2, exec_lo
	s_delay_alu instid0(VALU_DEP_1) | instskip(NEXT) | instid1(VALU_DEP_1)
	v_sub_nc_u32_e32 v2, v1, v2
	v_cmpx_ge_u32_e64 v0, v2
	s_xor_b32 s2, exec_lo, s2
; %bb.12:
                                        ; implicit-def: $vgpr6
; %bb.13:
	s_delay_alu instid0(SALU_CYCLE_1)
	s_or_saveexec_b32 s2, s2
	v_mov_b32_e32 v30, 16
	s_xor_b32 exec_lo, exec_lo, s2
; %bb.14:
	v_sub_nc_u32_e32 v2, v1, v6
	s_delay_alu instid0(VALU_DEP_1)
	v_cmp_lt_i32_e32 vcc_lo, v0, v2
	v_cndmask_b32_e64 v30, 32, 0, vcc_lo
; %bb.15:
	s_or_b32 exec_lo, exec_lo, s2
.LBB4_16:
	s_and_not1_saveexec_b32 s0, s0
; %bb.17:
	v_mov_b32_e32 v30, 8
; %bb.18:
	s_or_b32 exec_lo, exec_lo, s0
.LBB4_19:
	s_delay_alu instid0(SALU_CYCLE_1) | instskip(NEXT) | instid1(VALU_DEP_1)
	s_or_b32 exec_lo, exec_lo, s1
	v_dual_mov_b32 v25, -1 :: v_dual_bitop2_b32 v2, 36, v30 bitop3:0x40
	s_delay_alu instid0(VALU_DEP_1)
	v_cmp_ne_u32_e32 vcc_lo, 0, v2
	s_and_saveexec_b32 s0, vcc_lo
	s_cbranch_execz .LBB4_21
; %bb.20:
	s_trap 2
	ds_load_b32 v25, v0
.LBB4_21:
	s_or_b32 exec_lo, exec_lo, s0
	v_and_b32_e32 v2, 24, v30
	s_mov_b32 s1, exec_lo
	s_delay_alu instid0(VALU_DEP_1)
	v_cmpx_ne_u32_e32 0, v2
	s_cbranch_execz .LBB4_23
; %bb.22:
	s_trap 2
	s_wait_dscnt 0x0
	ds_load_b32 v25, v0
.LBB4_23:
	s_or_b32 exec_lo, exec_lo, s1
	s_wait_loadcnt 0x4
	v_lshrrev_b64 v[2:3], 31, v[16:17]
	v_mov_b64_e32 v[28:29], 0
	v_mov_b64_e32 v[6:7], 0
                                        ; implicit-def: $vgpr34
                                        ; implicit-def: $vgpr38_vgpr39
                                        ; implicit-def: $vgpr36_vgpr37
                                        ; implicit-def: $vgpr32_vgpr33
	s_delay_alu instid0(VALU_DEP_3) | instskip(NEXT) | instid1(VALU_DEP_1)
	v_and_b32_e32 v2, 3, v2
	v_and_b32_e32 v17, 0xffff, v2
                                        ; implicit-def: $vgpr2_vgpr3
	s_and_saveexec_b32 s0, vcc_lo
	s_cbranch_execz .LBB4_33
; %bb.24:
	s_trap 2
	ds_load_b64 v[2:3], v0
	s_wait_dscnt 0x0
	v_readfirstlane_b32 s2, v2
	v_readfirstlane_b32 s3, v3
	flat_load_b64 v[2:3], v25, s[2:3] scale_offset
	s_wait_loadcnt_dscnt 0x0
	v_mad_nc_u64_u32 v[22:23], 0xa8, v17, v[2:3]
	flat_load_b32 v2, v[22:23] offset:640
	s_wait_loadcnt_dscnt 0x0
	v_cmp_eq_u32_e32 vcc_lo, 1, v2
                                        ; implicit-def: $vgpr2_vgpr3
	s_wait_xcnt 0x0
	s_and_saveexec_b32 s1, vcc_lo
	s_cbranch_execz .LBB4_26
; %bb.25:
	flat_load_b64 v[2:3], v[22:23] offset:648
	v_or_b32_e32 v30, 0x2000, v30
	s_wait_loadcnt_dscnt 0x0
	flat_load_b64 v[6:7], v[2:3]
	s_trap 2
	s_wait_loadcnt_dscnt 0x0
	ds_store_b64 v0, v[6:7]
	flat_load_b64 v[6:7], v[2:3] offset:8
	s_wait_loadcnt_dscnt 0x0
	ds_store_b64 v0, v[6:7]
	flat_load_b64 v[6:7], v[2:3] offset:16
	s_wait_loadcnt_dscnt 0x0
	ds_store_b64 v0, v[6:7]
.LBB4_26:
	s_wait_xcnt 0x0
	s_or_b32 exec_lo, exec_lo, s1
	flat_load_b64 v[8:9], v[22:23] offset:608
	v_and_b32_e32 v6, 32, v30
	s_mov_b32 s1, exec_lo
                                        ; implicit-def: $vgpr32_vgpr33
	s_wait_xcnt 0x0
	s_delay_alu instid0(VALU_DEP_1)
	v_cmpx_ne_u32_e32 0, v6
	s_cbranch_execz .LBB4_28
; %bb.27:
	flat_load_b64 v[32:33], v[22:23] offset:560
	global_wb scope:SCOPE_SYS
	s_wait_storecnt 0x0
	s_wait_xcnt 0x0
	s_wait_loadcnt_dscnt 0x0
	flat_store_b64 v[32:33], v[8:9] scope:SCOPE_SYS
.LBB4_28:
	s_wait_xcnt 0x0
	s_or_b32 exec_lo, exec_lo, s1
	v_and_b32_e32 v34, 4, v30
	v_add_nc_u64_e32 v[28:29], 0x1f8, v[22:23]
	v_mov_b64_e32 v[6:7], 0
                                        ; implicit-def: $vgpr38_vgpr39
                                        ; implicit-def: $vgpr36_vgpr37
	s_delay_alu instid0(VALU_DEP_3)
	v_cmp_ne_u32_e32 vcc_lo, 0, v34
                                        ; implicit-def: $vgpr34
	s_and_saveexec_b32 s1, vcc_lo
	s_cbranch_execz .LBB4_32
; %bb.29:
	v_and_b32_e32 v6, 0x800, v30
	s_mov_b32 s2, exec_lo
	s_delay_alu instid0(VALU_DEP_1)
	v_cmpx_eq_u32_e32 0, v6
	s_cbranch_execz .LBB4_31
; %bb.30:
	s_trap 2
	ds_store_b64 v0, v[28:29]
.LBB4_31:
	s_or_b32 exec_lo, exec_lo, s2
	flat_load_b64 v[32:33], v[22:23] offset:552
	s_wait_loadcnt_dscnt 0x0
	flat_load_b64 v[38:39], v[32:33] scope:SCOPE_SYS
	s_clause 0x2
	flat_load_b64 v[6:7], v[22:23] offset:600
	flat_load_b32 v34, v[22:23] offset:576
	flat_load_b64 v[36:37], v[22:23] offset:520
	s_wait_xcnt 0x0
	v_or_b32_e32 v22, 0x100, v30
	s_wait_loadcnt_dscnt 0x202
	v_cmp_eq_u64_e32 vcc_lo, 0, v[6:7]
	s_delay_alu instid0(VALU_DEP_2)
	v_cndmask_b32_e32 v30, v22, v30, vcc_lo
.LBB4_32:
	s_or_b32 exec_lo, exec_lo, s1
.LBB4_33:
	s_delay_alu instid0(SALU_CYCLE_1) | instskip(NEXT) | instid1(VALU_DEP_1)
	s_or_b32 exec_lo, exec_lo, s0
	v_and_b32_e32 v22, 24, v30
	s_mov_b32 s0, exec_lo
                                        ; implicit-def: $vgpr52_vgpr53
	s_delay_alu instid0(VALU_DEP_1)
	v_cmpx_ne_u32_e32 0, v22
	s_cbranch_execz .LBB4_41
; %bb.34:
	s_trap 2
	ds_load_b64 v[6:7], v0
	s_mov_b32 s1, exec_lo
                                        ; implicit-def: $vgpr52_vgpr53
	s_wait_dscnt 0x0
	v_readfirstlane_b32 s2, v6
	v_readfirstlane_b32 s3, v7
	flat_load_b64 v[6:7], v25, s[2:3] scale_offset
	s_wait_loadcnt_dscnt 0x0
	v_mad_nc_u64_u32 v[28:29], 0xa8, v17, v[6:7]
	v_or_b32_e32 v17, 0x100, v30
	flat_load_b128 v[6:9], v[28:29] offset:96
	s_wait_loadcnt_dscnt 0x0
	v_cmp_eq_u64_e32 vcc_lo, 0, v[6:7]
	v_cndmask_b32_e32 v30, v17, v30, vcc_lo
	s_delay_alu instid0(VALU_DEP_1) | instskip(SKIP_1) | instid1(VALU_DEP_1)
	v_and_b32_e32 v17, 16, v30
	s_wait_xcnt 0x0
	v_cmpx_ne_u32_e32 0, v17
	s_cbranch_execz .LBB4_36
; %bb.35:
	s_clause 0x2
	flat_load_b64 v[32:33], v[28:29] offset:48
	flat_load_b64 v[52:53], v[28:29] offset:120
	;; [unrolled: 1-line block ×3, first 2 shown]
.LBB4_36:
	s_wait_xcnt 0x0
	s_or_b32 exec_lo, exec_lo, s1
	v_and_b32_e32 v17, 8, v30
	s_mov_b32 s1, exec_lo
	s_delay_alu instid0(VALU_DEP_1)
	v_cmpx_ne_u32_e32 0, v17
	s_cbranch_execz .LBB4_40
; %bb.37:
	v_and_b32_e32 v17, 0x800, v30
	s_mov_b32 s2, exec_lo
	s_delay_alu instid0(VALU_DEP_1)
	v_cmpx_eq_u32_e32 0, v17
	s_cbranch_execz .LBB4_39
; %bb.38:
	s_trap 2
	ds_store_b64 v0, v[28:29]
.LBB4_39:
	s_or_b32 exec_lo, exec_lo, s2
	s_wait_loadcnt_dscnt 0x202
	flat_load_b64 v[32:33], v[28:29] offset:56
	s_wait_loadcnt_dscnt 0x0
	flat_load_b64 v[38:39], v[32:33] scope:SCOPE_SYS
	s_clause 0x1
	flat_load_b32 v34, v[28:29] offset:72
	flat_load_b64 v[36:37], v[28:29] offset:16
.LBB4_40:
	s_wait_xcnt 0x0
	s_or_b32 exec_lo, exec_lo, s1
.LBB4_41:
	s_delay_alu instid0(SALU_CYCLE_1)
	s_or_b32 exec_lo, exec_lo, s0
	v_cmp_eq_u32_e64 s0, 0, v0
	s_and_saveexec_b32 s1, s0
	s_cbranch_execz .LBB4_43
; %bb.42:
	v_mov_b64_e32 v[22:23], 0
	s_wait_loadcnt 0x2
	ds_store_2addr_b64 v0, v[12:13], v[10:11] offset1:1
	s_trap 2
	ds_store_b64 v0, v[22:23]
	s_wait_loadcnt 0x1
	ds_store_b64 v0, v[20:21]
.LBB4_43:
	s_or_b32 exec_lo, exec_lo, s1
	s_wait_loadcnt 0x2
	v_bfe_u32 v10, v16, 1, 30
	v_and_b32_e32 v50, 0x3ffffe00, v18
	v_mov_b32_e32 v51, 0
	s_wait_loadcnt 0x0
	v_and_b32_e32 v40, 0xffff, v19
                                        ; implicit-def: $vgpr48_vgpr49
	s_mov_b32 s1, exec_lo
	v_cmpx_ne_u32_e64 v24, v10
	s_xor_b32 s20, exec_lo, s1
	s_cbranch_execnz .LBB4_44
; %bb.4810:
	s_add_pc_i64 .LBB4_4597-.Lpost_addpc1
.Lpost_addpc1:
.LBB4_44:
                                        ; implicit-def: $vgpr48_vgpr49
	s_mov_b32 s1, exec_lo
	v_cmpx_ne_u32_e64 v14, v10
	s_xor_b32 s13, exec_lo, s1
	s_cbranch_execz .LBB4_2326
; %bb.45:
	v_mov_b64_e32 v[48:49], 0
	s_mov_b32 s21, exec_lo
	v_cmpx_ne_u64_e32 0, v[4:5]
	s_cbranch_execz .LBB4_2325
; %bb.46:
	s_wait_dscnt 0x1
	v_dual_ashrrev_i32 v10, 31, v0 :: v_dual_ashrrev_i32 v35, 31, v34
	s_ashr_i32 s4, s19, 31
	v_cmp_eq_u32_e32 vcc_lo, 32, v1
	s_lshr_b32 s4, s4, 24
	s_delay_alu instid0(VALU_DEP_2) | instskip(SKIP_3) | instid1(VALU_DEP_4)
	v_dual_lshrrev_b32 v10, 27, v10 :: v_dual_bitop2_b32 v11, 31, v31 bitop3:0x40
	v_mov_b64_e32 v[68:69], 0
	v_cmp_eq_u64_e64 s7, 0, v[52:53]
	v_mov_b64_e32 v[84:85], 0
	v_dual_add_nc_u32 v10, v0, v10 :: v_dual_lshrrev_b32 v54, 5, v1
	v_mov_b32_e32 v65, 0
	v_mov_b64_e32 v[48:49], 0
	v_cmp_ge_i32_e64 s1, v0, v1
	s_delay_alu instid0(VALU_DEP_4) | instskip(SKIP_4) | instid1(VALU_DEP_4)
	v_and_b32_e32 v12, 0xffffffe0, v10
	v_ashrrev_i32_e32 v41, 5, v10
	v_cmp_ne_u32_e64 s2, 32, v1
	v_cmp_ne_u32_e64 s3, v1, v40
	v_and_b32_e32 v66, 0x1fe0, v1
	v_dual_sub_nc_u32 v42, v0, v12 :: v_dual_lshlrev_b32 v10, 10, v41
	s_add_co_i32 s10, s19, s4
	v_cmp_eq_u32_e64 s4, 0, v11
	v_dual_mov_b32 v55, v65 :: v_dual_lshlrev_b32 v70, 10, v54
	s_delay_alu instid0(VALU_DEP_3)
	v_lshl_add_u32 v82, v42, 4, v10
	v_dual_mov_b32 v71, v65 :: v_dual_lshlrev_b32 v80, 9, v54
	v_dual_mov_b32 v81, v65 :: v_dual_mov_b32 v67, v65
	v_cmp_le_i32_e64 s5, v42, v15
	v_cmp_lt_i32_e64 s6, v42, v15
	v_dual_ashrrev_i32 v83, 31, v82 :: v_dual_mov_b32 v43, 1
	v_mov_b32_e32 v44, 0x90
	v_bfrev_b32_e32 v45, 1
	s_mov_b64 s[14:15], 0xffffffffffffff
	s_mov_b64 s[16:17], 0x100000000000000
	s_ashr_i32 s23, s10, 8
	s_mov_b32 s22, 0
	s_xor_b32 s24, vcc_lo, -1
	s_trap 2
	s_branch .LBB4_49
.LBB4_47:                               ;   in Loop: Header=BB4_49 Depth=1
	s_wait_xcnt 0x0
	s_or_b32 exec_lo, exec_lo, s10
.LBB4_48:                               ;   in Loop: Header=BB4_49 Depth=1
	s_delay_alu instid0(SALU_CYCLE_1) | instskip(SKIP_1) | instid1(VALU_DEP_1)
	s_or_b32 exec_lo, exec_lo, s11
	v_add_nc_u64_e32 v[84:85], v[84:85], v[50:51]
	v_cmp_ge_u64_e32 vcc_lo, v[84:85], v[4:5]
	s_or_b32 s22, vcc_lo, s22
	s_delay_alu instid0(SALU_CYCLE_1)
	s_and_not1_b32 exec_lo, exec_lo, s22
	s_cbranch_execz .LBB4_2324
.LBB4_49:                               ; =>This Loop Header: Depth=1
                                        ;     Child Loop BB4_58 Depth 2
                                        ;     Child Loop BB4_86 Depth 2
                                        ;     Child Loop BB4_105 Depth 2
                                        ;     Child Loop BB4_128 Depth 2
                                        ;     Child Loop BB4_1125 Depth 2
                                        ;     Child Loop BB4_1629 Depth 2
                                        ;     Child Loop BB4_2210 Depth 2
                                        ;     Child Loop BB4_2254 Depth 2
                                        ;     Child Loop BB4_2279 Depth 2
                                        ;     Child Loop BB4_2307 Depth 2
	v_sub_nc_u64_e32 v[10:11], v[4:5], v[84:85]
	s_delay_alu instid0(VALU_DEP_1) | instskip(NEXT) | instid1(VALU_DEP_1)
	v_min_u64 v[86:87], v[50:51], v[10:11]
	v_add_nc_u32_e32 v10, 15, v86
	s_delay_alu instid0(VALU_DEP_2) | instskip(NEXT) | instid1(VALU_DEP_2)
	v_cmp_eq_u64_e32 vcc_lo, 0, v[86:87]
	v_and_b32_e32 v10, 0x7ffffff0, v10
	s_or_b32 s25, s1, vcc_lo
	s_delay_alu instid0(SALU_CYCLE_1) | instskip(NEXT) | instid1(VALU_DEP_1)
	s_xor_b32 s10, s25, -1
	v_dual_mov_b32 v10, v65 :: v_dual_max_i32 v96, s23, v10
	s_and_saveexec_b32 s26, s10
	s_cbranch_execz .LBB4_2272
; %bb.50:                               ;   in Loop: Header=BB4_49 Depth=1
	s_and_saveexec_b32 s10, s0
	s_cbranch_execz .LBB4_52
; %bb.51:                               ;   in Loop: Header=BB4_49 Depth=1
	s_trap 2
	ds_load_b64 v[10:11], v0
	s_wait_dscnt 0x0
	v_add_nc_u64_e32 v[10:11], v[10:11], v[26:27]
	s_delay_alu instid0(VALU_DEP_1)
	v_add_nc_u64_e32 v[10:11], v[10:11], v[84:85]
	ds_store_b64 v0, v[10:11]
	ds_store_b64 v0, v[68:69]
.LBB4_52:                               ;   in Loop: Header=BB4_49 Depth=1
	s_or_b32 exec_lo, exec_lo, s10
	v_and_b32_e32 v10, 12, v30
	v_min_u32_e32 v96, v96, v86
	s_mov_b32 s11, exec_lo
	s_delay_alu instid0(VALU_DEP_2)
	v_cmpx_ne_u32_e32 0, v10
	s_cbranch_execz .LBB4_78
; %bb.53:                               ;   in Loop: Header=BB4_49 Depth=1
	v_and_b32_e32 v64, 8, v30
	s_wait_dscnt 0x0
	v_add_nc_u64_e32 v[10:11], 1, v[8:9]
	s_mov_b32 s12, exec_lo
	s_wait_loadcnt 0x0
	v_add_nc_u64_e32 v[12:13], v[38:39], v[64:65]
	s_delay_alu instid0(VALU_DEP_1)
	v_cmpx_lt_u64_e64 v[12:13], v[10:11]
	s_cbranch_execz .LBB4_65
; %bb.54:                               ;   in Loop: Header=BB4_49 Depth=1
	v_and_b32_e32 v9, 64, v30
	s_mov_b32 s27, 0
	s_mov_b32 s41, 0
                                        ; implicit-def: $sgpr28
                                        ; implicit-def: $sgpr29
                                        ; implicit-def: $sgpr40
	s_delay_alu instid0(VALU_DEP_1)
	v_cmp_eq_u32_e32 vcc_lo, 0, v9
	s_branch .LBB4_58
.LBB4_55:                               ;   in Loop: Header=BB4_58 Depth=2
	s_wait_loadcnt_dscnt 0x0
	v_add_nc_u64_e32 v[12:13], v[38:39], v[64:65]
	s_or_b32 s44, s44, exec_lo
	s_delay_alu instid0(VALU_DEP_1)
	v_cmp_ge_u64_e64 s10, v[12:13], v[10:11]
	s_or_not1_b32 s43, s10, exec_lo
.LBB4_56:                               ;   in Loop: Header=BB4_58 Depth=2
	s_or_b32 exec_lo, exec_lo, s46
	s_delay_alu instid0(SALU_CYCLE_1)
	s_and_not1_b32 s10, s40, exec_lo
	s_and_b32 s40, s44, exec_lo
	s_and_not1_b32 s29, s29, exec_lo
	s_and_b32 s43, s43, exec_lo
	s_or_b32 s40, s10, s40
	s_or_b32 s29, s29, s43
.LBB4_57:                               ;   in Loop: Header=BB4_58 Depth=2
	s_or_b32 exec_lo, exec_lo, s42
	s_delay_alu instid0(SALU_CYCLE_1) | instskip(NEXT) | instid1(SALU_CYCLE_1)
	s_and_b32 s10, exec_lo, s29
	s_or_b32 s27, s10, s27
	s_and_not1_b32 s10, s28, exec_lo
	s_and_b32 s28, s40, exec_lo
	s_delay_alu instid0(SALU_CYCLE_1)
	s_or_b32 s28, s10, s28
	s_and_not1_b32 exec_lo, exec_lo, s27
	s_cbranch_execz .LBB4_62
.LBB4_58:                               ;   Parent Loop BB4_49 Depth=1
                                        ; =>  This Inner Loop Header: Depth=2
	s_sleep 1
	s_wait_loadcnt_dscnt 0x0
	flat_load_b64 v[38:39], v[32:33] scope:SCOPE_SYS
	s_or_b32 s40, s40, exec_lo
	s_or_b32 s29, s29, exec_lo
                                        ; implicit-def: $vgpr9
	s_wait_xcnt 0x0
	s_and_saveexec_b32 s42, vcc_lo
	s_cbranch_execz .LBB4_57
; %bb.59:                               ;   in Loop: Header=BB4_58 Depth=2
	s_cmp_lt_i32 s41, 0x270f
	s_mov_b32 s43, -1
	s_cselect_b32 s45, -1, 0
	s_cmp_gt_i32 s41, 0x270e
	s_cbranch_scc0 .LBB4_61
; %bb.60:                               ;   in Loop: Header=BB4_58 Depth=2
	s_trap 2
	ds_load_b64 v[12:13], v0
	s_and_not1_b32 s41, s45, exec_lo
	s_mov_b32 s44, 0
	s_wait_storecnt 0x0
	s_wait_loadcnt_dscnt 0x0
	flat_load_b32 v9, v[12:13] scope:SCOPE_SYS
	s_wait_loadcnt_dscnt 0x0
	global_inv scope:SCOPE_SYS
	v_cmp_eq_u32_e64 s10, 0, v9
	s_and_b32 s10, s10, exec_lo
	s_delay_alu instid0(SALU_CYCLE_1)
	s_or_b32 s45, s41, s10
	s_mov_b32 s41, 0
	s_and_saveexec_b32 s46, s45
	s_cbranch_execz .LBB4_56
	s_branch .LBB4_55
.LBB4_61:                               ;   in Loop: Header=BB4_58 Depth=2
	s_add_co_i32 s41, s41, 1
	s_mov_b32 s44, -1
                                        ; implicit-def: $vgpr9
	s_and_saveexec_b32 s46, s45
	s_cbranch_execz .LBB4_56
	s_branch .LBB4_55
.LBB4_62:                               ;   in Loop: Header=BB4_49 Depth=1
	s_or_b32 exec_lo, exec_lo, s27
	s_xor_b32 s10, s28, -1
	s_delay_alu instid0(SALU_CYCLE_1) | instskip(NEXT) | instid1(SALU_CYCLE_1)
	s_and_saveexec_b32 s27, s10
	s_xor_b32 s10, exec_lo, s27
	s_cbranch_execz .LBB4_64
; %bb.63:                               ;   in Loop: Header=BB4_49 Depth=1
	v_or_b32_e32 v30, 64, v30
	s_wait_storecnt 0x0
	s_wait_loadcnt_dscnt 0x0
	ds_store_b32 v0, v9
	s_trap 2
.LBB4_64:                               ;   in Loop: Header=BB4_49 Depth=1
	s_or_b32 exec_lo, exec_lo, s10
.LBB4_65:                               ;   in Loop: Header=BB4_49 Depth=1
	s_delay_alu instid0(SALU_CYCLE_1) | instskip(SKIP_2) | instid1(VALU_DEP_1)
	s_or_b32 exec_lo, exec_lo, s12
	v_and_b32_e32 v9, 0x108, v30
	;;#ASMSTART
	s_wakeup
	;;#ASMEND
	v_cmp_ne_u32_e32 vcc_lo, 0x108, v9
	v_and_b32_e32 v8, 7, v8
	s_and_saveexec_b32 s10, vcc_lo
	s_delay_alu instid0(SALU_CYCLE_1)
	s_xor_b32 s10, exec_lo, s10
; %bb.66:                               ;   in Loop: Header=BB4_49 Depth=1
	v_mov_b32_e32 v9, v65
; %bb.67:                               ;   in Loop: Header=BB4_49 Depth=1
	s_and_not1_saveexec_b32 s10, s10
	s_cbranch_execz .LBB4_69
; %bb.68:                               ;   in Loop: Header=BB4_49 Depth=1
	v_mad_nc_u64_u32 v[12:13], v8, 24, v[6:7]
	v_dual_mov_b32 v97, v65 :: v_dual_mov_b32 v9, v65
	flat_store_b64 v[12:13], v[96:97] offset:8
.LBB4_69:                               ;   in Loop: Header=BB4_49 Depth=1
	s_wait_xcnt 0x0
	s_or_b32 exec_lo, exec_lo, s10
	v_and_b32_e32 v12, 0x100, v30
	s_mov_b32 s10, -1
	s_delay_alu instid0(VALU_DEP_1)
	v_cmp_ne_u32_e32 vcc_lo, 0, v12
                                        ; implicit-def: $vgpr12_vgpr13
	s_and_saveexec_b32 s12, vcc_lo
	s_cbranch_execz .LBB4_73
; %bb.70:                               ;   in Loop: Header=BB4_49 Depth=1
	v_mad_nc_u64_u32 v[14:15], v8, 24, v[6:7]
	s_delay_alu instid0(VALU_DEP_1)
	v_mad_u32 v15, v9, 24, v15
	flat_load_b32 v12, v[14:15]
	s_wait_loadcnt_dscnt 0x0
	v_cmp_eq_u32_e64 s10, 1, v12
	v_cmp_ne_u32_e32 vcc_lo, 1, v12
                                        ; implicit-def: $vgpr12_vgpr13
	s_wait_xcnt 0x0
	s_and_saveexec_b32 s27, s10
	s_cbranch_execz .LBB4_72
; %bb.71:                               ;   in Loop: Header=BB4_49 Depth=1
	flat_load_b32 v12, v[14:15] offset:4 scope:SCOPE_SYS
	s_wait_loadcnt_dscnt 0x0
	v_ashrrev_i32_e32 v13, 31, v12
.LBB4_72:                               ;   in Loop: Header=BB4_49 Depth=1
	s_wait_xcnt 0x0
	s_or_b32 exec_lo, exec_lo, s27
	s_delay_alu instid0(SALU_CYCLE_1)
	s_or_not1_b32 s10, vcc_lo, exec_lo
.LBB4_73:                               ;   in Loop: Header=BB4_49 Depth=1
	s_or_b32 exec_lo, exec_lo, s12
	s_and_saveexec_b32 s12, s10
; %bb.74:                               ;   in Loop: Header=BB4_49 Depth=1
	v_mul_u64_e32 v[12:13], v[8:9], v[34:35]
; %bb.75:                               ;   in Loop: Header=BB4_49 Depth=1
	s_or_b32 exec_lo, exec_lo, s12
	v_cmp_eq_u32_e32 vcc_lo, 0, v64
	s_delay_alu instid0(VALU_DEP_2) | instskip(SKIP_3) | instid1(VALU_DEP_1)
	v_add_nc_u64_e32 v[8:9], v[36:37], v[12:13]
	v_and_b32_e32 v15, 0x2000, v30
	s_mov_b32 s10, exec_lo
	v_cndmask_b32_e32 v14, 0xc8, v44, vcc_lo
	v_add_nc_u32_e32 v12, v0, v14
	ds_store_b64 v12, v[8:9] offset:584
	v_cmpx_ne_u32_e32 0, v15
	s_cbranch_execz .LBB4_77
; %bb.76:                               ;   in Loop: Header=BB4_49 Depth=1
	ds_load_b64 v[8:9], v0 offset:872
	s_wait_dscnt 0x0
	v_add_nc_u64_e32 v[8:9], 1, v[8:9]
	ds_store_b64 v0, v[8:9] offset:872
.LBB4_77:                               ;   in Loop: Header=BB4_49 Depth=1
	s_or_b32 exec_lo, exec_lo, s10
	v_mov_b64_e32 v[8:9], v[10:11]
.LBB4_78:                               ;   in Loop: Header=BB4_49 Depth=1
	s_or_b32 exec_lo, exec_lo, s11
	s_and_saveexec_b32 s10, s2
	s_cbranch_execz .LBB4_97
; %bb.79:                               ;   in Loop: Header=BB4_49 Depth=1
	s_and_saveexec_b32 s11, s3
	s_delay_alu instid0(SALU_CYCLE_1)
	s_xor_b32 s11, exec_lo, s11
	s_cbranch_execz .LBB4_94
; %bb.80:                               ;   in Loop: Header=BB4_49 Depth=1
	s_and_saveexec_b32 s12, s4
	s_cbranch_execz .LBB4_93
; %bb.81:                               ;   in Loop: Header=BB4_49 Depth=1
	s_mov_b32 s28, exec_lo
	s_mov_b32 s27, exec_lo
	v_mbcnt_lo_u32_b32 v10, s28, 0
	global_wb scope:SCOPE_DEV
	s_wait_storecnt 0x0
	s_wait_loadcnt_dscnt 0x0
	global_inv scope:SCOPE_DEV
	v_cmpx_eq_u32_e32 0, v10
	s_cbranch_execz .LBB4_83
; %bb.82:                               ;   in Loop: Header=BB4_49 Depth=1
	s_bcnt1_i32_b32 s28, s28
	s_delay_alu instid0(SALU_CYCLE_1)
	v_mov_b32_e32 v64, s28
	s_wait_loadcnt 0x0
	ds_add_u64 v0, v[64:65]
	s_trap 2
.LBB4_83:                               ;   in Loop: Header=BB4_49 Depth=1
	s_or_b32 exec_lo, exec_lo, s27
	s_trap 2
	ds_load_b64 v[10:11], v0
	s_wait_dscnt 0x0
	v_add_nc_u64_e32 v[48:49], v[48:49], v[54:55]
	s_mov_b32 s27, exec_lo
	s_delay_alu instid0(VALU_DEP_1)
	v_cmpx_lt_u64_e64 v[10:11], v[48:49]
	s_cbranch_execz .LBB4_92
; %bb.84:                               ;   in Loop: Header=BB4_49 Depth=1
	s_mov_b32 s28, 0
	s_mov_b32 s41, 0
                                        ; implicit-def: $sgpr29
                                        ; implicit-def: $sgpr40
	s_branch .LBB4_86
.LBB4_85:                               ;   in Loop: Header=BB4_86 Depth=2
	s_or_b32 exec_lo, exec_lo, s43
	s_delay_alu instid0(SALU_CYCLE_1) | instskip(NEXT) | instid1(SALU_CYCLE_1)
	s_and_b32 s42, exec_lo, s44
	s_or_b32 s28, s42, s28
	s_and_not1_b32 s29, s29, exec_lo
	s_and_b32 s42, s40, exec_lo
	s_delay_alu instid0(SALU_CYCLE_1)
	s_or_b32 s29, s29, s42
	s_and_not1_b32 exec_lo, exec_lo, s28
	s_cbranch_execz .LBB4_90
.LBB4_86:                               ;   Parent Loop BB4_49 Depth=1
                                        ; =>  This Inner Loop Header: Depth=2
	s_add_co_i32 s41, s41, 1
	s_delay_alu instid0(SALU_CYCLE_1) | instskip(SKIP_1) | instid1(SALU_CYCLE_1)
	s_cmp_lg_u32 s41, 0x2710
	s_cselect_b32 s42, -1, 0
	s_and_b32 vcc_lo, exec_lo, s42
	s_cbranch_vccz .LBB4_88
; %bb.87:                               ;   in Loop: Header=BB4_86 Depth=2
	s_mov_b32 s44, -1
	s_or_b32 s40, s40, exec_lo
	s_and_saveexec_b32 s43, s42
	s_cbranch_execz .LBB4_85
	s_branch .LBB4_89
.LBB4_88:                               ;   in Loop: Header=BB4_86 Depth=2
	s_trap 2
	ds_load_b64 v[10:11], v0
	s_and_not1_b32 s42, s42, exec_lo
	s_mov_b32 s41, 0
	s_wait_loadcnt_dscnt 0x0
	flat_load_b32 v10, v[10:11] scope:SCOPE_SYS
	s_wait_loadcnt_dscnt 0x0
	global_inv scope:SCOPE_SYS
	v_cmp_eq_u32_e32 vcc_lo, 0, v10
	s_and_b32 s43, vcc_lo, exec_lo
	s_delay_alu instid0(SALU_CYCLE_1)
	s_or_b32 s42, s42, s43
	s_mov_b32 s44, -1
	s_or_b32 s40, s40, exec_lo
	s_and_saveexec_b32 s43, s42
	s_cbranch_execz .LBB4_85
.LBB4_89:                               ;   in Loop: Header=BB4_86 Depth=2
	s_sleep 1
	s_trap 2
	ds_load_b64 v[10:11], v0
	s_wait_dscnt 0x0
	s_and_not1_b32 s40, s40, exec_lo
	v_cmp_ge_u64_e32 vcc_lo, v[10:11], v[48:49]
	s_or_not1_b32 s44, vcc_lo, exec_lo
	s_branch .LBB4_85
.LBB4_90:                               ;   in Loop: Header=BB4_49 Depth=1
	s_or_b32 exec_lo, exec_lo, s28
	s_and_saveexec_b32 s28, s29
	s_delay_alu instid0(SALU_CYCLE_1)
	s_xor_b32 s28, exec_lo, s28
	s_cbranch_execz .LBB4_92
; %bb.91:                               ;   in Loop: Header=BB4_49 Depth=1
	ds_store_b32 v0, v43
	s_trap 2
.LBB4_92:                               ;   in Loop: Header=BB4_49 Depth=1
	s_or_b32 exec_lo, exec_lo, s27
	;;#ASMSTART
	s_wakeup
	;;#ASMEND
.LBB4_93:                               ;   in Loop: Header=BB4_49 Depth=1
	s_or_b32 exec_lo, exec_lo, s12
.LBB4_94:                               ;   in Loop: Header=BB4_49 Depth=1
	s_and_not1_saveexec_b32 s11, s11
	s_cbranch_execz .LBB4_96
; %bb.95:                               ;   in Loop: Header=BB4_49 Depth=1
	global_wb scope:SCOPE_DEV
	s_wait_storecnt 0x0
	s_wait_loadcnt_dscnt 0x0
	global_inv scope:SCOPE_DEV
	s_barrier_signal -1
	s_barrier_wait -1
.LBB4_96:                               ;   in Loop: Header=BB4_49 Depth=1
	s_or_b32 exec_lo, exec_lo, s11
.LBB4_97:                               ;   in Loop: Header=BB4_49 Depth=1
	s_delay_alu instid0(SALU_CYCLE_1) | instskip(SKIP_3) | instid1(VALU_DEP_1)
	s_or_b32 exec_lo, exec_lo, s10
	s_trap 2
	ds_load_b32 v10, v0
	v_and_b32_e32 v11, 0x4000, v30
	v_cmp_ne_u32_e32 vcc_lo, 0, v11
	s_and_b32 s11, s24, vcc_lo
	s_delay_alu instid0(SALU_CYCLE_1)
	s_and_saveexec_b32 s10, s11
	s_cbranch_execz .LBB4_116
; %bb.98:                               ;   in Loop: Header=BB4_49 Depth=1
	s_and_saveexec_b32 s11, s3
	s_delay_alu instid0(SALU_CYCLE_1)
	s_xor_b32 s11, exec_lo, s11
	s_cbranch_execz .LBB4_113
; %bb.99:                               ;   in Loop: Header=BB4_49 Depth=1
	s_and_saveexec_b32 s12, s4
	s_cbranch_execz .LBB4_112
; %bb.100:                              ;   in Loop: Header=BB4_49 Depth=1
	s_mov_b32 s28, exec_lo
	s_mov_b32 s27, exec_lo
	v_mbcnt_lo_u32_b32 v11, s28, 0
	global_wb scope:SCOPE_DEV
	s_wait_storecnt 0x0
	s_wait_loadcnt_dscnt 0x0
	global_inv scope:SCOPE_DEV
	v_cmpx_eq_u32_e32 0, v11
	s_cbranch_execz .LBB4_102
; %bb.101:                              ;   in Loop: Header=BB4_49 Depth=1
	s_bcnt1_i32_b32 s28, s28
	s_delay_alu instid0(SALU_CYCLE_1)
	v_mov_b32_e32 v64, s28
	s_wait_loadcnt 0x0
	ds_add_u64 v0, v[64:65]
	s_trap 2
.LBB4_102:                              ;   in Loop: Header=BB4_49 Depth=1
	s_or_b32 exec_lo, exec_lo, s27
	s_trap 2
	ds_load_b64 v[12:13], v0
	s_wait_dscnt 0x0
	v_add_nc_u64_e32 v[48:49], v[48:49], v[54:55]
	s_mov_b32 s27, exec_lo
	s_delay_alu instid0(VALU_DEP_1)
	v_cmpx_lt_u64_e64 v[12:13], v[48:49]
	s_cbranch_execz .LBB4_111
; %bb.103:                              ;   in Loop: Header=BB4_49 Depth=1
	s_mov_b32 s28, 0
	s_mov_b32 s41, 0
                                        ; implicit-def: $sgpr29
                                        ; implicit-def: $sgpr40
	s_branch .LBB4_105
.LBB4_104:                              ;   in Loop: Header=BB4_105 Depth=2
	s_or_b32 exec_lo, exec_lo, s43
	s_delay_alu instid0(SALU_CYCLE_1) | instskip(NEXT) | instid1(SALU_CYCLE_1)
	s_and_b32 s42, exec_lo, s44
	s_or_b32 s28, s42, s28
	s_and_not1_b32 s29, s29, exec_lo
	s_and_b32 s42, s40, exec_lo
	s_delay_alu instid0(SALU_CYCLE_1)
	s_or_b32 s29, s29, s42
	s_and_not1_b32 exec_lo, exec_lo, s28
	s_cbranch_execz .LBB4_109
.LBB4_105:                              ;   Parent Loop BB4_49 Depth=1
                                        ; =>  This Inner Loop Header: Depth=2
	s_add_co_i32 s41, s41, 1
	s_delay_alu instid0(SALU_CYCLE_1) | instskip(SKIP_1) | instid1(SALU_CYCLE_1)
	s_cmp_lg_u32 s41, 0x2710
	s_cselect_b32 s42, -1, 0
	s_and_b32 vcc_lo, exec_lo, s42
	s_cbranch_vccz .LBB4_107
; %bb.106:                              ;   in Loop: Header=BB4_105 Depth=2
	s_mov_b32 s44, -1
	s_or_b32 s40, s40, exec_lo
	s_and_saveexec_b32 s43, s42
	s_cbranch_execz .LBB4_104
	s_branch .LBB4_108
.LBB4_107:                              ;   in Loop: Header=BB4_105 Depth=2
	s_trap 2
	ds_load_b64 v[12:13], v0
	s_and_not1_b32 s42, s42, exec_lo
	s_mov_b32 s41, 0
	s_wait_loadcnt_dscnt 0x0
	flat_load_b32 v11, v[12:13] scope:SCOPE_SYS
	s_wait_loadcnt_dscnt 0x0
	global_inv scope:SCOPE_SYS
	v_cmp_eq_u32_e32 vcc_lo, 0, v11
	s_and_b32 s43, vcc_lo, exec_lo
	s_delay_alu instid0(SALU_CYCLE_1)
	s_or_b32 s42, s42, s43
	s_mov_b32 s44, -1
	s_or_b32 s40, s40, exec_lo
	s_and_saveexec_b32 s43, s42
	s_cbranch_execz .LBB4_104
.LBB4_108:                              ;   in Loop: Header=BB4_105 Depth=2
	s_sleep 1
	s_trap 2
	ds_load_b64 v[12:13], v0
	s_wait_dscnt 0x0
	s_and_not1_b32 s40, s40, exec_lo
	v_cmp_ge_u64_e32 vcc_lo, v[12:13], v[48:49]
	s_or_not1_b32 s44, vcc_lo, exec_lo
	s_branch .LBB4_104
.LBB4_109:                              ;   in Loop: Header=BB4_49 Depth=1
	s_or_b32 exec_lo, exec_lo, s28
	s_and_saveexec_b32 s28, s29
	s_delay_alu instid0(SALU_CYCLE_1)
	s_xor_b32 s28, exec_lo, s28
	s_cbranch_execz .LBB4_111
; %bb.110:                              ;   in Loop: Header=BB4_49 Depth=1
	ds_store_b32 v0, v43
	s_trap 2
.LBB4_111:                              ;   in Loop: Header=BB4_49 Depth=1
	s_or_b32 exec_lo, exec_lo, s27
	;;#ASMSTART
	s_wakeup
	;;#ASMEND
.LBB4_112:                              ;   in Loop: Header=BB4_49 Depth=1
	s_or_b32 exec_lo, exec_lo, s12
.LBB4_113:                              ;   in Loop: Header=BB4_49 Depth=1
	s_and_not1_saveexec_b32 s11, s11
	s_cbranch_execz .LBB4_115
; %bb.114:                              ;   in Loop: Header=BB4_49 Depth=1
	global_wb scope:SCOPE_DEV
	s_wait_storecnt 0x0
	s_wait_loadcnt_dscnt 0x0
	global_inv scope:SCOPE_DEV
	s_barrier_signal -1
	s_barrier_wait -1
.LBB4_115:                              ;   in Loop: Header=BB4_49 Depth=1
	s_or_b32 exec_lo, exec_lo, s11
.LBB4_116:                              ;   in Loop: Header=BB4_49 Depth=1
	s_delay_alu instid0(SALU_CYCLE_1)
	s_or_b32 exec_lo, exec_lo, s10
	s_trap 2
	ds_load_b64 v[98:99], v0
	s_wait_dscnt 0x0
	v_cmp_eq_u64_e32 vcc_lo, 0, v[98:99]
	s_cbranch_vccnz .LBB4_124
; %bb.117:                              ;   in Loop: Header=BB4_49 Depth=1
	s_trap 2
	ds_load_b64 v[100:101], v0
	s_wait_dscnt 0x0
	v_cmp_eq_u64_e32 vcc_lo, 0, v[100:101]
	s_cbranch_vccnz .LBB4_124
; %bb.118:                              ;   in Loop: Header=BB4_49 Depth=1
	s_mov_b32 s10, -1
	s_and_saveexec_b32 s11, s5
	s_cbranch_execz .LBB4_120
; %bb.119:                              ;   in Loop: Header=BB4_49 Depth=1
	ds_load_b32 v11, v0 offset:720
	s_wait_dscnt 0x0
	v_and_b32_e32 v11, 15, v11
	s_delay_alu instid0(VALU_DEP_1)
	v_cmp_eq_u32_e32 vcc_lo, 0, v11
	s_or_not1_b32 s10, vcc_lo, exec_lo
.LBB4_120:                              ;   in Loop: Header=BB4_49 Depth=1
	s_or_b32 exec_lo, exec_lo, s11
	s_and_saveexec_b32 s11, s6
	s_cbranch_execz .LBB4_122
; %bb.121:                              ;   in Loop: Header=BB4_49 Depth=1
	ds_load_b32 v11, v0 offset:784
	s_wait_dscnt 0x0
	v_and_b32_e32 v11, 15, v11
	s_delay_alu instid0(VALU_DEP_1) | instskip(SKIP_3) | instid1(SALU_CYCLE_1)
	v_cmp_eq_u32_e32 vcc_lo, 0, v11
	s_and_b32 s12, s10, vcc_lo
	s_and_not1_b32 s10, s10, exec_lo
	s_and_b32 s12, s12, exec_lo
	s_or_b32 s10, s10, s12
.LBB4_122:                              ;   in Loop: Header=BB4_49 Depth=1
	s_or_b32 exec_lo, exec_lo, s11
	v_cmp_eq_u32_e32 vcc_lo, 0, v10
	s_xor_b32 s10, s10, -1
	v_mov_b32_e32 v10, v41
	v_cndmask_b32_e64 v11, 0, 1, s10
	s_mov_b32 s10, -1
	v_dual_cndmask_b32 v87, 0, v96 :: v_dual_mov_b32 v20, 0
	v_mov_b32_e32 v22, v0
	s_delay_alu instid0(VALU_DEP_3) | instskip(NEXT) | instid1(VALU_DEP_3)
	v_cmp_ne_u32_e32 vcc_lo, 0, v11
	v_mov_b32_e32 v21, v87
	s_cbranch_vccz .LBB4_125
; %bb.123:                              ;   in Loop: Header=BB4_49 Depth=1
	s_and_saveexec_b32 s11, s10
	s_cbranch_execnz .LBB4_1626
	s_branch .LBB4_2246
.LBB4_124:                              ;   in Loop: Header=BB4_49 Depth=1
	s_mov_b32 s10, 0
	s_and_saveexec_b32 s11, s2
	s_cbranch_execnz .LBB4_2247
	s_branch .LBB4_2265
.LBB4_125:                              ;   in Loop: Header=BB4_49 Depth=1
	v_lshrrev_b32_e32 v10, 10, v87
	s_mov_b32 s11, exec_lo
	s_delay_alu instid0(VALU_DEP_1) | instskip(NEXT) | instid1(VALU_DEP_1)
	v_sub_nc_u32_e32 v97, v10, v41
	v_cmpx_lt_i32_e32 0, v97
	s_cbranch_execz .LBB4_1121
; %bb.126:                              ;   in Loop: Header=BB4_49 Depth=1
	s_trap 2
	ds_load_b64 v[10:11], v0
	v_add_nc_u64_e32 v[102:103], v[98:99], v[82:83]
	v_add_nc_u64_e32 v[114:115], v[100:101], v[82:83]
	s_mov_b32 s12, 0
	s_wait_dscnt 0x0
	v_add_nc_u64_e32 v[112:113], v[10:11], v[82:83]
	s_branch .LBB4_128
.LBB4_127:                              ;   in Loop: Header=BB4_128 Depth=2
	s_or_b32 exec_lo, exec_lo, s10
	v_lshl_or_b32 v11, v59, 8, v58
	v_dual_lshlrev_b32 v12, 16, v116 :: v_dual_lshlrev_b32 v13, 24, v117
	v_lshl_or_b32 v15, v47, 8, v46
	v_dual_lshlrev_b32 v16, 16, v56 :: v_dual_lshlrev_b32 v17, 24, v57
	;; [unrolled: 2-line block ×3, first 2 shown]
	v_or3_b32 v117, v11, v12, v13
	v_dual_lshlrev_b32 v11, 24, v23 :: v_dual_lshlrev_b32 v12, 16, v22
	v_lshl_or_b32 v13, v63, 8, v62
	v_or3_b32 v116, v15, v16, v17
	v_lshl_or_b32 v15, v75, 8, v74
	v_dual_lshlrev_b32 v16, 16, v18 :: v_dual_lshlrev_b32 v17, 24, v19
	v_lshl_or_b32 v18, v25, 8, v24
	v_dual_lshlrev_b32 v19, 16, v72 :: v_dual_lshlrev_b32 v22, 24, v73
	;; [unrolled: 2-line block ×3, first 2 shown]
	v_lshlrev_b32_e32 v24, 24, v10
	v_lshlrev_b32_e32 v14, 16, v14
	v_lshl_or_b32 v25, v79, 8, v78
	v_or3_b32 v118, v64, v118, v119
	v_or3_b32 v119, v13, v12, v11
	v_sub_nc_u32_e32 v97, v97, v54
	v_or3_b32 v11, v15, v16, v17
	v_or3_b32 v10, v18, v19, v22
	;; [unrolled: 1-line block ×4, first 2 shown]
	s_clause 0x1
	global_store_b128 v[114:115], v[116:119], off th:TH_STORE_NT
	global_store_b128 v[114:115], v[10:13], off offset:512 th:TH_STORE_NT
	v_add_nc_u64_e32 v[102:103], v[102:103], v[70:71]
	v_add_nc_u64_e32 v[112:113], v[112:113], v[70:71]
	v_cmp_gt_i32_e32 vcc_lo, 1, v97
	s_wait_xcnt 0x0
	v_add_nc_u64_e32 v[114:115], v[114:115], v[70:71]
	s_or_b32 s12, vcc_lo, s12
	s_delay_alu instid0(SALU_CYCLE_1)
	s_and_not1_b32 exec_lo, exec_lo, s12
	s_cbranch_execz .LBB4_1120
.LBB4_128:                              ;   Parent Loop BB4_49 Depth=1
                                        ; =>  This Inner Loop Header: Depth=2
	s_clause 0x1
	global_load_b128 v[22:25], v[102:103], off th:TH_LOAD_NT
	global_load_b128 v[14:17], v[102:103], off offset:512 th:TH_LOAD_NT
	s_clause 0x1
	global_load_b128 v[18:21], v[112:113], off th:TH_LOAD_NT
	global_load_b128 v[10:13], v[112:113], off offset:512 th:TH_LOAD_NT
	v_dual_mov_b32 v64, 0 :: v_dual_mov_b32 v116, 0
	s_mov_b32 s10, exec_lo
	s_wait_loadcnt 0x3
	v_and_b32_e32 v117, 0xff, v22
	s_wait_xcnt 0x0
	s_delay_alu instid0(VALU_DEP_1)
	v_cmpx_ne_u16_e32 0, v117
	s_cbranch_execz .LBB4_134
; %bb.129:                              ;   in Loop: Header=BB4_128 Depth=2
	v_bfrev_b32_e32 v116, 1
	s_mov_b32 s27, exec_lo
	v_cmpx_ne_u16_e32 0x80, v117
	s_cbranch_execz .LBB4_133
; %bb.130:                              ;   in Loop: Header=BB4_128 Depth=2
	v_and_b32_e32 v117, 0x7f, v22
	v_mov_b32_e32 v116, 0x7f800001
	s_mov_b32 s28, exec_lo
	s_delay_alu instid0(VALU_DEP_2)
	v_cmpx_ne_u32_e32 0x7f, v117
	s_cbranch_execz .LBB4_132
; %bb.131:                              ;   in Loop: Header=BB4_128 Depth=2
	v_dual_lshrrev_b32 v118, 3, v117 :: v_dual_bitop2_b32 v116, 7, v22 bitop3:0x40
	v_cmp_gt_u32_e32 vcc_lo, 8, v117
	s_delay_alu instid0(VALU_DEP_2) | instskip(NEXT) | instid1(VALU_DEP_1)
	v_clz_i32_u32_e32 v116, v116
	v_min_u32_e32 v116, 32, v116
	s_delay_alu instid0(VALU_DEP_1) | instskip(SKIP_1) | instid1(VALU_DEP_1)
	v_subrev_nc_u32_e32 v119, 28, v116
	v_sub_nc_u32_e32 v116, 29, v116
	v_dual_cndmask_b32 v118, v118, v116, vcc_lo :: v_dual_cndmask_b32 v116, 0, v119, vcc_lo
	s_delay_alu instid0(VALU_DEP_1) | instskip(NEXT) | instid1(VALU_DEP_2)
	v_lshl_add_u32 v118, v118, 23, 0x3c000000
	v_lshlrev_b64_e32 v[116:117], v116, v[22:23]
	v_lshlrev_b32_e32 v117, 24, v22
	s_delay_alu instid0(VALU_DEP_1) | instskip(NEXT) | instid1(VALU_DEP_3)
	v_and_b32_e32 v117, 0x80000000, v117
	v_lshlrev_b32_e32 v116, 20, v116
	s_delay_alu instid0(VALU_DEP_1) | instskip(NEXT) | instid1(VALU_DEP_1)
	v_and_b32_e32 v116, 0x700000, v116
	v_or3_b32 v116, v116, v117, v118
.LBB4_132:                              ;   in Loop: Header=BB4_128 Depth=2
	s_or_b32 exec_lo, exec_lo, s28
.LBB4_133:                              ;   in Loop: Header=BB4_128 Depth=2
	s_delay_alu instid0(SALU_CYCLE_1)
	s_or_b32 exec_lo, exec_lo, s27
.LBB4_134:                              ;   in Loop: Header=BB4_128 Depth=2
	s_delay_alu instid0(SALU_CYCLE_1) | instskip(SKIP_3) | instid1(VALU_DEP_1)
	s_or_b32 exec_lo, exec_lo, s10
	s_wait_loadcnt 0x1
	v_and_b32_e32 v117, 0xff, v18
	s_mov_b32 s10, exec_lo
	v_cmpx_ne_u16_e32 0, v117
	s_cbranch_execz .LBB4_140
; %bb.135:                              ;   in Loop: Header=BB4_128 Depth=2
	v_bfrev_b32_e32 v64, 1
	s_mov_b32 s27, exec_lo
	v_cmpx_ne_u16_e32 0x80, v117
	s_cbranch_execz .LBB4_139
; %bb.136:                              ;   in Loop: Header=BB4_128 Depth=2
	v_and_b32_e32 v117, 0x7f, v18
	v_mov_b32_e32 v64, 0x7f800001
	s_mov_b32 s28, exec_lo
	s_delay_alu instid0(VALU_DEP_2)
	v_cmpx_ne_u32_e32 0x7f, v117
	s_cbranch_execz .LBB4_138
; %bb.137:                              ;   in Loop: Header=BB4_128 Depth=2
	v_dual_lshrrev_b32 v118, 3, v117 :: v_dual_bitop2_b32 v64, 7, v18 bitop3:0x40
	v_cmp_gt_u32_e32 vcc_lo, 8, v117
	s_delay_alu instid0(VALU_DEP_2) | instskip(NEXT) | instid1(VALU_DEP_1)
	v_clz_i32_u32_e32 v64, v64
	v_min_u32_e32 v64, 32, v64
	s_delay_alu instid0(VALU_DEP_1) | instskip(NEXT) | instid1(VALU_DEP_1)
	v_subrev_nc_u32_e32 v119, 28, v64
	v_dual_cndmask_b32 v117, 0, v119 :: v_dual_sub_nc_u32 v64, 29, v64
	s_delay_alu instid0(VALU_DEP_1) | instskip(NEXT) | instid1(VALU_DEP_2)
	v_cndmask_b32_e32 v64, v118, v64, vcc_lo
	v_lshlrev_b64_e32 v[118:119], v117, v[18:19]
	v_lshlrev_b32_e32 v117, 24, v18
	s_delay_alu instid0(VALU_DEP_3) | instskip(NEXT) | instid1(VALU_DEP_2)
	v_lshl_add_u32 v64, v64, 23, 0x3c000000
	v_and_b32_e32 v117, 0x80000000, v117
	s_delay_alu instid0(VALU_DEP_4) | instskip(NEXT) | instid1(VALU_DEP_1)
	v_lshlrev_b32_e32 v118, 20, v118
	v_and_b32_e32 v118, 0x700000, v118
	s_delay_alu instid0(VALU_DEP_1)
	v_or3_b32 v64, v118, v117, v64
.LBB4_138:                              ;   in Loop: Header=BB4_128 Depth=2
	s_or_b32 exec_lo, exec_lo, s28
.LBB4_139:                              ;   in Loop: Header=BB4_128 Depth=2
	s_delay_alu instid0(SALU_CYCLE_1)
	s_or_b32 exec_lo, exec_lo, s27
.LBB4_140:                              ;   in Loop: Header=BB4_128 Depth=2
	s_delay_alu instid0(SALU_CYCLE_1) | instskip(NEXT) | instid1(VALU_DEP_1)
	s_or_b32 exec_lo, exec_lo, s10
	v_mul_f32_e32 v116, v116, v64
                                        ; implicit-def: $vgpr46
	s_mov_b32 s10, exec_lo
	s_delay_alu instid0(VALU_DEP_1) | instskip(SKIP_1) | instid1(VALU_DEP_2)
	v_and_b32_e32 v64, 0x7f800000, v116
	v_lshrrev_b32_e32 v117, 24, v116
	v_cmpx_ne_u64_e32 0x7f800000, v[64:65]
	s_xor_b32 s27, exec_lo, s10
	s_cbranch_execz .LBB4_154
; %bb.141:                              ;   in Loop: Header=BB4_128 Depth=2
	v_and_b32_e32 v64, 0x7fffffff, v116
	v_and_b32_e32 v47, 0x80, v117
                                        ; implicit-def: $vgpr46
	s_mov_b32 s10, exec_lo
	s_delay_alu instid0(VALU_DEP_2)
	v_cmpx_gt_u64_e32 0x43e00001, v[64:65]
	s_xor_b32 s28, exec_lo, s10
	s_cbranch_execz .LBB4_151
; %bb.142:                              ;   in Loop: Header=BB4_128 Depth=2
	v_mov_b32_e32 v46, 0
	s_mov_b32 s29, exec_lo
	v_cmpx_ne_u32_e32 0, v116
	s_cbranch_execz .LBB4_150
; %bb.143:                              ;   in Loop: Header=BB4_128 Depth=2
	v_bfe_u32 v46, v116, 23, 8
	s_delay_alu instid0(VALU_DEP_1) | instskip(SKIP_1) | instid1(VALU_DEP_2)
	v_sub_nc_u32_e32 v64, 0x79, v46
	v_cmp_gt_u32_e32 vcc_lo, 0x7a, v46
	v_cndmask_b32_e32 v64, 0, v64, vcc_lo
	v_cmp_eq_u32_e32 vcc_lo, 0, v46
	s_delay_alu instid0(VALU_DEP_2) | instskip(SKIP_1) | instid1(VALU_DEP_2)
	v_cndmask_b32_e64 v56, v64, 0x78, vcc_lo
	v_and_b32_e32 v64, 0x7fffff, v116
	v_dual_add_nc_u32 v116, 20, v56 :: v_dual_add_nc_u32 v119, 19, v56
	s_delay_alu instid0(VALU_DEP_2) | instskip(NEXT) | instid1(VALU_DEP_2)
	v_or_b32_e32 v118, 0x800000, v64
	v_lshlrev_b64_e64 v[116:117], v116, -1
	s_delay_alu instid0(VALU_DEP_2) | instskip(NEXT) | instid1(VALU_DEP_4)
	v_cndmask_b32_e32 v64, v118, v64, vcc_lo
	v_lshlrev_b64_e64 v[118:119], v119, 1
	s_delay_alu instid0(VALU_DEP_3) | instskip(NEXT) | instid1(VALU_DEP_3)
	v_bfi_b32 v59, v117, 0, 0
	v_bfi_b32 v58, v116, 0, v64
	v_lshrrev_b64 v[116:117], v56, v[64:65]
	s_delay_alu instid0(VALU_DEP_2) | instskip(NEXT) | instid1(VALU_DEP_2)
	v_cmp_eq_u64_e64 s10, v[58:59], v[118:119]
	v_mov_b64_e32 v[118:119], v[116:117]
	s_and_saveexec_b32 s40, s10
; %bb.144:                              ;   in Loop: Header=BB4_128 Depth=2
	v_bfe_u32 v64, v116, 20, 1
	s_delay_alu instid0(VALU_DEP_1) | instskip(NEXT) | instid1(VALU_DEP_1)
	v_add_nc_u64_e32 v[118:119], v[116:117], v[64:65]
	v_add_nc_u64_e32 v[118:119], -1, v[118:119]
; %bb.145:                              ;   in Loop: Header=BB4_128 Depth=2
	s_or_b32 exec_lo, exec_lo, s40
	v_add_nc_u32_e32 v64, 0xffffff81, v46
	v_lshrrev_b32_e32 v117, 23, v116
	s_mov_b32 s10, exec_lo
	s_delay_alu instid0(VALU_DEP_2) | instskip(NEXT) | instid1(VALU_DEP_1)
	v_cndmask_b32_e64 v64, v64, 0xffffff82, vcc_lo
	v_add3_u32 v119, v56, v64, v117
	v_and_b32_e32 v64, 0xfffff, v118
                                        ; implicit-def: $vgpr118
	s_delay_alu instid0(VALU_DEP_1) | instskip(NEXT) | instid1(VALU_DEP_1)
	v_dual_add_nc_u32 v46, 6, v119 :: v_dual_add_nc_u32 v64, v64, v116
                                        ; implicit-def: $vgpr116_vgpr117
	v_cmpx_ne_u32_e32 0, v46
	s_xor_b32 s10, exec_lo, s10
; %bb.146:                              ;   in Loop: Header=BB4_128 Depth=2
	s_delay_alu instid0(VALU_DEP_2) | instskip(SKIP_1) | instid1(VALU_DEP_1)
	v_cmp_lt_u64_e32 vcc_lo, 0xffffff, v[64:65]
	v_add_nc_u32_e32 v116, 7, v119
	v_cndmask_b32_e32 v118, v46, v116, vcc_lo
	v_cndmask_b32_e64 v116, 0, 1, vcc_lo
	s_delay_alu instid0(VALU_DEP_1)
	v_lshrrev_b64 v[116:117], v116, v[64:65]
; %bb.147:                              ;   in Loop: Header=BB4_128 Depth=2
	s_and_not1_saveexec_b32 s10, s10
; %bb.148:                              ;   in Loop: Header=BB4_128 Depth=2
	v_mov_b64_e32 v[116:117], v[64:65]
	v_bfe_u32 v118, v64, 23, 1
; %bb.149:                              ;   in Loop: Header=BB4_128 Depth=2
	s_or_b32 exec_lo, exec_lo, s10
	s_delay_alu instid0(VALU_DEP_2) | instskip(NEXT) | instid1(VALU_DEP_2)
	v_lshrrev_b64 v[116:117], 20, v[116:117]
	v_cmp_gt_i32_e32 vcc_lo, 16, v118
	v_min_i32_e32 v64, 15, v118
	v_cmp_eq_u32_e64 s10, 0, v118
	s_delay_alu instid0(VALU_DEP_2) | instskip(SKIP_1) | instid1(VALU_DEP_2)
	v_dual_cndmask_b32 v117, 0, v117 :: v_dual_lshlrev_b32 v64, 3, v64
	v_cndmask_b32_e32 v116, 7, v116, vcc_lo
	v_and_b32_e32 v64, 0xf8, v64
	s_delay_alu instid0(VALU_DEP_2) | instskip(NEXT) | instid1(VALU_DEP_2)
	v_cmp_eq_u64_e32 vcc_lo, 0, v[116:117]
	v_and_or_b32 v64, v116, 7, v64
	s_and_b32 s10, s10, vcc_lo
	s_delay_alu instid0(VALU_DEP_1) | instid1(SALU_CYCLE_1)
	v_cndmask_b32_e64 v64, v64, 0, s10
	s_delay_alu instid0(VALU_DEP_1)
	v_or_b32_e32 v46, v64, v47
.LBB4_150:                              ;   in Loop: Header=BB4_128 Depth=2
	s_or_b32 exec_lo, exec_lo, s29
                                        ; implicit-def: $vgpr47
.LBB4_151:                              ;   in Loop: Header=BB4_128 Depth=2
	s_and_not1_saveexec_b32 s10, s28
; %bb.152:                              ;   in Loop: Header=BB4_128 Depth=2
	v_or_b32_e32 v46, 0x7e, v47
; %bb.153:                              ;   in Loop: Header=BB4_128 Depth=2
	s_or_b32 exec_lo, exec_lo, s10
                                        ; implicit-def: $vgpr117
.LBB4_154:                              ;   in Loop: Header=BB4_128 Depth=2
	s_and_not1_saveexec_b32 s10, s27
; %bb.155:                              ;   in Loop: Header=BB4_128 Depth=2
	v_or_b32_e32 v46, 0x7f, v117
; %bb.156:                              ;   in Loop: Header=BB4_128 Depth=2
	s_or_b32 exec_lo, exec_lo, s10
	v_lshrrev_b16 v64, 8, v22
	v_dual_mov_b32 v116, 0 :: v_dual_mov_b32 v117, 0
	s_mov_b32 s10, exec_lo
	s_delay_alu instid0(VALU_DEP_2)
	v_cmpx_ne_u16_e32 0, v64
	s_cbranch_execz .LBB4_164
; %bb.157:                              ;   in Loop: Header=BB4_128 Depth=2
	v_bfrev_b32_e32 v117, 1
	s_mov_b32 s27, exec_lo
	v_cmpx_ne_u16_e32 0x80, v64
	s_cbranch_execz .LBB4_163
; %bb.158:                              ;   in Loop: Header=BB4_128 Depth=2
	v_and_b32_e32 v64, 0xffff, v64
	v_mov_b32_e32 v117, 0x7f800001
	s_mov_b32 s28, exec_lo
	s_delay_alu instid0(VALU_DEP_2) | instskip(NEXT) | instid1(VALU_DEP_1)
	v_and_b32_e32 v118, 0x7f, v64
	v_cmpx_ne_u32_e32 0x7f, v118
	s_cbranch_execz .LBB4_162
; %bb.159:                              ;   in Loop: Header=BB4_128 Depth=2
	v_dual_lshrrev_b32 v117, 3, v118 :: v_dual_bitop2_b32 v64, 7, v64 bitop3:0x40
	s_mov_b32 s29, exec_lo
	v_cmpx_gt_u32_e32 8, v118
; %bb.160:                              ;   in Loop: Header=BB4_128 Depth=2
	s_delay_alu instid0(VALU_DEP_2) | instskip(NEXT) | instid1(VALU_DEP_1)
	v_clz_i32_u32_e32 v117, v64
	v_min_u32_e32 v117, 32, v117
	s_delay_alu instid0(VALU_DEP_1) | instskip(NEXT) | instid1(VALU_DEP_1)
	v_subrev_nc_u32_e32 v118, 28, v117
	v_lshlrev_b64_e32 v[118:119], v118, v[64:65]
	s_delay_alu instid0(VALU_DEP_1)
	v_dual_sub_nc_u32 v117, 29, v117 :: v_dual_bitop2_b32 v64, 7, v118 bitop3:0x40
; %bb.161:                              ;   in Loop: Header=BB4_128 Depth=2
	s_or_b32 exec_lo, exec_lo, s29
	s_delay_alu instid0(VALU_DEP_1) | instskip(NEXT) | instid1(VALU_DEP_2)
	v_dual_lshlrev_b32 v118, 16, v22 :: v_dual_lshlrev_b32 v64, 20, v64
	v_lshl_add_u32 v117, v117, 23, 0x3c000000
	s_delay_alu instid0(VALU_DEP_2) | instskip(NEXT) | instid1(VALU_DEP_1)
	v_and_b32_e32 v118, 0x80000000, v118
	v_or3_b32 v117, v64, v118, v117
.LBB4_162:                              ;   in Loop: Header=BB4_128 Depth=2
	s_or_b32 exec_lo, exec_lo, s28
.LBB4_163:                              ;   in Loop: Header=BB4_128 Depth=2
	s_delay_alu instid0(SALU_CYCLE_1)
	s_or_b32 exec_lo, exec_lo, s27
.LBB4_164:                              ;   in Loop: Header=BB4_128 Depth=2
	s_delay_alu instid0(SALU_CYCLE_1) | instskip(SKIP_2) | instid1(VALU_DEP_1)
	s_or_b32 exec_lo, exec_lo, s10
	v_lshrrev_b16 v64, 8, v18
	s_mov_b32 s10, exec_lo
	v_cmpx_ne_u16_e32 0, v64
	s_cbranch_execz .LBB4_172
; %bb.165:                              ;   in Loop: Header=BB4_128 Depth=2
	v_bfrev_b32_e32 v116, 1
	s_mov_b32 s27, exec_lo
	v_cmpx_ne_u16_e32 0x80, v64
	s_cbranch_execz .LBB4_171
; %bb.166:                              ;   in Loop: Header=BB4_128 Depth=2
	v_and_b32_e32 v64, 0xffff, v64
	v_mov_b32_e32 v116, 0x7f800001
	s_mov_b32 s28, exec_lo
	s_delay_alu instid0(VALU_DEP_2) | instskip(NEXT) | instid1(VALU_DEP_1)
	v_and_b32_e32 v118, 0x7f, v64
	v_cmpx_ne_u32_e32 0x7f, v118
	s_cbranch_execz .LBB4_170
; %bb.167:                              ;   in Loop: Header=BB4_128 Depth=2
	v_dual_lshrrev_b32 v116, 3, v118 :: v_dual_bitop2_b32 v64, 7, v64 bitop3:0x40
	s_mov_b32 s29, exec_lo
	v_cmpx_gt_u32_e32 8, v118
; %bb.168:                              ;   in Loop: Header=BB4_128 Depth=2
	s_delay_alu instid0(VALU_DEP_2) | instskip(NEXT) | instid1(VALU_DEP_1)
	v_clz_i32_u32_e32 v116, v64
	v_min_u32_e32 v116, 32, v116
	s_delay_alu instid0(VALU_DEP_1) | instskip(NEXT) | instid1(VALU_DEP_1)
	v_subrev_nc_u32_e32 v118, 28, v116
	v_lshlrev_b64_e32 v[118:119], v118, v[64:65]
	s_delay_alu instid0(VALU_DEP_1)
	v_dual_sub_nc_u32 v116, 29, v116 :: v_dual_bitop2_b32 v64, 7, v118 bitop3:0x40
; %bb.169:                              ;   in Loop: Header=BB4_128 Depth=2
	s_or_b32 exec_lo, exec_lo, s29
	s_delay_alu instid0(VALU_DEP_1) | instskip(NEXT) | instid1(VALU_DEP_2)
	v_dual_lshlrev_b32 v118, 16, v18 :: v_dual_lshlrev_b32 v64, 20, v64
	v_lshl_add_u32 v116, v116, 23, 0x3c000000
	s_delay_alu instid0(VALU_DEP_2) | instskip(NEXT) | instid1(VALU_DEP_1)
	v_and_b32_e32 v118, 0x80000000, v118
	v_or3_b32 v116, v64, v118, v116
.LBB4_170:                              ;   in Loop: Header=BB4_128 Depth=2
	s_or_b32 exec_lo, exec_lo, s28
.LBB4_171:                              ;   in Loop: Header=BB4_128 Depth=2
	s_delay_alu instid0(SALU_CYCLE_1)
	s_or_b32 exec_lo, exec_lo, s27
.LBB4_172:                              ;   in Loop: Header=BB4_128 Depth=2
	s_delay_alu instid0(SALU_CYCLE_1) | instskip(NEXT) | instid1(VALU_DEP_1)
	s_or_b32 exec_lo, exec_lo, s10
	v_mul_f32_e32 v116, v117, v116
                                        ; implicit-def: $vgpr47
	s_mov_b32 s10, exec_lo
	s_delay_alu instid0(VALU_DEP_1) | instskip(SKIP_1) | instid1(VALU_DEP_2)
	v_and_b32_e32 v64, 0x7f800000, v116
	v_lshrrev_b32_e32 v117, 24, v116
	v_cmpx_ne_u64_e32 0x7f800000, v[64:65]
	s_xor_b32 s27, exec_lo, s10
	s_cbranch_execz .LBB4_186
; %bb.173:                              ;   in Loop: Header=BB4_128 Depth=2
	v_and_b32_e32 v64, 0x7fffffff, v116
	v_and_b32_e32 v56, 0x80, v117
                                        ; implicit-def: $vgpr47
	s_mov_b32 s10, exec_lo
	s_delay_alu instid0(VALU_DEP_2)
	v_cmpx_gt_u64_e32 0x43e00001, v[64:65]
	s_xor_b32 s28, exec_lo, s10
	s_cbranch_execz .LBB4_183
; %bb.174:                              ;   in Loop: Header=BB4_128 Depth=2
	v_mov_b32_e32 v47, 0
	s_mov_b32 s29, exec_lo
	v_cmpx_ne_u32_e32 0, v116
	s_cbranch_execz .LBB4_182
; %bb.175:                              ;   in Loop: Header=BB4_128 Depth=2
	v_bfe_u32 v47, v116, 23, 8
	s_delay_alu instid0(VALU_DEP_1) | instskip(SKIP_1) | instid1(VALU_DEP_2)
	v_sub_nc_u32_e32 v64, 0x79, v47
	v_cmp_gt_u32_e32 vcc_lo, 0x7a, v47
	v_cndmask_b32_e32 v64, 0, v64, vcc_lo
	v_cmp_eq_u32_e32 vcc_lo, 0, v47
	s_delay_alu instid0(VALU_DEP_2) | instskip(SKIP_1) | instid1(VALU_DEP_2)
	v_cndmask_b32_e64 v57, v64, 0x78, vcc_lo
	v_and_b32_e32 v64, 0x7fffff, v116
	v_add_nc_u32_e32 v116, 20, v57
	s_delay_alu instid0(VALU_DEP_2) | instskip(SKIP_1) | instid1(VALU_DEP_3)
	v_or_b32_e32 v118, 0x800000, v64
	v_add_nc_u32_e32 v119, 19, v57
	v_lshlrev_b64_e64 v[116:117], v116, -1
	s_delay_alu instid0(VALU_DEP_3) | instskip(NEXT) | instid1(VALU_DEP_3)
	v_cndmask_b32_e32 v64, v118, v64, vcc_lo
	v_lshlrev_b64_e64 v[118:119], v119, 1
	s_delay_alu instid0(VALU_DEP_3) | instskip(NEXT) | instid1(VALU_DEP_3)
	v_bfi_b32 v59, v117, 0, 0
	v_bfi_b32 v58, v116, 0, v64
	v_lshrrev_b64 v[116:117], v57, v[64:65]
	s_delay_alu instid0(VALU_DEP_2) | instskip(NEXT) | instid1(VALU_DEP_2)
	v_cmp_eq_u64_e64 s10, v[58:59], v[118:119]
	v_mov_b64_e32 v[118:119], v[116:117]
	s_and_saveexec_b32 s40, s10
; %bb.176:                              ;   in Loop: Header=BB4_128 Depth=2
	v_bfe_u32 v64, v116, 20, 1
	s_delay_alu instid0(VALU_DEP_1) | instskip(NEXT) | instid1(VALU_DEP_1)
	v_add_nc_u64_e32 v[118:119], v[116:117], v[64:65]
	v_add_nc_u64_e32 v[118:119], -1, v[118:119]
; %bb.177:                              ;   in Loop: Header=BB4_128 Depth=2
	s_or_b32 exec_lo, exec_lo, s40
	v_add_nc_u32_e32 v64, 0xffffff81, v47
	v_lshrrev_b32_e32 v117, 23, v116
	s_mov_b32 s10, exec_lo
	s_delay_alu instid0(VALU_DEP_2) | instskip(NEXT) | instid1(VALU_DEP_1)
	v_cndmask_b32_e64 v64, v64, 0xffffff82, vcc_lo
	v_add3_u32 v119, v57, v64, v117
	v_and_b32_e32 v64, 0xfffff, v118
                                        ; implicit-def: $vgpr118
	s_delay_alu instid0(VALU_DEP_1) | instskip(NEXT) | instid1(VALU_DEP_1)
	v_dual_add_nc_u32 v47, 6, v119 :: v_dual_add_nc_u32 v64, v64, v116
                                        ; implicit-def: $vgpr116_vgpr117
	v_cmpx_ne_u32_e32 0, v47
	s_xor_b32 s10, exec_lo, s10
; %bb.178:                              ;   in Loop: Header=BB4_128 Depth=2
	s_delay_alu instid0(VALU_DEP_2) | instskip(SKIP_1) | instid1(VALU_DEP_1)
	v_cmp_lt_u64_e32 vcc_lo, 0xffffff, v[64:65]
	v_add_nc_u32_e32 v116, 7, v119
	v_cndmask_b32_e32 v118, v47, v116, vcc_lo
	v_cndmask_b32_e64 v116, 0, 1, vcc_lo
	s_delay_alu instid0(VALU_DEP_1)
	v_lshrrev_b64 v[116:117], v116, v[64:65]
; %bb.179:                              ;   in Loop: Header=BB4_128 Depth=2
	s_and_not1_saveexec_b32 s10, s10
; %bb.180:                              ;   in Loop: Header=BB4_128 Depth=2
	v_mov_b64_e32 v[116:117], v[64:65]
	v_bfe_u32 v118, v64, 23, 1
; %bb.181:                              ;   in Loop: Header=BB4_128 Depth=2
	s_or_b32 exec_lo, exec_lo, s10
	s_delay_alu instid0(VALU_DEP_2) | instskip(NEXT) | instid1(VALU_DEP_2)
	v_lshrrev_b64 v[116:117], 20, v[116:117]
	v_cmp_gt_i32_e32 vcc_lo, 16, v118
	v_min_i32_e32 v64, 15, v118
	v_cmp_eq_u32_e64 s10, 0, v118
	s_delay_alu instid0(VALU_DEP_2) | instskip(SKIP_1) | instid1(VALU_DEP_2)
	v_dual_cndmask_b32 v117, 0, v117 :: v_dual_lshlrev_b32 v64, 3, v64
	v_cndmask_b32_e32 v116, 7, v116, vcc_lo
	v_and_b32_e32 v64, 0xf8, v64
	s_delay_alu instid0(VALU_DEP_2) | instskip(NEXT) | instid1(VALU_DEP_2)
	v_cmp_eq_u64_e32 vcc_lo, 0, v[116:117]
	v_and_or_b32 v64, v116, 7, v64
	s_and_b32 s10, s10, vcc_lo
	s_delay_alu instid0(VALU_DEP_1) | instid1(SALU_CYCLE_1)
	v_cndmask_b32_e64 v64, v64, 0, s10
	s_delay_alu instid0(VALU_DEP_1)
	v_or_b32_e32 v47, v64, v56
.LBB4_182:                              ;   in Loop: Header=BB4_128 Depth=2
	s_or_b32 exec_lo, exec_lo, s29
                                        ; implicit-def: $vgpr56
.LBB4_183:                              ;   in Loop: Header=BB4_128 Depth=2
	s_and_not1_saveexec_b32 s10, s28
; %bb.184:                              ;   in Loop: Header=BB4_128 Depth=2
	v_or_b32_e32 v47, 0x7e, v56
; %bb.185:                              ;   in Loop: Header=BB4_128 Depth=2
	s_or_b32 exec_lo, exec_lo, s10
                                        ; implicit-def: $vgpr117
.LBB4_186:                              ;   in Loop: Header=BB4_128 Depth=2
	s_and_not1_saveexec_b32 s10, s27
; %bb.187:                              ;   in Loop: Header=BB4_128 Depth=2
	v_or_b32_e32 v47, 0x7f, v117
; %bb.188:                              ;   in Loop: Header=BB4_128 Depth=2
	s_or_b32 exec_lo, exec_lo, s10
	v_dual_lshrrev_b32 v118, 16, v22 :: v_dual_mov_b32 v116, 0
	v_mov_b32_e32 v117, 0
	s_mov_b32 s10, exec_lo
	s_delay_alu instid0(VALU_DEP_2) | instskip(NEXT) | instid1(VALU_DEP_1)
	v_and_b32_e32 v64, 0xff, v118
	v_cmpx_ne_u16_e32 0, v64
	s_cbranch_execz .LBB4_196
; %bb.189:                              ;   in Loop: Header=BB4_128 Depth=2
	v_bfrev_b32_e32 v117, 1
	s_mov_b32 s27, exec_lo
	v_cmpx_ne_u16_e32 0x80, v64
	s_cbranch_execz .LBB4_195
; %bb.190:                              ;   in Loop: Header=BB4_128 Depth=2
	v_bfe_u32 v119, v22, 16, 7
	v_mov_b32_e32 v117, 0x7f800001
	s_mov_b32 s28, exec_lo
	s_delay_alu instid0(VALU_DEP_2)
	v_cmpx_ne_u32_e32 0x7f, v119
	s_cbranch_execz .LBB4_194
; %bb.191:                              ;   in Loop: Header=BB4_128 Depth=2
	v_dual_lshrrev_b32 v117, 3, v119 :: v_dual_bitop2_b32 v64, 7, v118 bitop3:0x40
	s_mov_b32 s29, exec_lo
	v_cmpx_gt_u32_e32 8, v119
; %bb.192:                              ;   in Loop: Header=BB4_128 Depth=2
	s_delay_alu instid0(VALU_DEP_2) | instskip(NEXT) | instid1(VALU_DEP_1)
	v_clz_i32_u32_e32 v117, v64
	v_min_u32_e32 v117, 32, v117
	s_delay_alu instid0(VALU_DEP_1) | instskip(NEXT) | instid1(VALU_DEP_1)
	v_subrev_nc_u32_e32 v119, 28, v117
	v_lshlrev_b64_e32 v[56:57], v119, v[64:65]
	s_delay_alu instid0(VALU_DEP_1)
	v_dual_sub_nc_u32 v117, 29, v117 :: v_dual_bitop2_b32 v64, 7, v56 bitop3:0x40
; %bb.193:                              ;   in Loop: Header=BB4_128 Depth=2
	s_or_b32 exec_lo, exec_lo, s29
	s_delay_alu instid0(VALU_DEP_1) | instskip(NEXT) | instid1(VALU_DEP_2)
	v_dual_lshlrev_b32 v118, 24, v118 :: v_dual_lshlrev_b32 v64, 20, v64
	v_lshl_add_u32 v117, v117, 23, 0x3c000000
	s_delay_alu instid0(VALU_DEP_2) | instskip(NEXT) | instid1(VALU_DEP_1)
	v_and_b32_e32 v118, 0x80000000, v118
	v_or3_b32 v117, v64, v118, v117
.LBB4_194:                              ;   in Loop: Header=BB4_128 Depth=2
	s_or_b32 exec_lo, exec_lo, s28
.LBB4_195:                              ;   in Loop: Header=BB4_128 Depth=2
	s_delay_alu instid0(SALU_CYCLE_1)
	s_or_b32 exec_lo, exec_lo, s27
.LBB4_196:                              ;   in Loop: Header=BB4_128 Depth=2
	s_delay_alu instid0(SALU_CYCLE_1) | instskip(SKIP_2) | instid1(VALU_DEP_1)
	s_or_b32 exec_lo, exec_lo, s10
	v_lshrrev_b32_e32 v64, 16, v18
	s_mov_b32 s10, exec_lo
	v_and_b32_e32 v118, 0xff, v64
	s_delay_alu instid0(VALU_DEP_1)
	v_cmpx_ne_u16_e32 0, v118
	s_cbranch_execz .LBB4_204
; %bb.197:                              ;   in Loop: Header=BB4_128 Depth=2
	v_bfrev_b32_e32 v116, 1
	s_mov_b32 s27, exec_lo
	v_cmpx_ne_u16_e32 0x80, v118
	s_cbranch_execz .LBB4_203
; %bb.198:                              ;   in Loop: Header=BB4_128 Depth=2
	v_bfe_u32 v118, v18, 16, 7
	v_mov_b32_e32 v116, 0x7f800001
	s_mov_b32 s28, exec_lo
	s_delay_alu instid0(VALU_DEP_2)
	v_cmpx_ne_u32_e32 0x7f, v118
	s_cbranch_execz .LBB4_202
; %bb.199:                              ;   in Loop: Header=BB4_128 Depth=2
	v_dual_lshrrev_b32 v116, 3, v118 :: v_dual_bitop2_b32 v64, 7, v64 bitop3:0x40
	s_mov_b32 s29, exec_lo
	v_cmpx_gt_u32_e32 8, v118
; %bb.200:                              ;   in Loop: Header=BB4_128 Depth=2
	s_delay_alu instid0(VALU_DEP_2) | instskip(NEXT) | instid1(VALU_DEP_1)
	v_clz_i32_u32_e32 v116, v64
	v_min_u32_e32 v116, 32, v116
	s_delay_alu instid0(VALU_DEP_1) | instskip(NEXT) | instid1(VALU_DEP_1)
	v_subrev_nc_u32_e32 v118, 28, v116
	v_lshlrev_b64_e32 v[118:119], v118, v[64:65]
	s_delay_alu instid0(VALU_DEP_1)
	v_dual_sub_nc_u32 v116, 29, v116 :: v_dual_bitop2_b32 v64, 7, v118 bitop3:0x40
; %bb.201:                              ;   in Loop: Header=BB4_128 Depth=2
	s_or_b32 exec_lo, exec_lo, s29
	s_delay_alu instid0(VALU_DEP_1) | instskip(NEXT) | instid1(VALU_DEP_2)
	v_dual_lshlrev_b32 v118, 8, v18 :: v_dual_lshlrev_b32 v64, 20, v64
	v_lshl_add_u32 v116, v116, 23, 0x3c000000
	s_delay_alu instid0(VALU_DEP_2) | instskip(NEXT) | instid1(VALU_DEP_1)
	v_and_b32_e32 v118, 0x80000000, v118
	v_or3_b32 v116, v64, v118, v116
.LBB4_202:                              ;   in Loop: Header=BB4_128 Depth=2
	s_or_b32 exec_lo, exec_lo, s28
.LBB4_203:                              ;   in Loop: Header=BB4_128 Depth=2
	s_delay_alu instid0(SALU_CYCLE_1)
	s_or_b32 exec_lo, exec_lo, s27
.LBB4_204:                              ;   in Loop: Header=BB4_128 Depth=2
	s_delay_alu instid0(SALU_CYCLE_1) | instskip(NEXT) | instid1(VALU_DEP_1)
	s_or_b32 exec_lo, exec_lo, s10
	v_mul_f32_e32 v116, v117, v116
                                        ; implicit-def: $vgpr56
	s_mov_b32 s10, exec_lo
	s_delay_alu instid0(VALU_DEP_1) | instskip(SKIP_1) | instid1(VALU_DEP_2)
	v_and_b32_e32 v64, 0x7f800000, v116
	v_lshrrev_b32_e32 v117, 24, v116
	v_cmpx_ne_u64_e32 0x7f800000, v[64:65]
	s_xor_b32 s27, exec_lo, s10
	s_cbranch_execz .LBB4_218
; %bb.205:                              ;   in Loop: Header=BB4_128 Depth=2
	v_and_b32_e32 v64, 0x7fffffff, v116
	v_and_b32_e32 v57, 0x80, v117
                                        ; implicit-def: $vgpr56
	s_mov_b32 s10, exec_lo
	s_delay_alu instid0(VALU_DEP_2)
	v_cmpx_gt_u64_e32 0x43e00001, v[64:65]
	s_xor_b32 s28, exec_lo, s10
	s_cbranch_execz .LBB4_215
; %bb.206:                              ;   in Loop: Header=BB4_128 Depth=2
	v_mov_b32_e32 v56, 0
	s_mov_b32 s29, exec_lo
	v_cmpx_ne_u32_e32 0, v116
	s_cbranch_execz .LBB4_214
; %bb.207:                              ;   in Loop: Header=BB4_128 Depth=2
	v_bfe_u32 v56, v116, 23, 8
	s_delay_alu instid0(VALU_DEP_1) | instskip(SKIP_1) | instid1(VALU_DEP_2)
	v_sub_nc_u32_e32 v64, 0x79, v56
	v_cmp_gt_u32_e32 vcc_lo, 0x7a, v56
	v_cndmask_b32_e32 v64, 0, v64, vcc_lo
	v_cmp_eq_u32_e32 vcc_lo, 0, v56
	s_delay_alu instid0(VALU_DEP_2) | instskip(SKIP_1) | instid1(VALU_DEP_2)
	v_cndmask_b32_e64 v58, v64, 0x78, vcc_lo
	v_and_b32_e32 v64, 0x7fffff, v116
	v_add_nc_u32_e32 v116, 20, v58
	s_delay_alu instid0(VALU_DEP_2) | instskip(SKIP_1) | instid1(VALU_DEP_3)
	v_or_b32_e32 v118, 0x800000, v64
	v_add_nc_u32_e32 v119, 19, v58
	v_lshlrev_b64_e64 v[116:117], v116, -1
	s_delay_alu instid0(VALU_DEP_3) | instskip(NEXT) | instid1(VALU_DEP_3)
	v_cndmask_b32_e32 v64, v118, v64, vcc_lo
	v_lshlrev_b64_e64 v[118:119], v119, 1
	s_delay_alu instid0(VALU_DEP_3) | instskip(NEXT) | instid1(VALU_DEP_3)
	v_bfi_b32 v61, v117, 0, 0
	v_bfi_b32 v60, v116, 0, v64
	v_lshrrev_b64 v[116:117], v58, v[64:65]
	s_delay_alu instid0(VALU_DEP_2) | instskip(NEXT) | instid1(VALU_DEP_2)
	v_cmp_eq_u64_e64 s10, v[60:61], v[118:119]
	v_mov_b64_e32 v[118:119], v[116:117]
	s_and_saveexec_b32 s40, s10
; %bb.208:                              ;   in Loop: Header=BB4_128 Depth=2
	v_bfe_u32 v64, v116, 20, 1
	s_delay_alu instid0(VALU_DEP_1) | instskip(NEXT) | instid1(VALU_DEP_1)
	v_add_nc_u64_e32 v[118:119], v[116:117], v[64:65]
	v_add_nc_u64_e32 v[118:119], -1, v[118:119]
; %bb.209:                              ;   in Loop: Header=BB4_128 Depth=2
	s_or_b32 exec_lo, exec_lo, s40
	v_add_nc_u32_e32 v64, 0xffffff81, v56
	v_lshrrev_b32_e32 v117, 23, v116
	s_mov_b32 s10, exec_lo
	s_delay_alu instid0(VALU_DEP_2) | instskip(NEXT) | instid1(VALU_DEP_1)
	v_cndmask_b32_e64 v64, v64, 0xffffff82, vcc_lo
	v_add3_u32 v119, v58, v64, v117
	v_and_b32_e32 v64, 0xfffff, v118
                                        ; implicit-def: $vgpr118
	s_delay_alu instid0(VALU_DEP_1) | instskip(NEXT) | instid1(VALU_DEP_1)
	v_dual_add_nc_u32 v56, 6, v119 :: v_dual_add_nc_u32 v64, v64, v116
                                        ; implicit-def: $vgpr116_vgpr117
	v_cmpx_ne_u32_e32 0, v56
	s_xor_b32 s10, exec_lo, s10
; %bb.210:                              ;   in Loop: Header=BB4_128 Depth=2
	s_delay_alu instid0(VALU_DEP_2) | instskip(SKIP_1) | instid1(VALU_DEP_1)
	v_cmp_lt_u64_e32 vcc_lo, 0xffffff, v[64:65]
	v_add_nc_u32_e32 v116, 7, v119
	v_cndmask_b32_e32 v118, v56, v116, vcc_lo
	v_cndmask_b32_e64 v116, 0, 1, vcc_lo
	s_delay_alu instid0(VALU_DEP_1)
	v_lshrrev_b64 v[116:117], v116, v[64:65]
; %bb.211:                              ;   in Loop: Header=BB4_128 Depth=2
	s_and_not1_saveexec_b32 s10, s10
; %bb.212:                              ;   in Loop: Header=BB4_128 Depth=2
	v_mov_b64_e32 v[116:117], v[64:65]
	v_bfe_u32 v118, v64, 23, 1
; %bb.213:                              ;   in Loop: Header=BB4_128 Depth=2
	s_or_b32 exec_lo, exec_lo, s10
	s_delay_alu instid0(VALU_DEP_2) | instskip(NEXT) | instid1(VALU_DEP_2)
	v_lshrrev_b64 v[116:117], 20, v[116:117]
	v_cmp_gt_i32_e32 vcc_lo, 16, v118
	v_min_i32_e32 v64, 15, v118
	v_cmp_eq_u32_e64 s10, 0, v118
	s_delay_alu instid0(VALU_DEP_2) | instskip(SKIP_1) | instid1(VALU_DEP_2)
	v_dual_cndmask_b32 v117, 0, v117 :: v_dual_lshlrev_b32 v64, 3, v64
	v_cndmask_b32_e32 v116, 7, v116, vcc_lo
	v_and_b32_e32 v64, 0xf8, v64
	s_delay_alu instid0(VALU_DEP_2) | instskip(NEXT) | instid1(VALU_DEP_2)
	v_cmp_eq_u64_e32 vcc_lo, 0, v[116:117]
	v_and_or_b32 v64, v116, 7, v64
	s_and_b32 s10, s10, vcc_lo
	s_delay_alu instid0(VALU_DEP_1) | instid1(SALU_CYCLE_1)
	v_cndmask_b32_e64 v64, v64, 0, s10
	s_delay_alu instid0(VALU_DEP_1)
	v_or_b32_e32 v56, v64, v57
.LBB4_214:                              ;   in Loop: Header=BB4_128 Depth=2
	s_or_b32 exec_lo, exec_lo, s29
                                        ; implicit-def: $vgpr57
.LBB4_215:                              ;   in Loop: Header=BB4_128 Depth=2
	s_and_not1_saveexec_b32 s10, s28
; %bb.216:                              ;   in Loop: Header=BB4_128 Depth=2
	v_or_b32_e32 v56, 0x7e, v57
; %bb.217:                              ;   in Loop: Header=BB4_128 Depth=2
	s_or_b32 exec_lo, exec_lo, s10
                                        ; implicit-def: $vgpr117
.LBB4_218:                              ;   in Loop: Header=BB4_128 Depth=2
	s_and_not1_saveexec_b32 s10, s27
; %bb.219:                              ;   in Loop: Header=BB4_128 Depth=2
	v_or_b32_e32 v56, 0x7f, v117
; %bb.220:                              ;   in Loop: Header=BB4_128 Depth=2
	s_or_b32 exec_lo, exec_lo, s10
	v_dual_mov_b32 v116, 0 :: v_dual_mov_b32 v117, 0
	s_mov_b32 s10, exec_lo
	v_cmpx_lt_u32_e32 0xffffff, v22
	s_cbranch_execz .LBB4_228
; %bb.221:                              ;   in Loop: Header=BB4_128 Depth=2
	v_lshrrev_b32_e32 v118, 24, v22
	v_bfrev_b32_e32 v117, 1
	s_mov_b32 s27, exec_lo
	s_delay_alu instid0(VALU_DEP_2)
	v_cmpx_ne_u32_e32 0x80, v118
	s_cbranch_execz .LBB4_227
; %bb.222:                              ;   in Loop: Header=BB4_128 Depth=2
	v_bfe_u32 v119, v22, 24, 7
	v_mov_b32_e32 v117, 0x7f800001
	s_mov_b32 s28, exec_lo
	s_delay_alu instid0(VALU_DEP_2)
	v_cmpx_ne_u32_e32 0x7f, v119
	s_cbranch_execz .LBB4_226
; %bb.223:                              ;   in Loop: Header=BB4_128 Depth=2
	v_dual_lshrrev_b32 v117, 3, v119 :: v_dual_bitop2_b32 v64, 7, v118 bitop3:0x40
	s_mov_b32 s29, exec_lo
	v_cmpx_gt_u32_e32 8, v119
; %bb.224:                              ;   in Loop: Header=BB4_128 Depth=2
	s_delay_alu instid0(VALU_DEP_2) | instskip(NEXT) | instid1(VALU_DEP_1)
	v_clz_i32_u32_e32 v117, v64
	v_min_u32_e32 v117, 32, v117
	s_delay_alu instid0(VALU_DEP_1) | instskip(NEXT) | instid1(VALU_DEP_1)
	v_subrev_nc_u32_e32 v119, 28, v117
	v_lshlrev_b64_e32 v[58:59], v119, v[64:65]
	s_delay_alu instid0(VALU_DEP_1)
	v_dual_sub_nc_u32 v117, 29, v117 :: v_dual_bitop2_b32 v64, 7, v58 bitop3:0x40
; %bb.225:                              ;   in Loop: Header=BB4_128 Depth=2
	s_or_b32 exec_lo, exec_lo, s29
	s_delay_alu instid0(VALU_DEP_1) | instskip(NEXT) | instid1(VALU_DEP_2)
	v_dual_lshlrev_b32 v118, 24, v118 :: v_dual_lshlrev_b32 v64, 20, v64
	v_lshl_add_u32 v117, v117, 23, 0x3c000000
	s_delay_alu instid0(VALU_DEP_2) | instskip(NEXT) | instid1(VALU_DEP_1)
	v_and_b32_e32 v118, 0x80000000, v118
	v_or3_b32 v117, v64, v118, v117
.LBB4_226:                              ;   in Loop: Header=BB4_128 Depth=2
	s_or_b32 exec_lo, exec_lo, s28
.LBB4_227:                              ;   in Loop: Header=BB4_128 Depth=2
	s_delay_alu instid0(SALU_CYCLE_1)
	s_or_b32 exec_lo, exec_lo, s27
.LBB4_228:                              ;   in Loop: Header=BB4_128 Depth=2
	s_delay_alu instid0(SALU_CYCLE_1) | instskip(NEXT) | instid1(SALU_CYCLE_1)
	s_or_b32 exec_lo, exec_lo, s10
	s_mov_b32 s10, exec_lo
	v_cmpx_lt_u32_e32 0xffffff, v18
	s_cbranch_execz .LBB4_236
; %bb.229:                              ;   in Loop: Header=BB4_128 Depth=2
	v_lshrrev_b32_e32 v118, 24, v18
	v_bfrev_b32_e32 v116, 1
	s_mov_b32 s27, exec_lo
	s_delay_alu instid0(VALU_DEP_2)
	v_cmpx_ne_u32_e32 0x80, v118
	s_cbranch_execz .LBB4_235
; %bb.230:                              ;   in Loop: Header=BB4_128 Depth=2
	v_bfe_u32 v119, v18, 24, 7
	v_mov_b32_e32 v116, 0x7f800001
	s_mov_b32 s28, exec_lo
	s_delay_alu instid0(VALU_DEP_2)
	v_cmpx_ne_u32_e32 0x7f, v119
	s_cbranch_execz .LBB4_234
; %bb.231:                              ;   in Loop: Header=BB4_128 Depth=2
	v_dual_lshrrev_b32 v116, 3, v119 :: v_dual_bitop2_b32 v64, 7, v118 bitop3:0x40
	s_mov_b32 s29, exec_lo
	v_cmpx_gt_u32_e32 8, v119
; %bb.232:                              ;   in Loop: Header=BB4_128 Depth=2
	s_delay_alu instid0(VALU_DEP_2) | instskip(NEXT) | instid1(VALU_DEP_1)
	v_clz_i32_u32_e32 v116, v64
	v_min_u32_e32 v116, 32, v116
	s_delay_alu instid0(VALU_DEP_1) | instskip(NEXT) | instid1(VALU_DEP_1)
	v_subrev_nc_u32_e32 v119, 28, v116
	v_lshlrev_b64_e32 v[58:59], v119, v[64:65]
	s_delay_alu instid0(VALU_DEP_1)
	v_dual_sub_nc_u32 v116, 29, v116 :: v_dual_bitop2_b32 v64, 7, v58 bitop3:0x40
; %bb.233:                              ;   in Loop: Header=BB4_128 Depth=2
	s_or_b32 exec_lo, exec_lo, s29
	s_delay_alu instid0(VALU_DEP_1) | instskip(NEXT) | instid1(VALU_DEP_2)
	v_dual_lshlrev_b32 v118, 24, v118 :: v_dual_lshlrev_b32 v64, 20, v64
	v_lshl_add_u32 v116, v116, 23, 0x3c000000
	s_delay_alu instid0(VALU_DEP_2) | instskip(NEXT) | instid1(VALU_DEP_1)
	v_and_b32_e32 v118, 0x80000000, v118
	v_or3_b32 v116, v64, v118, v116
.LBB4_234:                              ;   in Loop: Header=BB4_128 Depth=2
	s_or_b32 exec_lo, exec_lo, s28
.LBB4_235:                              ;   in Loop: Header=BB4_128 Depth=2
	s_delay_alu instid0(SALU_CYCLE_1)
	s_or_b32 exec_lo, exec_lo, s27
.LBB4_236:                              ;   in Loop: Header=BB4_128 Depth=2
	s_delay_alu instid0(SALU_CYCLE_1) | instskip(NEXT) | instid1(VALU_DEP_1)
	s_or_b32 exec_lo, exec_lo, s10
	v_mul_f32_e32 v116, v117, v116
                                        ; implicit-def: $vgpr57
	s_mov_b32 s10, exec_lo
	s_delay_alu instid0(VALU_DEP_1) | instskip(SKIP_1) | instid1(VALU_DEP_2)
	v_and_b32_e32 v64, 0x7f800000, v116
	v_lshrrev_b32_e32 v117, 24, v116
	v_cmpx_ne_u64_e32 0x7f800000, v[64:65]
	s_xor_b32 s27, exec_lo, s10
	s_cbranch_execz .LBB4_250
; %bb.237:                              ;   in Loop: Header=BB4_128 Depth=2
	v_and_b32_e32 v64, 0x7fffffff, v116
	v_and_b32_e32 v58, 0x80, v117
                                        ; implicit-def: $vgpr57
	s_mov_b32 s10, exec_lo
	s_delay_alu instid0(VALU_DEP_2)
	v_cmpx_gt_u64_e32 0x43e00001, v[64:65]
	s_xor_b32 s28, exec_lo, s10
	s_cbranch_execz .LBB4_247
; %bb.238:                              ;   in Loop: Header=BB4_128 Depth=2
	v_mov_b32_e32 v57, 0
	s_mov_b32 s29, exec_lo
	v_cmpx_ne_u32_e32 0, v116
	s_cbranch_execz .LBB4_246
; %bb.239:                              ;   in Loop: Header=BB4_128 Depth=2
	v_bfe_u32 v57, v116, 23, 8
	s_delay_alu instid0(VALU_DEP_1) | instskip(SKIP_1) | instid1(VALU_DEP_2)
	v_sub_nc_u32_e32 v64, 0x79, v57
	v_cmp_gt_u32_e32 vcc_lo, 0x7a, v57
	v_cndmask_b32_e32 v64, 0, v64, vcc_lo
	v_cmp_eq_u32_e32 vcc_lo, 0, v57
	s_delay_alu instid0(VALU_DEP_2) | instskip(SKIP_1) | instid1(VALU_DEP_2)
	v_cndmask_b32_e64 v59, v64, 0x78, vcc_lo
	v_and_b32_e32 v64, 0x7fffff, v116
	v_add_nc_u32_e32 v116, 20, v59
	s_delay_alu instid0(VALU_DEP_2) | instskip(SKIP_1) | instid1(VALU_DEP_3)
	v_or_b32_e32 v118, 0x800000, v64
	v_add_nc_u32_e32 v119, 19, v59
	v_lshlrev_b64_e64 v[116:117], v116, -1
	s_delay_alu instid0(VALU_DEP_3) | instskip(NEXT) | instid1(VALU_DEP_3)
	v_cndmask_b32_e32 v64, v118, v64, vcc_lo
	v_lshlrev_b64_e64 v[118:119], v119, 1
	s_delay_alu instid0(VALU_DEP_3) | instskip(NEXT) | instid1(VALU_DEP_3)
	v_bfi_b32 v61, v117, 0, 0
	v_bfi_b32 v60, v116, 0, v64
	v_lshrrev_b64 v[116:117], v59, v[64:65]
	s_delay_alu instid0(VALU_DEP_2) | instskip(NEXT) | instid1(VALU_DEP_2)
	v_cmp_eq_u64_e64 s10, v[60:61], v[118:119]
	v_mov_b64_e32 v[118:119], v[116:117]
	s_and_saveexec_b32 s40, s10
; %bb.240:                              ;   in Loop: Header=BB4_128 Depth=2
	v_bfe_u32 v64, v116, 20, 1
	s_delay_alu instid0(VALU_DEP_1) | instskip(NEXT) | instid1(VALU_DEP_1)
	v_add_nc_u64_e32 v[118:119], v[116:117], v[64:65]
	v_add_nc_u64_e32 v[118:119], -1, v[118:119]
; %bb.241:                              ;   in Loop: Header=BB4_128 Depth=2
	s_or_b32 exec_lo, exec_lo, s40
	v_add_nc_u32_e32 v64, 0xffffff81, v57
	v_lshrrev_b32_e32 v117, 23, v116
	s_mov_b32 s10, exec_lo
	s_delay_alu instid0(VALU_DEP_2) | instskip(NEXT) | instid1(VALU_DEP_1)
	v_cndmask_b32_e64 v64, v64, 0xffffff82, vcc_lo
	v_add3_u32 v119, v59, v64, v117
	v_and_b32_e32 v64, 0xfffff, v118
                                        ; implicit-def: $vgpr118
	s_delay_alu instid0(VALU_DEP_1) | instskip(NEXT) | instid1(VALU_DEP_1)
	v_dual_add_nc_u32 v57, 6, v119 :: v_dual_add_nc_u32 v64, v64, v116
                                        ; implicit-def: $vgpr116_vgpr117
	v_cmpx_ne_u32_e32 0, v57
	s_xor_b32 s10, exec_lo, s10
; %bb.242:                              ;   in Loop: Header=BB4_128 Depth=2
	s_delay_alu instid0(VALU_DEP_2) | instskip(SKIP_1) | instid1(VALU_DEP_1)
	v_cmp_lt_u64_e32 vcc_lo, 0xffffff, v[64:65]
	v_add_nc_u32_e32 v116, 7, v119
	v_cndmask_b32_e32 v118, v57, v116, vcc_lo
	v_cndmask_b32_e64 v116, 0, 1, vcc_lo
	s_delay_alu instid0(VALU_DEP_1)
	v_lshrrev_b64 v[116:117], v116, v[64:65]
; %bb.243:                              ;   in Loop: Header=BB4_128 Depth=2
	s_and_not1_saveexec_b32 s10, s10
; %bb.244:                              ;   in Loop: Header=BB4_128 Depth=2
	v_mov_b64_e32 v[116:117], v[64:65]
	v_bfe_u32 v118, v64, 23, 1
; %bb.245:                              ;   in Loop: Header=BB4_128 Depth=2
	s_or_b32 exec_lo, exec_lo, s10
	s_delay_alu instid0(VALU_DEP_2) | instskip(NEXT) | instid1(VALU_DEP_2)
	v_lshrrev_b64 v[116:117], 20, v[116:117]
	v_cmp_gt_i32_e32 vcc_lo, 16, v118
	v_min_i32_e32 v64, 15, v118
	v_cmp_eq_u32_e64 s10, 0, v118
	s_delay_alu instid0(VALU_DEP_2) | instskip(SKIP_1) | instid1(VALU_DEP_2)
	v_dual_cndmask_b32 v117, 0, v117 :: v_dual_lshlrev_b32 v64, 3, v64
	v_cndmask_b32_e32 v116, 7, v116, vcc_lo
	v_and_b32_e32 v64, 0xf8, v64
	s_delay_alu instid0(VALU_DEP_2) | instskip(NEXT) | instid1(VALU_DEP_2)
	v_cmp_eq_u64_e32 vcc_lo, 0, v[116:117]
	v_and_or_b32 v64, v116, 7, v64
	s_and_b32 s10, s10, vcc_lo
	s_delay_alu instid0(VALU_DEP_1) | instid1(SALU_CYCLE_1)
	v_cndmask_b32_e64 v64, v64, 0, s10
	s_delay_alu instid0(VALU_DEP_1)
	v_or_b32_e32 v57, v64, v58
.LBB4_246:                              ;   in Loop: Header=BB4_128 Depth=2
	s_or_b32 exec_lo, exec_lo, s29
                                        ; implicit-def: $vgpr58
.LBB4_247:                              ;   in Loop: Header=BB4_128 Depth=2
	s_and_not1_saveexec_b32 s10, s28
; %bb.248:                              ;   in Loop: Header=BB4_128 Depth=2
	v_or_b32_e32 v57, 0x7e, v58
; %bb.249:                              ;   in Loop: Header=BB4_128 Depth=2
	s_or_b32 exec_lo, exec_lo, s10
                                        ; implicit-def: $vgpr117
.LBB4_250:                              ;   in Loop: Header=BB4_128 Depth=2
	s_and_not1_saveexec_b32 s10, s27
; %bb.251:                              ;   in Loop: Header=BB4_128 Depth=2
	v_or_b32_e32 v57, 0x7f, v117
; %bb.252:                              ;   in Loop: Header=BB4_128 Depth=2
	s_or_b32 exec_lo, exec_lo, s10
	v_and_b32_e32 v118, 0xff, v23
	v_dual_mov_b32 v64, v23 :: v_dual_mov_b32 v117, 0
	v_mov_b32_e32 v116, 0
	s_mov_b32 s10, exec_lo
	s_delay_alu instid0(VALU_DEP_3)
	v_cmpx_ne_u16_e32 0, v118
	s_cbranch_execz .LBB4_258
; %bb.253:                              ;   in Loop: Header=BB4_128 Depth=2
	v_bfrev_b32_e32 v116, 1
	s_mov_b32 s27, exec_lo
	v_cmpx_ne_u16_e32 0x80, v118
	s_cbranch_execz .LBB4_257
; %bb.254:                              ;   in Loop: Header=BB4_128 Depth=2
	v_and_b32_e32 v118, 0x7f, v23
	v_mov_b32_e32 v116, 0x7f800001
	s_mov_b32 s28, exec_lo
	s_delay_alu instid0(VALU_DEP_2)
	v_cmpx_ne_u32_e32 0x7f, v118
	s_cbranch_execz .LBB4_256
; %bb.255:                              ;   in Loop: Header=BB4_128 Depth=2
	v_dual_lshrrev_b32 v119, 3, v118 :: v_dual_bitop2_b32 v116, 7, v23 bitop3:0x40
	v_cmp_gt_u32_e32 vcc_lo, 8, v118
	s_delay_alu instid0(VALU_DEP_2) | instskip(NEXT) | instid1(VALU_DEP_1)
	v_clz_i32_u32_e32 v116, v116
	v_min_u32_e32 v116, 32, v116
	s_delay_alu instid0(VALU_DEP_1) | instskip(NEXT) | instid1(VALU_DEP_1)
	v_subrev_nc_u32_e32 v58, 28, v116
	v_dual_sub_nc_u32 v116, 29, v116 :: v_dual_cndmask_b32 v118, 0, v58, vcc_lo
	s_delay_alu instid0(VALU_DEP_1) | instskip(NEXT) | instid1(VALU_DEP_2)
	v_cndmask_b32_e32 v116, v119, v116, vcc_lo
	v_lshlrev_b64_e32 v[118:119], v118, v[64:65]
	v_lshlrev_b32_e32 v119, 24, v64
	s_delay_alu instid0(VALU_DEP_1) | instskip(NEXT) | instid1(VALU_DEP_3)
	v_and_b32_e32 v119, 0x80000000, v119
	v_lshlrev_b32_e32 v118, 20, v118
	v_lshl_add_u32 v116, v116, 23, 0x3c000000
	s_delay_alu instid0(VALU_DEP_2) | instskip(NEXT) | instid1(VALU_DEP_1)
	v_and_b32_e32 v118, 0x700000, v118
	v_or3_b32 v116, v118, v119, v116
.LBB4_256:                              ;   in Loop: Header=BB4_128 Depth=2
	s_or_b32 exec_lo, exec_lo, s28
.LBB4_257:                              ;   in Loop: Header=BB4_128 Depth=2
	s_delay_alu instid0(SALU_CYCLE_1)
	s_or_b32 exec_lo, exec_lo, s27
.LBB4_258:                              ;   in Loop: Header=BB4_128 Depth=2
	s_delay_alu instid0(SALU_CYCLE_1) | instskip(SKIP_2) | instid1(VALU_DEP_1)
	s_or_b32 exec_lo, exec_lo, s10
	v_and_b32_e32 v118, 0xff, v19
	s_mov_b32 s10, exec_lo
	v_cmpx_ne_u16_e32 0, v118
	s_cbranch_execz .LBB4_264
; %bb.259:                              ;   in Loop: Header=BB4_128 Depth=2
	v_bfrev_b32_e32 v117, 1
	s_mov_b32 s27, exec_lo
	v_cmpx_ne_u16_e32 0x80, v118
	s_cbranch_execz .LBB4_263
; %bb.260:                              ;   in Loop: Header=BB4_128 Depth=2
	v_and_b32_e32 v118, 0x7f, v19
	v_mov_b32_e32 v117, 0x7f800001
	s_mov_b32 s28, exec_lo
	s_delay_alu instid0(VALU_DEP_2)
	v_cmpx_ne_u32_e32 0x7f, v118
	s_cbranch_execz .LBB4_262
; %bb.261:                              ;   in Loop: Header=BB4_128 Depth=2
	v_dual_lshrrev_b32 v58, 3, v118 :: v_dual_bitop2_b32 v117, 7, v19 bitop3:0x40
	v_cmp_gt_u32_e32 vcc_lo, 8, v118
	v_mov_b32_e32 v118, v19
	s_delay_alu instid0(VALU_DEP_3) | instskip(NEXT) | instid1(VALU_DEP_1)
	v_clz_i32_u32_e32 v117, v117
	v_min_u32_e32 v117, 32, v117
	s_delay_alu instid0(VALU_DEP_1) | instskip(SKIP_1) | instid1(VALU_DEP_2)
	v_sub_nc_u32_e32 v59, 29, v117
	v_subrev_nc_u32_e32 v117, 28, v117
	v_dual_mov_b32 v119, v65 :: v_dual_cndmask_b32 v60, v58, v59
	s_delay_alu instid0(VALU_DEP_2) | instskip(NEXT) | instid1(VALU_DEP_1)
	v_cndmask_b32_e32 v117, 0, v117, vcc_lo
	v_lshlrev_b64_e32 v[58:59], v117, v[118:119]
	v_lshlrev_b32_e32 v117, 24, v118
	s_delay_alu instid0(VALU_DEP_4) | instskip(NEXT) | instid1(VALU_DEP_2)
	v_lshl_add_u32 v119, v60, 23, 0x3c000000
	v_and_b32_e32 v117, 0x80000000, v117
	s_delay_alu instid0(VALU_DEP_4) | instskip(NEXT) | instid1(VALU_DEP_1)
	v_lshlrev_b32_e32 v118, 20, v58
	v_and_b32_e32 v118, 0x700000, v118
	s_delay_alu instid0(VALU_DEP_1)
	v_or3_b32 v117, v118, v117, v119
.LBB4_262:                              ;   in Loop: Header=BB4_128 Depth=2
	s_or_b32 exec_lo, exec_lo, s28
.LBB4_263:                              ;   in Loop: Header=BB4_128 Depth=2
	s_delay_alu instid0(SALU_CYCLE_1)
	s_or_b32 exec_lo, exec_lo, s27
.LBB4_264:                              ;   in Loop: Header=BB4_128 Depth=2
	s_delay_alu instid0(SALU_CYCLE_1) | instskip(NEXT) | instid1(VALU_DEP_1)
	s_or_b32 exec_lo, exec_lo, s10
	v_dual_mul_f32 v116, v116, v117 :: v_dual_mov_b32 v119, v65
                                        ; implicit-def: $vgpr58
	s_mov_b32 s10, exec_lo
	s_delay_alu instid0(VALU_DEP_1) | instskip(SKIP_1) | instid1(VALU_DEP_2)
	v_and_b32_e32 v118, 0x7f800000, v116
	v_lshrrev_b32_e32 v117, 24, v116
	v_cmpx_ne_u64_e32 0x7f800000, v[118:119]
	s_xor_b32 s27, exec_lo, s10
	s_cbranch_execz .LBB4_278
; %bb.265:                              ;   in Loop: Header=BB4_128 Depth=2
	v_and_b32_e32 v118, 0x7fffffff, v116
	v_mov_b32_e32 v119, v65
	v_and_b32_e32 v59, 0x80, v117
                                        ; implicit-def: $vgpr58
	s_mov_b32 s10, exec_lo
	s_delay_alu instid0(VALU_DEP_2)
	v_cmpx_gt_u64_e32 0x43e00001, v[118:119]
	s_xor_b32 s28, exec_lo, s10
	s_cbranch_execz .LBB4_275
; %bb.266:                              ;   in Loop: Header=BB4_128 Depth=2
	v_mov_b32_e32 v58, 0
	s_mov_b32 s29, exec_lo
	v_cmpx_ne_u32_e32 0, v116
	s_cbranch_execz .LBB4_274
; %bb.267:                              ;   in Loop: Header=BB4_128 Depth=2
	v_bfe_u32 v58, v116, 23, 8
	v_and_b32_e32 v118, 0x7fffff, v116
	s_mov_b32 s40, exec_lo
	s_delay_alu instid0(VALU_DEP_2) | instskip(SKIP_1) | instid1(VALU_DEP_3)
	v_sub_nc_u32_e32 v117, 0x79, v58
	v_cmp_gt_u32_e32 vcc_lo, 0x7a, v58
	v_or_b32_e32 v119, 0x800000, v118
	s_delay_alu instid0(VALU_DEP_3) | instskip(SKIP_1) | instid1(VALU_DEP_2)
	v_cndmask_b32_e32 v117, 0, v117, vcc_lo
	v_cmp_eq_u32_e32 vcc_lo, 0, v58
	v_cndmask_b32_e64 v60, v117, 0x78, vcc_lo
	s_delay_alu instid0(VALU_DEP_4) | instskip(NEXT) | instid1(VALU_DEP_2)
	v_dual_cndmask_b32 v118, v119, v118 :: v_dual_mov_b32 v119, v65
	v_dual_add_nc_u32 v116, 20, v60 :: v_dual_add_nc_u32 v61, 19, v60
	s_delay_alu instid0(VALU_DEP_1) | instskip(NEXT) | instid1(VALU_DEP_2)
	v_lshlrev_b64_e64 v[116:117], v116, -1
	v_lshlrev_b64_e64 v[62:63], v61, 1
	s_delay_alu instid0(VALU_DEP_2) | instskip(NEXT) | instid1(VALU_DEP_3)
	v_bfi_b32 v73, v117, 0, 0
	v_bfi_b32 v72, v116, 0, v118
	v_lshrrev_b64 v[116:117], v60, v[118:119]
	s_delay_alu instid0(VALU_DEP_1) | instskip(NEXT) | instid1(VALU_DEP_3)
	v_mov_b64_e32 v[118:119], v[116:117]
	v_cmpx_eq_u64_e64 v[72:73], v[62:63]
; %bb.268:                              ;   in Loop: Header=BB4_128 Depth=2
	v_bfe_u32 v118, v116, 20, 1
	v_mov_b32_e32 v119, v65
	s_delay_alu instid0(VALU_DEP_1) | instskip(NEXT) | instid1(VALU_DEP_1)
	v_add_nc_u64_e32 v[118:119], v[116:117], v[118:119]
	v_add_nc_u64_e32 v[118:119], -1, v[118:119]
; %bb.269:                              ;   in Loop: Header=BB4_128 Depth=2
	s_or_b32 exec_lo, exec_lo, s40
	v_add_nc_u32_e32 v117, 0xffffff81, v58
	v_lshrrev_b32_e32 v119, 23, v116
	s_mov_b32 s10, exec_lo
	s_delay_alu instid0(VALU_DEP_2) | instskip(NEXT) | instid1(VALU_DEP_1)
	v_cndmask_b32_e64 v117, v117, 0xffffff82, vcc_lo
	v_add3_u32 v119, v60, v117, v119
	v_and_b32_e32 v117, 0xfffff, v118
                                        ; implicit-def: $vgpr118
	s_delay_alu instid0(VALU_DEP_1) | instskip(SKIP_1) | instid1(VALU_DEP_2)
	v_dual_add_nc_u32 v58, 6, v119 :: v_dual_add_nc_u32 v116, v117, v116
	v_mov_b32_e32 v117, v65
	v_cmpx_ne_u32_e32 0, v58
	s_xor_b32 s10, exec_lo, s10
; %bb.270:                              ;   in Loop: Header=BB4_128 Depth=2
	s_delay_alu instid0(VALU_DEP_2) | instskip(SKIP_2) | instid1(VALU_DEP_2)
	v_cmp_lt_u64_e32 vcc_lo, 0xffffff, v[116:117]
	v_add_nc_u32_e32 v118, 7, v119
	v_cndmask_b32_e64 v119, 0, 1, vcc_lo
	v_cndmask_b32_e32 v118, v58, v118, vcc_lo
	s_delay_alu instid0(VALU_DEP_2)
	v_lshrrev_b64 v[116:117], v119, v[116:117]
; %bb.271:                              ;   in Loop: Header=BB4_128 Depth=2
	s_and_not1_saveexec_b32 s10, s10
; %bb.272:                              ;   in Loop: Header=BB4_128 Depth=2
	s_delay_alu instid0(VALU_DEP_1)
	v_bfe_u32 v118, v116, 23, 1
; %bb.273:                              ;   in Loop: Header=BB4_128 Depth=2
	s_or_b32 exec_lo, exec_lo, s10
	s_delay_alu instid0(VALU_DEP_2) | instskip(NEXT) | instid1(VALU_DEP_2)
	v_lshrrev_b64 v[116:117], 20, v[116:117]
	v_cmp_gt_i32_e32 vcc_lo, 16, v118
	v_min_i32_e32 v119, 15, v118
	v_cmp_eq_u32_e64 s10, 0, v118
	s_delay_alu instid0(VALU_DEP_2) | instskip(SKIP_1) | instid1(VALU_DEP_2)
	v_dual_cndmask_b32 v117, 0, v117, vcc_lo :: v_dual_lshlrev_b32 v119, 3, v119
	v_cndmask_b32_e32 v116, 7, v116, vcc_lo
	v_and_b32_e32 v119, 0xf8, v119
	s_delay_alu instid0(VALU_DEP_2) | instskip(NEXT) | instid1(VALU_DEP_2)
	v_cmp_eq_u64_e32 vcc_lo, 0, v[116:117]
	v_and_or_b32 v116, v116, 7, v119
	s_and_b32 s10, s10, vcc_lo
	s_delay_alu instid0(VALU_DEP_1) | instid1(SALU_CYCLE_1)
	v_cndmask_b32_e64 v116, v116, 0, s10
	s_delay_alu instid0(VALU_DEP_1)
	v_or_b32_e32 v58, v116, v59
.LBB4_274:                              ;   in Loop: Header=BB4_128 Depth=2
	s_or_b32 exec_lo, exec_lo, s29
                                        ; implicit-def: $vgpr59
.LBB4_275:                              ;   in Loop: Header=BB4_128 Depth=2
	s_and_not1_saveexec_b32 s10, s28
; %bb.276:                              ;   in Loop: Header=BB4_128 Depth=2
	v_or_b32_e32 v58, 0x7e, v59
; %bb.277:                              ;   in Loop: Header=BB4_128 Depth=2
	s_or_b32 exec_lo, exec_lo, s10
                                        ; implicit-def: $vgpr117
.LBB4_278:                              ;   in Loop: Header=BB4_128 Depth=2
	s_and_not1_saveexec_b32 s10, s27
; %bb.279:                              ;   in Loop: Header=BB4_128 Depth=2
	v_or_b32_e32 v58, 0x7f, v117
; %bb.280:                              ;   in Loop: Header=BB4_128 Depth=2
	s_or_b32 exec_lo, exec_lo, s10
	v_lshrrev_b16 v117, 8, v64
	v_dual_mov_b32 v118, 0 :: v_dual_mov_b32 v116, 0
	s_mov_b32 s10, exec_lo
	s_delay_alu instid0(VALU_DEP_2)
	v_cmpx_ne_u16_e32 0, v117
	s_cbranch_execz .LBB4_288
; %bb.281:                              ;   in Loop: Header=BB4_128 Depth=2
	v_bfrev_b32_e32 v116, 1
	s_mov_b32 s27, exec_lo
	v_cmpx_ne_u16_e32 0x80, v117
	s_cbranch_execz .LBB4_287
; %bb.282:                              ;   in Loop: Header=BB4_128 Depth=2
	v_and_b32_e32 v117, 0xffff, v117
	v_mov_b32_e32 v116, 0x7f800001
	s_mov_b32 s28, exec_lo
	s_delay_alu instid0(VALU_DEP_2) | instskip(NEXT) | instid1(VALU_DEP_1)
	v_and_b32_e32 v59, 0x7f, v117
	v_cmpx_ne_u32_e32 0x7f, v59
	s_cbranch_execz .LBB4_286
; %bb.283:                              ;   in Loop: Header=BB4_128 Depth=2
	v_dual_mov_b32 v117, v65 :: v_dual_bitop2_b32 v116, 7, v117 bitop3:0x40
	v_lshrrev_b32_e32 v119, 3, v59
	s_mov_b32 s29, exec_lo
	v_cmpx_gt_u32_e32 8, v59
; %bb.284:                              ;   in Loop: Header=BB4_128 Depth=2
	s_delay_alu instid0(VALU_DEP_3) | instskip(NEXT) | instid1(VALU_DEP_1)
	v_clz_i32_u32_e32 v119, v116
	v_min_u32_e32 v119, 32, v119
	s_delay_alu instid0(VALU_DEP_1) | instskip(NEXT) | instid1(VALU_DEP_1)
	v_subrev_nc_u32_e32 v59, 28, v119
	v_lshlrev_b64_e32 v[116:117], v59, v[116:117]
	s_delay_alu instid0(VALU_DEP_1)
	v_dual_sub_nc_u32 v119, 29, v119 :: v_dual_bitop2_b32 v116, 7, v116 bitop3:0x40
; %bb.285:                              ;   in Loop: Header=BB4_128 Depth=2
	s_or_b32 exec_lo, exec_lo, s29
	v_lshlrev_b32_e32 v64, 16, v64
	s_delay_alu instid0(VALU_DEP_2) | instskip(NEXT) | instid1(VALU_DEP_3)
	v_lshlrev_b32_e32 v116, 20, v116
	v_lshl_add_u32 v117, v119, 23, 0x3c000000
	s_delay_alu instid0(VALU_DEP_3) | instskip(NEXT) | instid1(VALU_DEP_1)
	v_and_b32_e32 v64, 0x80000000, v64
	v_or3_b32 v116, v116, v64, v117
.LBB4_286:                              ;   in Loop: Header=BB4_128 Depth=2
	s_or_b32 exec_lo, exec_lo, s28
.LBB4_287:                              ;   in Loop: Header=BB4_128 Depth=2
	s_delay_alu instid0(SALU_CYCLE_1)
	s_or_b32 exec_lo, exec_lo, s27
.LBB4_288:                              ;   in Loop: Header=BB4_128 Depth=2
	s_delay_alu instid0(SALU_CYCLE_1) | instskip(SKIP_2) | instid1(VALU_DEP_1)
	s_or_b32 exec_lo, exec_lo, s10
	v_lshrrev_b16 v64, 8, v19
	s_mov_b32 s10, exec_lo
	v_cmpx_ne_u16_e32 0, v64
	s_cbranch_execz .LBB4_296
; %bb.289:                              ;   in Loop: Header=BB4_128 Depth=2
	v_bfrev_b32_e32 v118, 1
	s_mov_b32 s27, exec_lo
	v_cmpx_ne_u16_e32 0x80, v64
	s_cbranch_execz .LBB4_295
; %bb.290:                              ;   in Loop: Header=BB4_128 Depth=2
	v_and_b32_e32 v64, 0xffff, v64
	v_mov_b32_e32 v118, 0x7f800001
	s_mov_b32 s28, exec_lo
	s_delay_alu instid0(VALU_DEP_2) | instskip(NEXT) | instid1(VALU_DEP_1)
	v_and_b32_e32 v119, 0x7f, v64
	v_cmpx_ne_u32_e32 0x7f, v119
	s_cbranch_execz .LBB4_294
; %bb.291:                              ;   in Loop: Header=BB4_128 Depth=2
	v_dual_lshrrev_b32 v117, 3, v119 :: v_dual_bitop2_b32 v64, 7, v64 bitop3:0x40
	s_mov_b32 s29, exec_lo
	v_cmpx_gt_u32_e32 8, v119
; %bb.292:                              ;   in Loop: Header=BB4_128 Depth=2
	s_delay_alu instid0(VALU_DEP_2) | instskip(NEXT) | instid1(VALU_DEP_1)
	v_clz_i32_u32_e32 v117, v64
	v_min_u32_e32 v117, 32, v117
	s_delay_alu instid0(VALU_DEP_1) | instskip(NEXT) | instid1(VALU_DEP_1)
	v_subrev_nc_u32_e32 v118, 28, v117
	v_lshlrev_b64_e32 v[118:119], v118, v[64:65]
	s_delay_alu instid0(VALU_DEP_1)
	v_dual_sub_nc_u32 v117, 29, v117 :: v_dual_bitop2_b32 v64, 7, v118 bitop3:0x40
; %bb.293:                              ;   in Loop: Header=BB4_128 Depth=2
	s_or_b32 exec_lo, exec_lo, s29
	s_delay_alu instid0(VALU_DEP_1) | instskip(NEXT) | instid1(VALU_DEP_2)
	v_dual_lshlrev_b32 v118, 16, v19 :: v_dual_lshlrev_b32 v64, 20, v64
	v_lshl_add_u32 v117, v117, 23, 0x3c000000
	s_delay_alu instid0(VALU_DEP_2) | instskip(NEXT) | instid1(VALU_DEP_1)
	v_and_b32_e32 v118, 0x80000000, v118
	v_or3_b32 v118, v64, v118, v117
.LBB4_294:                              ;   in Loop: Header=BB4_128 Depth=2
	s_or_b32 exec_lo, exec_lo, s28
.LBB4_295:                              ;   in Loop: Header=BB4_128 Depth=2
	s_delay_alu instid0(SALU_CYCLE_1)
	s_or_b32 exec_lo, exec_lo, s27
.LBB4_296:                              ;   in Loop: Header=BB4_128 Depth=2
	s_delay_alu instid0(SALU_CYCLE_1) | instskip(NEXT) | instid1(VALU_DEP_1)
	s_or_b32 exec_lo, exec_lo, s10
	v_mul_f32_e32 v116, v116, v118
                                        ; implicit-def: $vgpr59
	s_mov_b32 s10, exec_lo
	s_delay_alu instid0(VALU_DEP_1) | instskip(SKIP_1) | instid1(VALU_DEP_2)
	v_and_b32_e32 v64, 0x7f800000, v116
	v_lshrrev_b32_e32 v117, 24, v116
	v_cmpx_ne_u64_e32 0x7f800000, v[64:65]
	s_xor_b32 s27, exec_lo, s10
	s_cbranch_execz .LBB4_310
; %bb.297:                              ;   in Loop: Header=BB4_128 Depth=2
	v_and_b32_e32 v64, 0x7fffffff, v116
	v_and_b32_e32 v60, 0x80, v117
                                        ; implicit-def: $vgpr59
	s_mov_b32 s10, exec_lo
	s_delay_alu instid0(VALU_DEP_2)
	v_cmpx_gt_u64_e32 0x43e00001, v[64:65]
	s_xor_b32 s28, exec_lo, s10
	s_cbranch_execz .LBB4_307
; %bb.298:                              ;   in Loop: Header=BB4_128 Depth=2
	v_mov_b32_e32 v59, 0
	s_mov_b32 s29, exec_lo
	v_cmpx_ne_u32_e32 0, v116
	s_cbranch_execz .LBB4_306
; %bb.299:                              ;   in Loop: Header=BB4_128 Depth=2
	v_bfe_u32 v59, v116, 23, 8
	s_delay_alu instid0(VALU_DEP_1) | instskip(SKIP_1) | instid1(VALU_DEP_2)
	v_sub_nc_u32_e32 v64, 0x79, v59
	v_cmp_gt_u32_e32 vcc_lo, 0x7a, v59
	v_cndmask_b32_e32 v64, 0, v64, vcc_lo
	v_cmp_eq_u32_e32 vcc_lo, 0, v59
	s_delay_alu instid0(VALU_DEP_2) | instskip(SKIP_1) | instid1(VALU_DEP_2)
	v_cndmask_b32_e64 v61, v64, 0x78, vcc_lo
	v_and_b32_e32 v64, 0x7fffff, v116
	v_add_nc_u32_e32 v116, 20, v61
	s_delay_alu instid0(VALU_DEP_2) | instskip(SKIP_1) | instid1(VALU_DEP_3)
	v_or_b32_e32 v118, 0x800000, v64
	v_add_nc_u32_e32 v119, 19, v61
	v_lshlrev_b64_e64 v[116:117], v116, -1
	s_delay_alu instid0(VALU_DEP_3) | instskip(NEXT) | instid1(VALU_DEP_3)
	v_cndmask_b32_e32 v64, v118, v64, vcc_lo
	v_lshlrev_b64_e64 v[118:119], v119, 1
	s_delay_alu instid0(VALU_DEP_3) | instskip(NEXT) | instid1(VALU_DEP_3)
	v_bfi_b32 v63, v117, 0, 0
	v_bfi_b32 v62, v116, 0, v64
	v_lshrrev_b64 v[116:117], v61, v[64:65]
	s_delay_alu instid0(VALU_DEP_2) | instskip(NEXT) | instid1(VALU_DEP_2)
	v_cmp_eq_u64_e64 s10, v[62:63], v[118:119]
	v_mov_b64_e32 v[118:119], v[116:117]
	s_and_saveexec_b32 s40, s10
; %bb.300:                              ;   in Loop: Header=BB4_128 Depth=2
	v_bfe_u32 v64, v116, 20, 1
	s_delay_alu instid0(VALU_DEP_1) | instskip(NEXT) | instid1(VALU_DEP_1)
	v_add_nc_u64_e32 v[118:119], v[116:117], v[64:65]
	v_add_nc_u64_e32 v[118:119], -1, v[118:119]
; %bb.301:                              ;   in Loop: Header=BB4_128 Depth=2
	s_or_b32 exec_lo, exec_lo, s40
	v_add_nc_u32_e32 v64, 0xffffff81, v59
	v_lshrrev_b32_e32 v117, 23, v116
	s_mov_b32 s10, exec_lo
	s_delay_alu instid0(VALU_DEP_2) | instskip(NEXT) | instid1(VALU_DEP_1)
	v_cndmask_b32_e64 v64, v64, 0xffffff82, vcc_lo
	v_add3_u32 v119, v61, v64, v117
	v_and_b32_e32 v64, 0xfffff, v118
                                        ; implicit-def: $vgpr118
	s_delay_alu instid0(VALU_DEP_1) | instskip(NEXT) | instid1(VALU_DEP_1)
	v_dual_add_nc_u32 v59, 6, v119 :: v_dual_add_nc_u32 v64, v64, v116
                                        ; implicit-def: $vgpr116_vgpr117
	v_cmpx_ne_u32_e32 0, v59
	s_xor_b32 s10, exec_lo, s10
; %bb.302:                              ;   in Loop: Header=BB4_128 Depth=2
	s_delay_alu instid0(VALU_DEP_2) | instskip(SKIP_1) | instid1(VALU_DEP_1)
	v_cmp_lt_u64_e32 vcc_lo, 0xffffff, v[64:65]
	v_add_nc_u32_e32 v116, 7, v119
	v_cndmask_b32_e32 v118, v59, v116, vcc_lo
	v_cndmask_b32_e64 v116, 0, 1, vcc_lo
	s_delay_alu instid0(VALU_DEP_1)
	v_lshrrev_b64 v[116:117], v116, v[64:65]
; %bb.303:                              ;   in Loop: Header=BB4_128 Depth=2
	s_and_not1_saveexec_b32 s10, s10
; %bb.304:                              ;   in Loop: Header=BB4_128 Depth=2
	v_mov_b64_e32 v[116:117], v[64:65]
	v_bfe_u32 v118, v64, 23, 1
; %bb.305:                              ;   in Loop: Header=BB4_128 Depth=2
	s_or_b32 exec_lo, exec_lo, s10
	s_delay_alu instid0(VALU_DEP_2) | instskip(NEXT) | instid1(VALU_DEP_2)
	v_lshrrev_b64 v[116:117], 20, v[116:117]
	v_cmp_gt_i32_e32 vcc_lo, 16, v118
	v_min_i32_e32 v64, 15, v118
	v_cmp_eq_u32_e64 s10, 0, v118
	s_delay_alu instid0(VALU_DEP_2) | instskip(SKIP_1) | instid1(VALU_DEP_2)
	v_dual_cndmask_b32 v117, 0, v117 :: v_dual_lshlrev_b32 v64, 3, v64
	v_cndmask_b32_e32 v116, 7, v116, vcc_lo
	v_and_b32_e32 v64, 0xf8, v64
	s_delay_alu instid0(VALU_DEP_2) | instskip(NEXT) | instid1(VALU_DEP_2)
	v_cmp_eq_u64_e32 vcc_lo, 0, v[116:117]
	v_and_or_b32 v64, v116, 7, v64
	s_and_b32 s10, s10, vcc_lo
	s_delay_alu instid0(VALU_DEP_1) | instid1(SALU_CYCLE_1)
	v_cndmask_b32_e64 v64, v64, 0, s10
	s_delay_alu instid0(VALU_DEP_1)
	v_or_b32_e32 v59, v64, v60
.LBB4_306:                              ;   in Loop: Header=BB4_128 Depth=2
	s_or_b32 exec_lo, exec_lo, s29
                                        ; implicit-def: $vgpr60
.LBB4_307:                              ;   in Loop: Header=BB4_128 Depth=2
	s_and_not1_saveexec_b32 s10, s28
; %bb.308:                              ;   in Loop: Header=BB4_128 Depth=2
	v_or_b32_e32 v59, 0x7e, v60
; %bb.309:                              ;   in Loop: Header=BB4_128 Depth=2
	s_or_b32 exec_lo, exec_lo, s10
                                        ; implicit-def: $vgpr117
.LBB4_310:                              ;   in Loop: Header=BB4_128 Depth=2
	s_and_not1_saveexec_b32 s10, s27
; %bb.311:                              ;   in Loop: Header=BB4_128 Depth=2
	v_or_b32_e32 v59, 0x7f, v117
; %bb.312:                              ;   in Loop: Header=BB4_128 Depth=2
	s_or_b32 exec_lo, exec_lo, s10
	v_dual_lshrrev_b32 v118, 16, v23 :: v_dual_mov_b32 v116, 0
	v_mov_b32_e32 v117, 0
	s_mov_b32 s10, exec_lo
	s_delay_alu instid0(VALU_DEP_2) | instskip(NEXT) | instid1(VALU_DEP_1)
	v_and_b32_e32 v64, 0xff, v118
	v_cmpx_ne_u16_e32 0, v64
	s_cbranch_execz .LBB4_320
; %bb.313:                              ;   in Loop: Header=BB4_128 Depth=2
	v_bfrev_b32_e32 v117, 1
	s_mov_b32 s27, exec_lo
	v_cmpx_ne_u16_e32 0x80, v64
	s_cbranch_execz .LBB4_319
; %bb.314:                              ;   in Loop: Header=BB4_128 Depth=2
	v_bfe_u32 v119, v23, 16, 7
	v_mov_b32_e32 v117, 0x7f800001
	s_mov_b32 s28, exec_lo
	s_delay_alu instid0(VALU_DEP_2)
	v_cmpx_ne_u32_e32 0x7f, v119
	s_cbranch_execz .LBB4_318
; %bb.315:                              ;   in Loop: Header=BB4_128 Depth=2
	v_dual_lshrrev_b32 v117, 3, v119 :: v_dual_bitop2_b32 v64, 7, v118 bitop3:0x40
	s_mov_b32 s29, exec_lo
	v_cmpx_gt_u32_e32 8, v119
; %bb.316:                              ;   in Loop: Header=BB4_128 Depth=2
	s_delay_alu instid0(VALU_DEP_2) | instskip(NEXT) | instid1(VALU_DEP_1)
	v_clz_i32_u32_e32 v117, v64
	v_min_u32_e32 v117, 32, v117
	s_delay_alu instid0(VALU_DEP_1) | instskip(NEXT) | instid1(VALU_DEP_1)
	v_subrev_nc_u32_e32 v119, 28, v117
	v_lshlrev_b64_e32 v[60:61], v119, v[64:65]
	s_delay_alu instid0(VALU_DEP_1)
	v_dual_sub_nc_u32 v117, 29, v117 :: v_dual_bitop2_b32 v64, 7, v60 bitop3:0x40
; %bb.317:                              ;   in Loop: Header=BB4_128 Depth=2
	s_or_b32 exec_lo, exec_lo, s29
	s_delay_alu instid0(VALU_DEP_1) | instskip(NEXT) | instid1(VALU_DEP_2)
	v_dual_lshlrev_b32 v118, 24, v118 :: v_dual_lshlrev_b32 v64, 20, v64
	v_lshl_add_u32 v117, v117, 23, 0x3c000000
	s_delay_alu instid0(VALU_DEP_2) | instskip(NEXT) | instid1(VALU_DEP_1)
	v_and_b32_e32 v118, 0x80000000, v118
	v_or3_b32 v117, v64, v118, v117
.LBB4_318:                              ;   in Loop: Header=BB4_128 Depth=2
	s_or_b32 exec_lo, exec_lo, s28
.LBB4_319:                              ;   in Loop: Header=BB4_128 Depth=2
	s_delay_alu instid0(SALU_CYCLE_1)
	s_or_b32 exec_lo, exec_lo, s27
.LBB4_320:                              ;   in Loop: Header=BB4_128 Depth=2
	s_delay_alu instid0(SALU_CYCLE_1) | instskip(SKIP_2) | instid1(VALU_DEP_1)
	s_or_b32 exec_lo, exec_lo, s10
	v_lshrrev_b32_e32 v64, 16, v19
	s_mov_b32 s10, exec_lo
	v_and_b32_e32 v118, 0xff, v64
	s_delay_alu instid0(VALU_DEP_1)
	v_cmpx_ne_u16_e32 0, v118
	s_cbranch_execz .LBB4_328
; %bb.321:                              ;   in Loop: Header=BB4_128 Depth=2
	v_bfrev_b32_e32 v116, 1
	s_mov_b32 s27, exec_lo
	v_cmpx_ne_u16_e32 0x80, v118
	s_cbranch_execz .LBB4_327
; %bb.322:                              ;   in Loop: Header=BB4_128 Depth=2
	v_bfe_u32 v118, v19, 16, 7
	v_mov_b32_e32 v116, 0x7f800001
	s_mov_b32 s28, exec_lo
	s_delay_alu instid0(VALU_DEP_2)
	v_cmpx_ne_u32_e32 0x7f, v118
	s_cbranch_execz .LBB4_326
; %bb.323:                              ;   in Loop: Header=BB4_128 Depth=2
	v_dual_lshrrev_b32 v116, 3, v118 :: v_dual_bitop2_b32 v64, 7, v64 bitop3:0x40
	s_mov_b32 s29, exec_lo
	v_cmpx_gt_u32_e32 8, v118
; %bb.324:                              ;   in Loop: Header=BB4_128 Depth=2
	s_delay_alu instid0(VALU_DEP_2) | instskip(NEXT) | instid1(VALU_DEP_1)
	v_clz_i32_u32_e32 v116, v64
	v_min_u32_e32 v116, 32, v116
	s_delay_alu instid0(VALU_DEP_1) | instskip(NEXT) | instid1(VALU_DEP_1)
	v_subrev_nc_u32_e32 v118, 28, v116
	v_lshlrev_b64_e32 v[118:119], v118, v[64:65]
	s_delay_alu instid0(VALU_DEP_1)
	v_dual_sub_nc_u32 v116, 29, v116 :: v_dual_bitop2_b32 v64, 7, v118 bitop3:0x40
; %bb.325:                              ;   in Loop: Header=BB4_128 Depth=2
	s_or_b32 exec_lo, exec_lo, s29
	s_delay_alu instid0(VALU_DEP_1) | instskip(NEXT) | instid1(VALU_DEP_2)
	v_dual_lshlrev_b32 v118, 8, v19 :: v_dual_lshlrev_b32 v64, 20, v64
	v_lshl_add_u32 v116, v116, 23, 0x3c000000
	s_delay_alu instid0(VALU_DEP_2) | instskip(NEXT) | instid1(VALU_DEP_1)
	v_and_b32_e32 v118, 0x80000000, v118
	v_or3_b32 v116, v64, v118, v116
.LBB4_326:                              ;   in Loop: Header=BB4_128 Depth=2
	s_or_b32 exec_lo, exec_lo, s28
.LBB4_327:                              ;   in Loop: Header=BB4_128 Depth=2
	s_delay_alu instid0(SALU_CYCLE_1)
	s_or_b32 exec_lo, exec_lo, s27
.LBB4_328:                              ;   in Loop: Header=BB4_128 Depth=2
	s_delay_alu instid0(SALU_CYCLE_1) | instskip(NEXT) | instid1(VALU_DEP_1)
	s_or_b32 exec_lo, exec_lo, s10
	v_mul_f32_e32 v117, v117, v116
                                        ; implicit-def: $vgpr116
	s_mov_b32 s10, exec_lo
	s_delay_alu instid0(VALU_DEP_1) | instskip(SKIP_1) | instid1(VALU_DEP_2)
	v_and_b32_e32 v64, 0x7f800000, v117
	v_lshrrev_b32_e32 v118, 24, v117
	v_cmpx_ne_u64_e32 0x7f800000, v[64:65]
	s_xor_b32 s27, exec_lo, s10
	s_cbranch_execz .LBB4_342
; %bb.329:                              ;   in Loop: Header=BB4_128 Depth=2
	v_and_b32_e32 v64, 0x7fffffff, v117
	v_and_b32_e32 v60, 0x80, v118
                                        ; implicit-def: $vgpr116
	s_mov_b32 s10, exec_lo
	s_delay_alu instid0(VALU_DEP_2)
	v_cmpx_gt_u64_e32 0x43e00001, v[64:65]
	s_xor_b32 s28, exec_lo, s10
	s_cbranch_execz .LBB4_339
; %bb.330:                              ;   in Loop: Header=BB4_128 Depth=2
	v_mov_b32_e32 v116, 0
	s_mov_b32 s29, exec_lo
	v_cmpx_ne_u32_e32 0, v117
	s_cbranch_execz .LBB4_338
; %bb.331:                              ;   in Loop: Header=BB4_128 Depth=2
	v_bfe_u32 v61, v117, 23, 8
	s_delay_alu instid0(VALU_DEP_1) | instskip(SKIP_1) | instid1(VALU_DEP_2)
	v_sub_nc_u32_e32 v64, 0x79, v61
	v_cmp_gt_u32_e32 vcc_lo, 0x7a, v61
	v_cndmask_b32_e32 v64, 0, v64, vcc_lo
	v_cmp_eq_u32_e32 vcc_lo, 0, v61
	s_delay_alu instid0(VALU_DEP_2) | instskip(SKIP_1) | instid1(VALU_DEP_2)
	v_cndmask_b32_e64 v62, v64, 0x78, vcc_lo
	v_and_b32_e32 v64, 0x7fffff, v117
	v_add_nc_u32_e32 v116, 20, v62
	s_delay_alu instid0(VALU_DEP_2) | instskip(SKIP_1) | instid1(VALU_DEP_3)
	v_or_b32_e32 v118, 0x800000, v64
	v_add_nc_u32_e32 v119, 19, v62
	v_lshlrev_b64_e64 v[116:117], v116, -1
	s_delay_alu instid0(VALU_DEP_3) | instskip(NEXT) | instid1(VALU_DEP_3)
	v_cndmask_b32_e32 v64, v118, v64, vcc_lo
	v_lshlrev_b64_e64 v[118:119], v119, 1
	s_delay_alu instid0(VALU_DEP_3) | instskip(NEXT) | instid1(VALU_DEP_3)
	v_bfi_b32 v73, v117, 0, 0
	v_bfi_b32 v72, v116, 0, v64
	v_lshrrev_b64 v[116:117], v62, v[64:65]
	s_delay_alu instid0(VALU_DEP_2) | instskip(NEXT) | instid1(VALU_DEP_2)
	v_cmp_eq_u64_e64 s10, v[72:73], v[118:119]
	v_mov_b64_e32 v[118:119], v[116:117]
	s_and_saveexec_b32 s40, s10
; %bb.332:                              ;   in Loop: Header=BB4_128 Depth=2
	v_bfe_u32 v64, v116, 20, 1
	s_delay_alu instid0(VALU_DEP_1) | instskip(NEXT) | instid1(VALU_DEP_1)
	v_add_nc_u64_e32 v[118:119], v[116:117], v[64:65]
	v_add_nc_u64_e32 v[118:119], -1, v[118:119]
; %bb.333:                              ;   in Loop: Header=BB4_128 Depth=2
	s_or_b32 exec_lo, exec_lo, s40
	v_add_nc_u32_e32 v64, 0xffffff81, v61
	v_lshrrev_b32_e32 v117, 23, v116
	s_mov_b32 s10, exec_lo
	s_delay_alu instid0(VALU_DEP_2) | instskip(NEXT) | instid1(VALU_DEP_1)
	v_cndmask_b32_e64 v64, v64, 0xffffff82, vcc_lo
	v_add3_u32 v119, v62, v64, v117
	v_and_b32_e32 v64, 0xfffff, v118
                                        ; implicit-def: $vgpr118
	s_delay_alu instid0(VALU_DEP_1) | instskip(NEXT) | instid1(VALU_DEP_1)
	v_dual_add_nc_u32 v61, 6, v119 :: v_dual_add_nc_u32 v64, v64, v116
                                        ; implicit-def: $vgpr116_vgpr117
	v_cmpx_ne_u32_e32 0, v61
	s_xor_b32 s10, exec_lo, s10
; %bb.334:                              ;   in Loop: Header=BB4_128 Depth=2
	s_delay_alu instid0(VALU_DEP_2) | instskip(SKIP_1) | instid1(VALU_DEP_1)
	v_cmp_lt_u64_e32 vcc_lo, 0xffffff, v[64:65]
	v_add_nc_u32_e32 v116, 7, v119
	v_cndmask_b32_e32 v118, v61, v116, vcc_lo
	v_cndmask_b32_e64 v116, 0, 1, vcc_lo
	s_delay_alu instid0(VALU_DEP_1)
	v_lshrrev_b64 v[116:117], v116, v[64:65]
; %bb.335:                              ;   in Loop: Header=BB4_128 Depth=2
	s_and_not1_saveexec_b32 s10, s10
; %bb.336:                              ;   in Loop: Header=BB4_128 Depth=2
	v_mov_b64_e32 v[116:117], v[64:65]
	v_bfe_u32 v118, v64, 23, 1
; %bb.337:                              ;   in Loop: Header=BB4_128 Depth=2
	s_or_b32 exec_lo, exec_lo, s10
	s_delay_alu instid0(VALU_DEP_2) | instskip(NEXT) | instid1(VALU_DEP_2)
	v_lshrrev_b64 v[116:117], 20, v[116:117]
	v_cmp_gt_i32_e32 vcc_lo, 16, v118
	v_min_i32_e32 v64, 15, v118
	v_cmp_eq_u32_e64 s10, 0, v118
	s_delay_alu instid0(VALU_DEP_2) | instskip(SKIP_1) | instid1(VALU_DEP_2)
	v_dual_cndmask_b32 v117, 0, v117 :: v_dual_lshlrev_b32 v64, 3, v64
	v_cndmask_b32_e32 v116, 7, v116, vcc_lo
	v_and_b32_e32 v64, 0xf8, v64
	s_delay_alu instid0(VALU_DEP_2) | instskip(NEXT) | instid1(VALU_DEP_2)
	v_cmp_eq_u64_e32 vcc_lo, 0, v[116:117]
	v_and_or_b32 v64, v116, 7, v64
	s_and_b32 s10, s10, vcc_lo
	s_delay_alu instid0(VALU_DEP_1) | instid1(SALU_CYCLE_1)
	v_cndmask_b32_e64 v64, v64, 0, s10
	s_delay_alu instid0(VALU_DEP_1)
	v_or_b32_e32 v116, v64, v60
.LBB4_338:                              ;   in Loop: Header=BB4_128 Depth=2
	s_or_b32 exec_lo, exec_lo, s29
                                        ; implicit-def: $vgpr60
.LBB4_339:                              ;   in Loop: Header=BB4_128 Depth=2
	s_and_not1_saveexec_b32 s10, s28
; %bb.340:                              ;   in Loop: Header=BB4_128 Depth=2
	v_or_b32_e32 v116, 0x7e, v60
; %bb.341:                              ;   in Loop: Header=BB4_128 Depth=2
	s_or_b32 exec_lo, exec_lo, s10
                                        ; implicit-def: $vgpr118
.LBB4_342:                              ;   in Loop: Header=BB4_128 Depth=2
	s_and_not1_saveexec_b32 s10, s27
; %bb.343:                              ;   in Loop: Header=BB4_128 Depth=2
	v_or_b32_e32 v116, 0x7f, v118
; %bb.344:                              ;   in Loop: Header=BB4_128 Depth=2
	s_or_b32 exec_lo, exec_lo, s10
	v_cmp_lt_u64_e32 vcc_lo, s[14:15], v[22:23]
	v_dual_mov_b32 v22, 0 :: v_dual_mov_b32 v117, 0
	s_and_saveexec_b32 s10, vcc_lo
	s_cbranch_execz .LBB4_352
; %bb.345:                              ;   in Loop: Header=BB4_128 Depth=2
	v_lshrrev_b32_e32 v118, 24, v23
	v_bfrev_b32_e32 v117, 1
	s_mov_b32 s27, exec_lo
	s_delay_alu instid0(VALU_DEP_2)
	v_cmpx_ne_u32_e32 0x80, v118
	s_cbranch_execz .LBB4_351
; %bb.346:                              ;   in Loop: Header=BB4_128 Depth=2
	v_bfe_u32 v119, v23, 24, 7
	v_mov_b32_e32 v117, 0x7f800001
	s_mov_b32 s28, exec_lo
	s_delay_alu instid0(VALU_DEP_2)
	v_cmpx_ne_u32_e32 0x7f, v119
	s_cbranch_execz .LBB4_350
; %bb.347:                              ;   in Loop: Header=BB4_128 Depth=2
	v_dual_lshrrev_b32 v23, 3, v119 :: v_dual_bitop2_b32 v64, 7, v118 bitop3:0x40
	s_mov_b32 s29, exec_lo
	v_cmpx_gt_u32_e32 8, v119
; %bb.348:                              ;   in Loop: Header=BB4_128 Depth=2
	s_delay_alu instid0(VALU_DEP_2) | instskip(NEXT) | instid1(VALU_DEP_1)
	v_clz_i32_u32_e32 v23, v64
	v_min_u32_e32 v23, 32, v23
	s_delay_alu instid0(VALU_DEP_1) | instskip(NEXT) | instid1(VALU_DEP_1)
	v_subrev_nc_u32_e32 v117, 28, v23
	v_lshlrev_b64_e32 v[60:61], v117, v[64:65]
	s_delay_alu instid0(VALU_DEP_1)
	v_dual_sub_nc_u32 v23, 29, v23 :: v_dual_bitop2_b32 v64, 7, v60 bitop3:0x40
; %bb.349:                              ;   in Loop: Header=BB4_128 Depth=2
	s_or_b32 exec_lo, exec_lo, s29
	s_delay_alu instid0(VALU_DEP_1) | instskip(NEXT) | instid1(VALU_DEP_2)
	v_dual_lshlrev_b32 v117, 24, v118 :: v_dual_lshlrev_b32 v64, 20, v64
	v_lshl_add_u32 v23, v23, 23, 0x3c000000
	s_delay_alu instid0(VALU_DEP_2) | instskip(NEXT) | instid1(VALU_DEP_1)
	v_and_b32_e32 v117, 0x80000000, v117
	v_or3_b32 v117, v64, v117, v23
.LBB4_350:                              ;   in Loop: Header=BB4_128 Depth=2
	s_or_b32 exec_lo, exec_lo, s28
.LBB4_351:                              ;   in Loop: Header=BB4_128 Depth=2
	s_delay_alu instid0(SALU_CYCLE_1)
	s_or_b32 exec_lo, exec_lo, s27
.LBB4_352:                              ;   in Loop: Header=BB4_128 Depth=2
	s_delay_alu instid0(SALU_CYCLE_1) | instskip(NEXT) | instid1(SALU_CYCLE_1)
	s_or_b32 exec_lo, exec_lo, s10
	s_mov_b32 s10, exec_lo
	v_cmpx_lt_u64_e64 s[14:15], v[18:19]
	s_cbranch_execz .LBB4_360
; %bb.353:                              ;   in Loop: Header=BB4_128 Depth=2
	v_lshrrev_b32_e32 v18, 24, v19
	v_bfrev_b32_e32 v22, 1
	s_mov_b32 s27, exec_lo
	s_delay_alu instid0(VALU_DEP_2)
	v_cmpx_ne_u32_e32 0x80, v18
	s_cbranch_execz .LBB4_359
; %bb.354:                              ;   in Loop: Header=BB4_128 Depth=2
	v_bfe_u32 v23, v19, 24, 7
	v_mov_b32_e32 v22, 0x7f800001
	s_mov_b32 s28, exec_lo
	s_delay_alu instid0(VALU_DEP_2)
	v_cmpx_ne_u32_e32 0x7f, v23
	s_cbranch_execz .LBB4_358
; %bb.355:                              ;   in Loop: Header=BB4_128 Depth=2
	v_dual_lshrrev_b32 v19, 3, v23 :: v_dual_bitop2_b32 v64, 7, v18 bitop3:0x40
	s_mov_b32 s29, exec_lo
	v_cmpx_gt_u32_e32 8, v23
; %bb.356:                              ;   in Loop: Header=BB4_128 Depth=2
	s_delay_alu instid0(VALU_DEP_2) | instskip(NEXT) | instid1(VALU_DEP_1)
	v_clz_i32_u32_e32 v19, v64
	v_min_u32_e32 v19, 32, v19
	s_delay_alu instid0(VALU_DEP_1) | instskip(NEXT) | instid1(VALU_DEP_1)
	v_subrev_nc_u32_e32 v22, 28, v19
	v_lshlrev_b64_e32 v[22:23], v22, v[64:65]
	s_delay_alu instid0(VALU_DEP_1)
	v_dual_sub_nc_u32 v19, 29, v19 :: v_dual_bitop2_b32 v64, 7, v22 bitop3:0x40
; %bb.357:                              ;   in Loop: Header=BB4_128 Depth=2
	s_or_b32 exec_lo, exec_lo, s29
	s_delay_alu instid0(VALU_DEP_1) | instskip(NEXT) | instid1(VALU_DEP_2)
	v_dual_lshlrev_b32 v18, 24, v18 :: v_dual_lshlrev_b32 v22, 20, v64
	v_lshl_add_u32 v19, v19, 23, 0x3c000000
	s_delay_alu instid0(VALU_DEP_2) | instskip(NEXT) | instid1(VALU_DEP_1)
	v_and_b32_e32 v18, 0x80000000, v18
	v_or3_b32 v22, v22, v18, v19
.LBB4_358:                              ;   in Loop: Header=BB4_128 Depth=2
	s_or_b32 exec_lo, exec_lo, s28
.LBB4_359:                              ;   in Loop: Header=BB4_128 Depth=2
	s_delay_alu instid0(SALU_CYCLE_1)
	s_or_b32 exec_lo, exec_lo, s27
.LBB4_360:                              ;   in Loop: Header=BB4_128 Depth=2
	s_delay_alu instid0(SALU_CYCLE_1) | instskip(NEXT) | instid1(VALU_DEP_1)
	s_or_b32 exec_lo, exec_lo, s10
	v_mul_f32_e32 v18, v117, v22
                                        ; implicit-def: $vgpr117
	s_mov_b32 s10, exec_lo
	s_delay_alu instid0(VALU_DEP_1) | instskip(SKIP_1) | instid1(VALU_DEP_2)
	v_and_b32_e32 v64, 0x7f800000, v18
	v_lshrrev_b32_e32 v19, 24, v18
	v_cmpx_ne_u64_e32 0x7f800000, v[64:65]
	s_xor_b32 s27, exec_lo, s10
	s_cbranch_execz .LBB4_374
; %bb.361:                              ;   in Loop: Header=BB4_128 Depth=2
	v_and_b32_e32 v64, 0x7fffffff, v18
	v_and_b32_e32 v118, 0x80, v19
                                        ; implicit-def: $vgpr117
	s_mov_b32 s10, exec_lo
	s_delay_alu instid0(VALU_DEP_2)
	v_cmpx_gt_u64_e32 0x43e00001, v[64:65]
	s_xor_b32 s28, exec_lo, s10
	s_cbranch_execz .LBB4_371
; %bb.362:                              ;   in Loop: Header=BB4_128 Depth=2
	v_mov_b32_e32 v117, 0
	s_mov_b32 s29, exec_lo
	v_cmpx_ne_u32_e32 0, v18
	s_cbranch_execz .LBB4_370
; %bb.363:                              ;   in Loop: Header=BB4_128 Depth=2
	v_bfe_u32 v117, v18, 23, 8
	v_and_b32_e32 v22, 0x7fffff, v18
	s_delay_alu instid0(VALU_DEP_2) | instskip(NEXT) | instid1(VALU_DEP_2)
	v_cmp_gt_u32_e32 vcc_lo, 0x7a, v117
	v_or_b32_e32 v23, 0x800000, v22
	v_sub_nc_u32_e32 v19, 0x79, v117
	s_delay_alu instid0(VALU_DEP_1) | instskip(SKIP_1) | instid1(VALU_DEP_2)
	v_cndmask_b32_e32 v19, 0, v19, vcc_lo
	v_cmp_eq_u32_e32 vcc_lo, 0, v117
	v_cndmask_b32_e64 v119, v19, 0x78, vcc_lo
	s_delay_alu instid0(VALU_DEP_1) | instskip(SKIP_1) | instid1(VALU_DEP_2)
	v_dual_cndmask_b32 v64, v23, v22, vcc_lo :: v_dual_add_nc_u32 v18, 20, v119
	v_add_nc_u32_e32 v60, 19, v119
	v_lshlrev_b64_e64 v[18:19], v18, -1
	s_delay_alu instid0(VALU_DEP_2) | instskip(NEXT) | instid1(VALU_DEP_2)
	v_lshlrev_b64_e64 v[22:23], v60, 1
	v_bfi_b32 v61, v19, 0, 0
	s_delay_alu instid0(VALU_DEP_3) | instskip(SKIP_1) | instid1(VALU_DEP_2)
	v_bfi_b32 v60, v18, 0, v64
	v_lshrrev_b64 v[18:19], v119, v[64:65]
	v_cmp_eq_u64_e64 s10, v[60:61], v[22:23]
	s_delay_alu instid0(VALU_DEP_2)
	v_mov_b64_e32 v[22:23], v[18:19]
	s_and_saveexec_b32 s40, s10
; %bb.364:                              ;   in Loop: Header=BB4_128 Depth=2
	v_bfe_u32 v64, v18, 20, 1
	s_delay_alu instid0(VALU_DEP_1) | instskip(NEXT) | instid1(VALU_DEP_1)
	v_add_nc_u64_e32 v[22:23], v[18:19], v[64:65]
	v_add_nc_u64_e32 v[22:23], -1, v[22:23]
; %bb.365:                              ;   in Loop: Header=BB4_128 Depth=2
	s_or_b32 exec_lo, exec_lo, s40
	v_add_nc_u32_e32 v19, 0xffffff81, v117
	v_lshrrev_b32_e32 v23, 23, v18
	s_mov_b32 s10, exec_lo
	s_delay_alu instid0(VALU_DEP_2) | instskip(NEXT) | instid1(VALU_DEP_1)
	v_cndmask_b32_e64 v19, v19, 0xffffff82, vcc_lo
	v_add3_u32 v23, v119, v19, v23
	v_and_b32_e32 v19, 0xfffff, v22
                                        ; implicit-def: $vgpr22
	s_delay_alu instid0(VALU_DEP_1) | instskip(NEXT) | instid1(VALU_DEP_1)
	v_dual_add_nc_u32 v117, 6, v23 :: v_dual_add_nc_u32 v64, v19, v18
                                        ; implicit-def: $vgpr18_vgpr19
	v_cmpx_ne_u32_e32 0, v117
	s_xor_b32 s10, exec_lo, s10
; %bb.366:                              ;   in Loop: Header=BB4_128 Depth=2
	s_delay_alu instid0(VALU_DEP_2) | instskip(SKIP_1) | instid1(VALU_DEP_1)
	v_cmp_lt_u64_e32 vcc_lo, 0xffffff, v[64:65]
	v_add_nc_u32_e32 v18, 7, v23
	v_cndmask_b32_e32 v22, v117, v18, vcc_lo
	v_cndmask_b32_e64 v18, 0, 1, vcc_lo
	s_delay_alu instid0(VALU_DEP_1)
	v_lshrrev_b64 v[18:19], v18, v[64:65]
; %bb.367:                              ;   in Loop: Header=BB4_128 Depth=2
	s_and_not1_saveexec_b32 s10, s10
; %bb.368:                              ;   in Loop: Header=BB4_128 Depth=2
	v_mov_b64_e32 v[18:19], v[64:65]
	v_bfe_u32 v22, v64, 23, 1
; %bb.369:                              ;   in Loop: Header=BB4_128 Depth=2
	s_or_b32 exec_lo, exec_lo, s10
	s_delay_alu instid0(VALU_DEP_2) | instskip(NEXT) | instid1(VALU_DEP_2)
	v_lshrrev_b64 v[18:19], 20, v[18:19]
	v_cmp_gt_i32_e32 vcc_lo, 16, v22
	v_min_i32_e32 v23, 15, v22
	v_cmp_eq_u32_e64 s10, 0, v22
	s_delay_alu instid0(VALU_DEP_4) | instskip(NEXT) | instid1(VALU_DEP_3)
	v_cndmask_b32_e32 v19, 0, v19, vcc_lo
	v_dual_cndmask_b32 v18, 7, v18 :: v_dual_lshlrev_b32 v23, 3, v23
	s_delay_alu instid0(VALU_DEP_1) | instskip(NEXT) | instid1(VALU_DEP_2)
	v_and_b32_e32 v23, 0xf8, v23
	v_cmp_eq_u64_e32 vcc_lo, 0, v[18:19]
	s_delay_alu instid0(VALU_DEP_2)
	v_and_or_b32 v18, v18, 7, v23
	s_and_b32 s10, s10, vcc_lo
	s_delay_alu instid0(VALU_DEP_1) | instid1(SALU_CYCLE_1)
	v_cndmask_b32_e64 v18, v18, 0, s10
	s_delay_alu instid0(VALU_DEP_1)
	v_or_b32_e32 v117, v18, v118
.LBB4_370:                              ;   in Loop: Header=BB4_128 Depth=2
	s_or_b32 exec_lo, exec_lo, s29
                                        ; implicit-def: $vgpr118
.LBB4_371:                              ;   in Loop: Header=BB4_128 Depth=2
	s_and_not1_saveexec_b32 s10, s28
; %bb.372:                              ;   in Loop: Header=BB4_128 Depth=2
	v_or_b32_e32 v117, 0x7e, v118
; %bb.373:                              ;   in Loop: Header=BB4_128 Depth=2
	s_or_b32 exec_lo, exec_lo, s10
                                        ; implicit-def: $vgpr19
.LBB4_374:                              ;   in Loop: Header=BB4_128 Depth=2
	s_and_not1_saveexec_b32 s10, s27
; %bb.375:                              ;   in Loop: Header=BB4_128 Depth=2
	v_or_b32_e32 v117, 0x7f, v19
; %bb.376:                              ;   in Loop: Header=BB4_128 Depth=2
	s_or_b32 exec_lo, exec_lo, s10
	v_and_b32_e32 v22, 0xff, v24
	v_dual_mov_b32 v18, 0 :: v_dual_mov_b32 v19, 0
	s_mov_b32 s10, exec_lo
	s_delay_alu instid0(VALU_DEP_2)
	v_cmpx_ne_u16_e32 0, v22
	s_cbranch_execz .LBB4_382
; %bb.377:                              ;   in Loop: Header=BB4_128 Depth=2
	v_bfrev_b32_e32 v19, 1
	s_mov_b32 s27, exec_lo
	v_cmpx_ne_u16_e32 0x80, v22
	s_cbranch_execz .LBB4_381
; %bb.378:                              ;   in Loop: Header=BB4_128 Depth=2
	v_and_b32_e32 v22, 0x7f, v24
	v_mov_b32_e32 v19, 0x7f800001
	s_mov_b32 s28, exec_lo
	s_delay_alu instid0(VALU_DEP_2)
	v_cmpx_ne_u32_e32 0x7f, v22
	s_cbranch_execz .LBB4_380
; %bb.379:                              ;   in Loop: Header=BB4_128 Depth=2
	v_dual_lshrrev_b32 v23, 3, v22 :: v_dual_bitop2_b32 v19, 7, v24 bitop3:0x40
	v_cmp_gt_u32_e32 vcc_lo, 8, v22
	s_delay_alu instid0(VALU_DEP_2) | instskip(NEXT) | instid1(VALU_DEP_1)
	v_clz_i32_u32_e32 v19, v19
	v_min_u32_e32 v19, 32, v19
	s_delay_alu instid0(VALU_DEP_1) | instskip(NEXT) | instid1(VALU_DEP_1)
	v_subrev_nc_u32_e32 v64, 28, v19
	v_dual_cndmask_b32 v22, 0, v64 :: v_dual_sub_nc_u32 v19, 29, v19
	s_delay_alu instid0(VALU_DEP_1) | instskip(NEXT) | instid1(VALU_DEP_2)
	v_cndmask_b32_e32 v19, v23, v19, vcc_lo
	v_lshlrev_b64_e32 v[22:23], v22, v[24:25]
	v_lshlrev_b32_e32 v23, 24, v24
	s_delay_alu instid0(VALU_DEP_3) | instskip(NEXT) | instid1(VALU_DEP_2)
	v_lshl_add_u32 v19, v19, 23, 0x3c000000
	v_and_b32_e32 v23, 0x80000000, v23
	s_delay_alu instid0(VALU_DEP_4) | instskip(NEXT) | instid1(VALU_DEP_1)
	v_lshlrev_b32_e32 v22, 20, v22
	v_and_b32_e32 v22, 0x700000, v22
	s_delay_alu instid0(VALU_DEP_1)
	v_or3_b32 v19, v22, v23, v19
.LBB4_380:                              ;   in Loop: Header=BB4_128 Depth=2
	s_or_b32 exec_lo, exec_lo, s28
.LBB4_381:                              ;   in Loop: Header=BB4_128 Depth=2
	s_delay_alu instid0(SALU_CYCLE_1)
	s_or_b32 exec_lo, exec_lo, s27
.LBB4_382:                              ;   in Loop: Header=BB4_128 Depth=2
	s_delay_alu instid0(SALU_CYCLE_1) | instskip(SKIP_2) | instid1(VALU_DEP_1)
	s_or_b32 exec_lo, exec_lo, s10
	v_and_b32_e32 v22, 0xff, v20
	s_mov_b32 s10, exec_lo
	v_cmpx_ne_u16_e32 0, v22
	s_cbranch_execz .LBB4_388
; %bb.383:                              ;   in Loop: Header=BB4_128 Depth=2
	v_bfrev_b32_e32 v18, 1
	s_mov_b32 s27, exec_lo
	v_cmpx_ne_u16_e32 0x80, v22
	s_cbranch_execz .LBB4_387
; %bb.384:                              ;   in Loop: Header=BB4_128 Depth=2
	v_and_b32_e32 v22, 0x7f, v20
	v_mov_b32_e32 v18, 0x7f800001
	s_mov_b32 s28, exec_lo
	s_delay_alu instid0(VALU_DEP_2)
	v_cmpx_ne_u32_e32 0x7f, v22
	s_cbranch_execz .LBB4_386
; %bb.385:                              ;   in Loop: Header=BB4_128 Depth=2
	v_dual_lshrrev_b32 v23, 3, v22 :: v_dual_bitop2_b32 v18, 7, v20 bitop3:0x40
	v_cmp_gt_u32_e32 vcc_lo, 8, v22
	s_delay_alu instid0(VALU_DEP_2) | instskip(NEXT) | instid1(VALU_DEP_1)
	v_clz_i32_u32_e32 v18, v18
	v_min_u32_e32 v18, 32, v18
	s_delay_alu instid0(VALU_DEP_1) | instskip(NEXT) | instid1(VALU_DEP_1)
	v_subrev_nc_u32_e32 v64, 28, v18
	v_dual_sub_nc_u32 v18, 29, v18 :: v_dual_cndmask_b32 v22, 0, v64, vcc_lo
	s_delay_alu instid0(VALU_DEP_1) | instskip(NEXT) | instid1(VALU_DEP_2)
	v_cndmask_b32_e32 v18, v23, v18, vcc_lo
	v_lshlrev_b64_e32 v[22:23], v22, v[20:21]
	v_lshlrev_b32_e32 v23, 24, v20
	s_delay_alu instid0(VALU_DEP_3) | instskip(NEXT) | instid1(VALU_DEP_2)
	v_lshl_add_u32 v18, v18, 23, 0x3c000000
	v_and_b32_e32 v23, 0x80000000, v23
	s_delay_alu instid0(VALU_DEP_4) | instskip(NEXT) | instid1(VALU_DEP_1)
	v_lshlrev_b32_e32 v22, 20, v22
	v_and_b32_e32 v22, 0x700000, v22
	s_delay_alu instid0(VALU_DEP_1)
	v_or3_b32 v18, v22, v23, v18
.LBB4_386:                              ;   in Loop: Header=BB4_128 Depth=2
	s_or_b32 exec_lo, exec_lo, s28
.LBB4_387:                              ;   in Loop: Header=BB4_128 Depth=2
	s_delay_alu instid0(SALU_CYCLE_1)
	s_or_b32 exec_lo, exec_lo, s27
.LBB4_388:                              ;   in Loop: Header=BB4_128 Depth=2
	s_delay_alu instid0(SALU_CYCLE_1) | instskip(NEXT) | instid1(VALU_DEP_1)
	s_or_b32 exec_lo, exec_lo, s10
	v_mul_f32_e32 v18, v19, v18
                                        ; implicit-def: $vgpr118
	s_mov_b32 s10, exec_lo
	s_delay_alu instid0(VALU_DEP_1) | instskip(SKIP_1) | instid1(VALU_DEP_2)
	v_and_b32_e32 v64, 0x7f800000, v18
	v_lshrrev_b32_e32 v19, 24, v18
	v_cmpx_ne_u64_e32 0x7f800000, v[64:65]
	s_xor_b32 s27, exec_lo, s10
	s_cbranch_execz .LBB4_402
; %bb.389:                              ;   in Loop: Header=BB4_128 Depth=2
	v_and_b32_e32 v64, 0x7fffffff, v18
	v_and_b32_e32 v119, 0x80, v19
                                        ; implicit-def: $vgpr118
	s_mov_b32 s10, exec_lo
	s_delay_alu instid0(VALU_DEP_2)
	v_cmpx_gt_u64_e32 0x43e00001, v[64:65]
	s_xor_b32 s28, exec_lo, s10
	s_cbranch_execz .LBB4_399
; %bb.390:                              ;   in Loop: Header=BB4_128 Depth=2
	v_mov_b32_e32 v118, 0
	s_mov_b32 s29, exec_lo
	v_cmpx_ne_u32_e32 0, v18
	s_cbranch_execz .LBB4_398
; %bb.391:                              ;   in Loop: Header=BB4_128 Depth=2
	v_bfe_u32 v118, v18, 23, 8
	v_and_b32_e32 v22, 0x7fffff, v18
	s_delay_alu instid0(VALU_DEP_2) | instskip(SKIP_1) | instid1(VALU_DEP_3)
	v_sub_nc_u32_e32 v19, 0x79, v118
	v_cmp_gt_u32_e32 vcc_lo, 0x7a, v118
	v_or_b32_e32 v23, 0x800000, v22
	s_delay_alu instid0(VALU_DEP_3) | instskip(SKIP_1) | instid1(VALU_DEP_2)
	v_cndmask_b32_e32 v19, 0, v19, vcc_lo
	v_cmp_eq_u32_e32 vcc_lo, 0, v118
	v_cndmask_b32_e64 v60, v19, 0x78, vcc_lo
	s_delay_alu instid0(VALU_DEP_1) | instskip(SKIP_1) | instid1(VALU_DEP_2)
	v_dual_cndmask_b32 v64, v23, v22 :: v_dual_add_nc_u32 v61, 19, v60
	v_add_nc_u32_e32 v18, 20, v60
	v_lshlrev_b64_e64 v[22:23], v61, 1
	s_delay_alu instid0(VALU_DEP_2) | instskip(NEXT) | instid1(VALU_DEP_1)
	v_lshlrev_b64_e64 v[18:19], v18, -1
	v_bfi_b32 v63, v19, 0, 0
	s_delay_alu instid0(VALU_DEP_2) | instskip(SKIP_1) | instid1(VALU_DEP_2)
	v_bfi_b32 v62, v18, 0, v64
	v_lshrrev_b64 v[18:19], v60, v[64:65]
	v_cmp_eq_u64_e64 s10, v[62:63], v[22:23]
	s_delay_alu instid0(VALU_DEP_2)
	v_mov_b64_e32 v[22:23], v[18:19]
	s_and_saveexec_b32 s40, s10
; %bb.392:                              ;   in Loop: Header=BB4_128 Depth=2
	v_bfe_u32 v64, v18, 20, 1
	s_delay_alu instid0(VALU_DEP_1) | instskip(NEXT) | instid1(VALU_DEP_1)
	v_add_nc_u64_e32 v[22:23], v[18:19], v[64:65]
	v_add_nc_u64_e32 v[22:23], -1, v[22:23]
; %bb.393:                              ;   in Loop: Header=BB4_128 Depth=2
	s_or_b32 exec_lo, exec_lo, s40
	v_add_nc_u32_e32 v19, 0xffffff81, v118
	v_lshrrev_b32_e32 v23, 23, v18
	s_mov_b32 s10, exec_lo
	s_delay_alu instid0(VALU_DEP_2) | instskip(NEXT) | instid1(VALU_DEP_1)
	v_cndmask_b32_e64 v19, v19, 0xffffff82, vcc_lo
	v_add3_u32 v23, v60, v19, v23
	v_and_b32_e32 v19, 0xfffff, v22
                                        ; implicit-def: $vgpr22
	s_delay_alu instid0(VALU_DEP_1) | instskip(NEXT) | instid1(VALU_DEP_1)
	v_dual_add_nc_u32 v118, 6, v23 :: v_dual_add_nc_u32 v64, v19, v18
                                        ; implicit-def: $vgpr18_vgpr19
	v_cmpx_ne_u32_e32 0, v118
	s_xor_b32 s10, exec_lo, s10
; %bb.394:                              ;   in Loop: Header=BB4_128 Depth=2
	s_delay_alu instid0(VALU_DEP_2) | instskip(SKIP_1) | instid1(VALU_DEP_1)
	v_cmp_lt_u64_e32 vcc_lo, 0xffffff, v[64:65]
	v_add_nc_u32_e32 v18, 7, v23
	v_cndmask_b32_e32 v22, v118, v18, vcc_lo
	v_cndmask_b32_e64 v18, 0, 1, vcc_lo
	s_delay_alu instid0(VALU_DEP_1)
	v_lshrrev_b64 v[18:19], v18, v[64:65]
; %bb.395:                              ;   in Loop: Header=BB4_128 Depth=2
	s_and_not1_saveexec_b32 s10, s10
; %bb.396:                              ;   in Loop: Header=BB4_128 Depth=2
	v_mov_b64_e32 v[18:19], v[64:65]
	v_bfe_u32 v22, v64, 23, 1
; %bb.397:                              ;   in Loop: Header=BB4_128 Depth=2
	s_or_b32 exec_lo, exec_lo, s10
	s_delay_alu instid0(VALU_DEP_2) | instskip(NEXT) | instid1(VALU_DEP_2)
	v_lshrrev_b64 v[18:19], 20, v[18:19]
	v_cmp_gt_i32_e32 vcc_lo, 16, v22
	v_min_i32_e32 v23, 15, v22
	v_cmp_eq_u32_e64 s10, 0, v22
	s_delay_alu instid0(VALU_DEP_4) | instskip(NEXT) | instid1(VALU_DEP_3)
	v_cndmask_b32_e32 v19, 0, v19, vcc_lo
	v_dual_cndmask_b32 v18, 7, v18 :: v_dual_lshlrev_b32 v23, 3, v23
	s_delay_alu instid0(VALU_DEP_1) | instskip(NEXT) | instid1(VALU_DEP_2)
	v_and_b32_e32 v23, 0xf8, v23
	v_cmp_eq_u64_e32 vcc_lo, 0, v[18:19]
	s_delay_alu instid0(VALU_DEP_2)
	v_and_or_b32 v18, v18, 7, v23
	s_and_b32 s10, s10, vcc_lo
	s_delay_alu instid0(VALU_DEP_1) | instid1(SALU_CYCLE_1)
	v_cndmask_b32_e64 v18, v18, 0, s10
	s_delay_alu instid0(VALU_DEP_1)
	v_or_b32_e32 v118, v18, v119
.LBB4_398:                              ;   in Loop: Header=BB4_128 Depth=2
	s_or_b32 exec_lo, exec_lo, s29
                                        ; implicit-def: $vgpr119
.LBB4_399:                              ;   in Loop: Header=BB4_128 Depth=2
	s_and_not1_saveexec_b32 s10, s28
; %bb.400:                              ;   in Loop: Header=BB4_128 Depth=2
	v_or_b32_e32 v118, 0x7e, v119
; %bb.401:                              ;   in Loop: Header=BB4_128 Depth=2
	s_or_b32 exec_lo, exec_lo, s10
                                        ; implicit-def: $vgpr19
.LBB4_402:                              ;   in Loop: Header=BB4_128 Depth=2
	s_and_not1_saveexec_b32 s10, s27
; %bb.403:                              ;   in Loop: Header=BB4_128 Depth=2
	v_or_b32_e32 v118, 0x7f, v19
; %bb.404:                              ;   in Loop: Header=BB4_128 Depth=2
	s_or_b32 exec_lo, exec_lo, s10
	v_lshrrev_b16 v22, 8, v24
	v_dual_mov_b32 v18, 0 :: v_dual_mov_b32 v19, 0
	s_mov_b32 s10, exec_lo
	s_delay_alu instid0(VALU_DEP_2)
	v_cmpx_ne_u16_e32 0, v22
	s_cbranch_execz .LBB4_412
; %bb.405:                              ;   in Loop: Header=BB4_128 Depth=2
	v_bfrev_b32_e32 v19, 1
	s_mov_b32 s27, exec_lo
	v_cmpx_ne_u16_e32 0x80, v22
	s_cbranch_execz .LBB4_411
; %bb.406:                              ;   in Loop: Header=BB4_128 Depth=2
	v_and_b32_e32 v23, 0xffff, v22
	v_mov_b32_e32 v19, 0x7f800001
	s_mov_b32 s28, exec_lo
	s_delay_alu instid0(VALU_DEP_2) | instskip(NEXT) | instid1(VALU_DEP_1)
	v_and_b32_e32 v22, 0x7f, v23
	v_cmpx_ne_u32_e32 0x7f, v22
	s_cbranch_execz .LBB4_410
; %bb.407:                              ;   in Loop: Header=BB4_128 Depth=2
	v_dual_lshrrev_b32 v19, 3, v22 :: v_dual_bitop2_b32 v64, 7, v23 bitop3:0x40
	s_mov_b32 s29, exec_lo
	v_cmpx_gt_u32_e32 8, v22
; %bb.408:                              ;   in Loop: Header=BB4_128 Depth=2
	s_delay_alu instid0(VALU_DEP_2) | instskip(NEXT) | instid1(VALU_DEP_1)
	v_clz_i32_u32_e32 v19, v64
	v_min_u32_e32 v19, 32, v19
	s_delay_alu instid0(VALU_DEP_1) | instskip(NEXT) | instid1(VALU_DEP_1)
	v_subrev_nc_u32_e32 v22, 28, v19
	v_lshlrev_b64_e32 v[22:23], v22, v[64:65]
	s_delay_alu instid0(VALU_DEP_1)
	v_dual_sub_nc_u32 v19, 29, v19 :: v_dual_bitop2_b32 v64, 7, v22 bitop3:0x40
; %bb.409:                              ;   in Loop: Header=BB4_128 Depth=2
	s_or_b32 exec_lo, exec_lo, s29
	v_lshlrev_b32_e32 v22, 16, v24
	s_delay_alu instid0(VALU_DEP_2) | instskip(NEXT) | instid1(VALU_DEP_3)
	v_lshlrev_b32_e32 v23, 20, v64
	v_lshl_add_u32 v19, v19, 23, 0x3c000000
	s_delay_alu instid0(VALU_DEP_3) | instskip(NEXT) | instid1(VALU_DEP_1)
	v_and_b32_e32 v22, 0x80000000, v22
	v_or3_b32 v19, v23, v22, v19
.LBB4_410:                              ;   in Loop: Header=BB4_128 Depth=2
	s_or_b32 exec_lo, exec_lo, s28
.LBB4_411:                              ;   in Loop: Header=BB4_128 Depth=2
	s_delay_alu instid0(SALU_CYCLE_1)
	s_or_b32 exec_lo, exec_lo, s27
.LBB4_412:                              ;   in Loop: Header=BB4_128 Depth=2
	s_delay_alu instid0(SALU_CYCLE_1) | instskip(SKIP_2) | instid1(VALU_DEP_1)
	s_or_b32 exec_lo, exec_lo, s10
	v_lshrrev_b16 v22, 8, v20
	s_mov_b32 s10, exec_lo
	v_cmpx_ne_u16_e32 0, v22
	s_cbranch_execz .LBB4_420
; %bb.413:                              ;   in Loop: Header=BB4_128 Depth=2
	v_bfrev_b32_e32 v18, 1
	s_mov_b32 s27, exec_lo
	v_cmpx_ne_u16_e32 0x80, v22
	s_cbranch_execz .LBB4_419
; %bb.414:                              ;   in Loop: Header=BB4_128 Depth=2
	v_and_b32_e32 v23, 0xffff, v22
	v_mov_b32_e32 v18, 0x7f800001
	s_mov_b32 s28, exec_lo
	s_delay_alu instid0(VALU_DEP_2) | instskip(NEXT) | instid1(VALU_DEP_1)
	v_and_b32_e32 v22, 0x7f, v23
	v_cmpx_ne_u32_e32 0x7f, v22
	s_cbranch_execz .LBB4_418
; %bb.415:                              ;   in Loop: Header=BB4_128 Depth=2
	v_dual_lshrrev_b32 v18, 3, v22 :: v_dual_bitop2_b32 v64, 7, v23 bitop3:0x40
	s_mov_b32 s29, exec_lo
	v_cmpx_gt_u32_e32 8, v22
; %bb.416:                              ;   in Loop: Header=BB4_128 Depth=2
	s_delay_alu instid0(VALU_DEP_2) | instskip(NEXT) | instid1(VALU_DEP_1)
	v_clz_i32_u32_e32 v18, v64
	v_min_u32_e32 v18, 32, v18
	s_delay_alu instid0(VALU_DEP_1) | instskip(SKIP_1) | instid1(VALU_DEP_2)
	v_subrev_nc_u32_e32 v22, 28, v18
	v_sub_nc_u32_e32 v18, 29, v18
	v_lshlrev_b64_e32 v[22:23], v22, v[64:65]
	s_delay_alu instid0(VALU_DEP_1)
	v_and_b32_e32 v64, 7, v22
; %bb.417:                              ;   in Loop: Header=BB4_128 Depth=2
	s_or_b32 exec_lo, exec_lo, s29
	v_lshlrev_b32_e32 v22, 16, v20
	s_delay_alu instid0(VALU_DEP_2) | instskip(SKIP_1) | instid1(VALU_DEP_3)
	v_lshlrev_b32_e32 v23, 20, v64
	v_lshl_add_u32 v18, v18, 23, 0x3c000000
	v_and_b32_e32 v22, 0x80000000, v22
	s_delay_alu instid0(VALU_DEP_1)
	v_or3_b32 v18, v23, v22, v18
.LBB4_418:                              ;   in Loop: Header=BB4_128 Depth=2
	s_or_b32 exec_lo, exec_lo, s28
.LBB4_419:                              ;   in Loop: Header=BB4_128 Depth=2
	s_delay_alu instid0(SALU_CYCLE_1)
	s_or_b32 exec_lo, exec_lo, s27
.LBB4_420:                              ;   in Loop: Header=BB4_128 Depth=2
	s_delay_alu instid0(SALU_CYCLE_1) | instskip(NEXT) | instid1(VALU_DEP_1)
	s_or_b32 exec_lo, exec_lo, s10
	v_mul_f32_e32 v18, v19, v18
                                        ; implicit-def: $vgpr119
	s_mov_b32 s10, exec_lo
	s_delay_alu instid0(VALU_DEP_1) | instskip(SKIP_1) | instid1(VALU_DEP_2)
	v_and_b32_e32 v64, 0x7f800000, v18
	v_lshrrev_b32_e32 v19, 24, v18
	v_cmpx_ne_u64_e32 0x7f800000, v[64:65]
	s_xor_b32 s27, exec_lo, s10
	s_cbranch_execz .LBB4_434
; %bb.421:                              ;   in Loop: Header=BB4_128 Depth=2
	v_and_b32_e32 v64, 0x7fffffff, v18
	v_and_b32_e32 v60, 0x80, v19
                                        ; implicit-def: $vgpr119
	s_mov_b32 s10, exec_lo
	s_delay_alu instid0(VALU_DEP_2)
	v_cmpx_gt_u64_e32 0x43e00001, v[64:65]
	s_xor_b32 s28, exec_lo, s10
	s_cbranch_execz .LBB4_431
; %bb.422:                              ;   in Loop: Header=BB4_128 Depth=2
	v_mov_b32_e32 v119, 0
	s_mov_b32 s29, exec_lo
	v_cmpx_ne_u32_e32 0, v18
	s_cbranch_execz .LBB4_430
; %bb.423:                              ;   in Loop: Header=BB4_128 Depth=2
	v_bfe_u32 v119, v18, 23, 8
	v_and_b32_e32 v22, 0x7fffff, v18
	s_delay_alu instid0(VALU_DEP_2) | instskip(NEXT) | instid1(VALU_DEP_2)
	v_cmp_gt_u32_e32 vcc_lo, 0x7a, v119
	v_or_b32_e32 v23, 0x800000, v22
	v_sub_nc_u32_e32 v19, 0x79, v119
	s_delay_alu instid0(VALU_DEP_1) | instskip(SKIP_1) | instid1(VALU_DEP_2)
	v_cndmask_b32_e32 v19, 0, v19, vcc_lo
	v_cmp_eq_u32_e32 vcc_lo, 0, v119
	v_cndmask_b32_e64 v61, v19, 0x78, vcc_lo
	s_delay_alu instid0(VALU_DEP_1) | instskip(SKIP_1) | instid1(VALU_DEP_2)
	v_dual_cndmask_b32 v64, v23, v22, vcc_lo :: v_dual_add_nc_u32 v18, 20, v61
	v_add_nc_u32_e32 v62, 19, v61
	v_lshlrev_b64_e64 v[18:19], v18, -1
	s_delay_alu instid0(VALU_DEP_2) | instskip(NEXT) | instid1(VALU_DEP_2)
	v_lshlrev_b64_e64 v[22:23], v62, 1
	v_bfi_b32 v63, v19, 0, 0
	s_delay_alu instid0(VALU_DEP_3) | instskip(SKIP_1) | instid1(VALU_DEP_2)
	v_bfi_b32 v62, v18, 0, v64
	v_lshrrev_b64 v[18:19], v61, v[64:65]
	v_cmp_eq_u64_e64 s10, v[62:63], v[22:23]
	s_delay_alu instid0(VALU_DEP_2)
	v_mov_b64_e32 v[22:23], v[18:19]
	s_and_saveexec_b32 s40, s10
; %bb.424:                              ;   in Loop: Header=BB4_128 Depth=2
	v_bfe_u32 v64, v18, 20, 1
	s_delay_alu instid0(VALU_DEP_1) | instskip(NEXT) | instid1(VALU_DEP_1)
	v_add_nc_u64_e32 v[22:23], v[18:19], v[64:65]
	v_add_nc_u64_e32 v[22:23], -1, v[22:23]
; %bb.425:                              ;   in Loop: Header=BB4_128 Depth=2
	s_or_b32 exec_lo, exec_lo, s40
	v_add_nc_u32_e32 v19, 0xffffff81, v119
	v_lshrrev_b32_e32 v23, 23, v18
	s_mov_b32 s10, exec_lo
	s_delay_alu instid0(VALU_DEP_2) | instskip(NEXT) | instid1(VALU_DEP_1)
	v_cndmask_b32_e64 v19, v19, 0xffffff82, vcc_lo
	v_add3_u32 v23, v61, v19, v23
	v_and_b32_e32 v19, 0xfffff, v22
                                        ; implicit-def: $vgpr22
	s_delay_alu instid0(VALU_DEP_1) | instskip(NEXT) | instid1(VALU_DEP_1)
	v_dual_add_nc_u32 v119, 6, v23 :: v_dual_add_nc_u32 v64, v19, v18
                                        ; implicit-def: $vgpr18_vgpr19
	v_cmpx_ne_u32_e32 0, v119
	s_xor_b32 s10, exec_lo, s10
; %bb.426:                              ;   in Loop: Header=BB4_128 Depth=2
	s_delay_alu instid0(VALU_DEP_2) | instskip(SKIP_1) | instid1(VALU_DEP_1)
	v_cmp_lt_u64_e32 vcc_lo, 0xffffff, v[64:65]
	v_add_nc_u32_e32 v18, 7, v23
	v_cndmask_b32_e32 v22, v119, v18, vcc_lo
	v_cndmask_b32_e64 v18, 0, 1, vcc_lo
	s_delay_alu instid0(VALU_DEP_1)
	v_lshrrev_b64 v[18:19], v18, v[64:65]
; %bb.427:                              ;   in Loop: Header=BB4_128 Depth=2
	s_and_not1_saveexec_b32 s10, s10
; %bb.428:                              ;   in Loop: Header=BB4_128 Depth=2
	v_mov_b64_e32 v[18:19], v[64:65]
	v_bfe_u32 v22, v64, 23, 1
; %bb.429:                              ;   in Loop: Header=BB4_128 Depth=2
	s_or_b32 exec_lo, exec_lo, s10
	s_delay_alu instid0(VALU_DEP_2) | instskip(NEXT) | instid1(VALU_DEP_2)
	v_lshrrev_b64 v[18:19], 20, v[18:19]
	v_cmp_gt_i32_e32 vcc_lo, 16, v22
	v_min_i32_e32 v23, 15, v22
	v_cmp_eq_u32_e64 s10, 0, v22
	s_delay_alu instid0(VALU_DEP_4) | instskip(NEXT) | instid1(VALU_DEP_3)
	v_cndmask_b32_e32 v19, 0, v19, vcc_lo
	v_dual_cndmask_b32 v18, 7, v18 :: v_dual_lshlrev_b32 v23, 3, v23
	s_delay_alu instid0(VALU_DEP_1) | instskip(NEXT) | instid1(VALU_DEP_2)
	v_and_b32_e32 v23, 0xf8, v23
	v_cmp_eq_u64_e32 vcc_lo, 0, v[18:19]
	s_delay_alu instid0(VALU_DEP_2)
	v_and_or_b32 v18, v18, 7, v23
	s_and_b32 s10, s10, vcc_lo
	s_delay_alu instid0(VALU_DEP_1) | instid1(SALU_CYCLE_1)
	v_cndmask_b32_e64 v18, v18, 0, s10
	s_delay_alu instid0(VALU_DEP_1)
	v_or_b32_e32 v119, v18, v60
.LBB4_430:                              ;   in Loop: Header=BB4_128 Depth=2
	s_or_b32 exec_lo, exec_lo, s29
                                        ; implicit-def: $vgpr60
.LBB4_431:                              ;   in Loop: Header=BB4_128 Depth=2
	s_and_not1_saveexec_b32 s10, s28
; %bb.432:                              ;   in Loop: Header=BB4_128 Depth=2
	v_or_b32_e32 v119, 0x7e, v60
; %bb.433:                              ;   in Loop: Header=BB4_128 Depth=2
	s_or_b32 exec_lo, exec_lo, s10
                                        ; implicit-def: $vgpr19
.LBB4_434:                              ;   in Loop: Header=BB4_128 Depth=2
	s_and_not1_saveexec_b32 s10, s27
; %bb.435:                              ;   in Loop: Header=BB4_128 Depth=2
	v_or_b32_e32 v119, 0x7f, v19
; %bb.436:                              ;   in Loop: Header=BB4_128 Depth=2
	s_or_b32 exec_lo, exec_lo, s10
	v_dual_lshrrev_b32 v22, 16, v24 :: v_dual_mov_b32 v18, 0
	v_mov_b32_e32 v19, 0
	s_mov_b32 s10, exec_lo
	s_delay_alu instid0(VALU_DEP_2) | instskip(NEXT) | instid1(VALU_DEP_1)
	v_and_b32_e32 v23, 0xff, v22
	v_cmpx_ne_u16_e32 0, v23
	s_cbranch_execz .LBB4_444
; %bb.437:                              ;   in Loop: Header=BB4_128 Depth=2
	v_bfrev_b32_e32 v19, 1
	s_mov_b32 s27, exec_lo
	v_cmpx_ne_u16_e32 0x80, v23
	s_cbranch_execz .LBB4_443
; %bb.438:                              ;   in Loop: Header=BB4_128 Depth=2
	v_bfe_u32 v23, v24, 16, 7
	v_mov_b32_e32 v19, 0x7f800001
	s_mov_b32 s28, exec_lo
	s_delay_alu instid0(VALU_DEP_2)
	v_cmpx_ne_u32_e32 0x7f, v23
	s_cbranch_execz .LBB4_442
; %bb.439:                              ;   in Loop: Header=BB4_128 Depth=2
	v_dual_lshrrev_b32 v19, 3, v23 :: v_dual_bitop2_b32 v64, 7, v22 bitop3:0x40
	s_mov_b32 s29, exec_lo
	v_cmpx_gt_u32_e32 8, v23
; %bb.440:                              ;   in Loop: Header=BB4_128 Depth=2
	s_delay_alu instid0(VALU_DEP_2) | instskip(NEXT) | instid1(VALU_DEP_1)
	v_clz_i32_u32_e32 v19, v64
	v_min_u32_e32 v19, 32, v19
	s_delay_alu instid0(VALU_DEP_1) | instskip(NEXT) | instid1(VALU_DEP_1)
	v_subrev_nc_u32_e32 v23, 28, v19
	v_lshlrev_b64_e32 v[60:61], v23, v[64:65]
	s_delay_alu instid0(VALU_DEP_1)
	v_dual_sub_nc_u32 v19, 29, v19 :: v_dual_bitop2_b32 v64, 7, v60 bitop3:0x40
; %bb.441:                              ;   in Loop: Header=BB4_128 Depth=2
	s_or_b32 exec_lo, exec_lo, s29
	s_delay_alu instid0(VALU_DEP_1) | instskip(NEXT) | instid1(VALU_DEP_2)
	v_dual_lshlrev_b32 v22, 24, v22 :: v_dual_lshlrev_b32 v23, 20, v64
	v_lshl_add_u32 v19, v19, 23, 0x3c000000
	s_delay_alu instid0(VALU_DEP_2) | instskip(NEXT) | instid1(VALU_DEP_1)
	v_and_b32_e32 v22, 0x80000000, v22
	v_or3_b32 v19, v23, v22, v19
.LBB4_442:                              ;   in Loop: Header=BB4_128 Depth=2
	s_or_b32 exec_lo, exec_lo, s28
.LBB4_443:                              ;   in Loop: Header=BB4_128 Depth=2
	s_delay_alu instid0(SALU_CYCLE_1)
	s_or_b32 exec_lo, exec_lo, s27
.LBB4_444:                              ;   in Loop: Header=BB4_128 Depth=2
	s_delay_alu instid0(SALU_CYCLE_1) | instskip(SKIP_2) | instid1(VALU_DEP_1)
	s_or_b32 exec_lo, exec_lo, s10
	v_lshrrev_b32_e32 v22, 16, v20
	s_mov_b32 s10, exec_lo
	v_and_b32_e32 v23, 0xff, v22
	s_delay_alu instid0(VALU_DEP_1)
	v_cmpx_ne_u16_e32 0, v23
	s_cbranch_execz .LBB4_452
; %bb.445:                              ;   in Loop: Header=BB4_128 Depth=2
	v_bfrev_b32_e32 v18, 1
	s_mov_b32 s27, exec_lo
	v_cmpx_ne_u16_e32 0x80, v23
	s_cbranch_execz .LBB4_451
; %bb.446:                              ;   in Loop: Header=BB4_128 Depth=2
	v_bfe_u32 v23, v20, 16, 7
	v_mov_b32_e32 v18, 0x7f800001
	s_mov_b32 s28, exec_lo
	s_delay_alu instid0(VALU_DEP_2)
	v_cmpx_ne_u32_e32 0x7f, v23
	s_cbranch_execz .LBB4_450
; %bb.447:                              ;   in Loop: Header=BB4_128 Depth=2
	v_dual_lshrrev_b32 v18, 3, v23 :: v_dual_bitop2_b32 v64, 7, v22 bitop3:0x40
	s_mov_b32 s29, exec_lo
	v_cmpx_gt_u32_e32 8, v23
; %bb.448:                              ;   in Loop: Header=BB4_128 Depth=2
	s_delay_alu instid0(VALU_DEP_2) | instskip(NEXT) | instid1(VALU_DEP_1)
	v_clz_i32_u32_e32 v18, v64
	v_min_u32_e32 v18, 32, v18
	s_delay_alu instid0(VALU_DEP_1) | instskip(SKIP_1) | instid1(VALU_DEP_2)
	v_subrev_nc_u32_e32 v22, 28, v18
	v_sub_nc_u32_e32 v18, 29, v18
	v_lshlrev_b64_e32 v[22:23], v22, v[64:65]
	s_delay_alu instid0(VALU_DEP_1)
	v_and_b32_e32 v64, 7, v22
; %bb.449:                              ;   in Loop: Header=BB4_128 Depth=2
	s_or_b32 exec_lo, exec_lo, s29
	v_lshlrev_b32_e32 v22, 8, v20
	s_delay_alu instid0(VALU_DEP_2) | instskip(SKIP_1) | instid1(VALU_DEP_3)
	v_lshlrev_b32_e32 v23, 20, v64
	v_lshl_add_u32 v18, v18, 23, 0x3c000000
	v_and_b32_e32 v22, 0x80000000, v22
	s_delay_alu instid0(VALU_DEP_1)
	v_or3_b32 v18, v23, v22, v18
.LBB4_450:                              ;   in Loop: Header=BB4_128 Depth=2
	s_or_b32 exec_lo, exec_lo, s28
.LBB4_451:                              ;   in Loop: Header=BB4_128 Depth=2
	s_delay_alu instid0(SALU_CYCLE_1)
	s_or_b32 exec_lo, exec_lo, s27
.LBB4_452:                              ;   in Loop: Header=BB4_128 Depth=2
	s_delay_alu instid0(SALU_CYCLE_1) | instskip(NEXT) | instid1(VALU_DEP_1)
	s_or_b32 exec_lo, exec_lo, s10
	v_mul_f32_e32 v18, v19, v18
                                        ; implicit-def: $vgpr60
	s_mov_b32 s10, exec_lo
	s_delay_alu instid0(VALU_DEP_1) | instskip(SKIP_1) | instid1(VALU_DEP_2)
	v_and_b32_e32 v64, 0x7f800000, v18
	v_lshrrev_b32_e32 v19, 24, v18
	v_cmpx_ne_u64_e32 0x7f800000, v[64:65]
	s_xor_b32 s27, exec_lo, s10
	s_cbranch_execz .LBB4_466
; %bb.453:                              ;   in Loop: Header=BB4_128 Depth=2
	v_and_b32_e32 v64, 0x7fffffff, v18
	v_and_b32_e32 v61, 0x80, v19
                                        ; implicit-def: $vgpr60
	s_mov_b32 s10, exec_lo
	s_delay_alu instid0(VALU_DEP_2)
	v_cmpx_gt_u64_e32 0x43e00001, v[64:65]
	s_xor_b32 s28, exec_lo, s10
	s_cbranch_execz .LBB4_463
; %bb.454:                              ;   in Loop: Header=BB4_128 Depth=2
	v_mov_b32_e32 v60, 0
	s_mov_b32 s29, exec_lo
	v_cmpx_ne_u32_e32 0, v18
	s_cbranch_execz .LBB4_462
; %bb.455:                              ;   in Loop: Header=BB4_128 Depth=2
	v_bfe_u32 v60, v18, 23, 8
	v_and_b32_e32 v22, 0x7fffff, v18
	s_delay_alu instid0(VALU_DEP_2) | instskip(NEXT) | instid1(VALU_DEP_2)
	v_cmp_gt_u32_e32 vcc_lo, 0x7a, v60
	v_or_b32_e32 v23, 0x800000, v22
	v_sub_nc_u32_e32 v19, 0x79, v60
	s_delay_alu instid0(VALU_DEP_1) | instskip(SKIP_1) | instid1(VALU_DEP_2)
	v_cndmask_b32_e32 v19, 0, v19, vcc_lo
	v_cmp_eq_u32_e32 vcc_lo, 0, v60
	v_cndmask_b32_e64 v62, v19, 0x78, vcc_lo
	v_cndmask_b32_e32 v64, v23, v22, vcc_lo
	s_delay_alu instid0(VALU_DEP_2) | instskip(NEXT) | instid1(VALU_DEP_1)
	v_dual_add_nc_u32 v18, 20, v62 :: v_dual_add_nc_u32 v63, 19, v62
	v_lshlrev_b64_e64 v[18:19], v18, -1
	s_delay_alu instid0(VALU_DEP_2) | instskip(NEXT) | instid1(VALU_DEP_2)
	v_lshlrev_b64_e64 v[22:23], v63, 1
	v_bfi_b32 v73, v19, 0, 0
	s_delay_alu instid0(VALU_DEP_3) | instskip(SKIP_1) | instid1(VALU_DEP_2)
	v_bfi_b32 v72, v18, 0, v64
	v_lshrrev_b64 v[18:19], v62, v[64:65]
	v_cmp_eq_u64_e64 s10, v[72:73], v[22:23]
	s_delay_alu instid0(VALU_DEP_2)
	v_mov_b64_e32 v[22:23], v[18:19]
	s_and_saveexec_b32 s40, s10
; %bb.456:                              ;   in Loop: Header=BB4_128 Depth=2
	v_bfe_u32 v64, v18, 20, 1
	s_delay_alu instid0(VALU_DEP_1) | instskip(NEXT) | instid1(VALU_DEP_1)
	v_add_nc_u64_e32 v[22:23], v[18:19], v[64:65]
	v_add_nc_u64_e32 v[22:23], -1, v[22:23]
; %bb.457:                              ;   in Loop: Header=BB4_128 Depth=2
	s_or_b32 exec_lo, exec_lo, s40
	v_add_nc_u32_e32 v19, 0xffffff81, v60
	v_lshrrev_b32_e32 v23, 23, v18
	s_mov_b32 s10, exec_lo
	s_delay_alu instid0(VALU_DEP_2) | instskip(NEXT) | instid1(VALU_DEP_1)
	v_cndmask_b32_e64 v19, v19, 0xffffff82, vcc_lo
	v_add3_u32 v23, v62, v19, v23
	v_and_b32_e32 v19, 0xfffff, v22
                                        ; implicit-def: $vgpr22
	s_delay_alu instid0(VALU_DEP_1) | instskip(NEXT) | instid1(VALU_DEP_1)
	v_dual_add_nc_u32 v60, 6, v23 :: v_dual_add_nc_u32 v64, v19, v18
                                        ; implicit-def: $vgpr18_vgpr19
	v_cmpx_ne_u32_e32 0, v60
	s_xor_b32 s10, exec_lo, s10
; %bb.458:                              ;   in Loop: Header=BB4_128 Depth=2
	s_delay_alu instid0(VALU_DEP_2) | instskip(SKIP_1) | instid1(VALU_DEP_1)
	v_cmp_lt_u64_e32 vcc_lo, 0xffffff, v[64:65]
	v_add_nc_u32_e32 v18, 7, v23
	v_cndmask_b32_e32 v22, v60, v18, vcc_lo
	v_cndmask_b32_e64 v18, 0, 1, vcc_lo
	s_delay_alu instid0(VALU_DEP_1)
	v_lshrrev_b64 v[18:19], v18, v[64:65]
; %bb.459:                              ;   in Loop: Header=BB4_128 Depth=2
	s_and_not1_saveexec_b32 s10, s10
; %bb.460:                              ;   in Loop: Header=BB4_128 Depth=2
	v_mov_b64_e32 v[18:19], v[64:65]
	v_bfe_u32 v22, v64, 23, 1
; %bb.461:                              ;   in Loop: Header=BB4_128 Depth=2
	s_or_b32 exec_lo, exec_lo, s10
	s_delay_alu instid0(VALU_DEP_2) | instskip(NEXT) | instid1(VALU_DEP_2)
	v_lshrrev_b64 v[18:19], 20, v[18:19]
	v_cmp_gt_i32_e32 vcc_lo, 16, v22
	v_min_i32_e32 v23, 15, v22
	v_cmp_eq_u32_e64 s10, 0, v22
	s_delay_alu instid0(VALU_DEP_4) | instskip(NEXT) | instid1(VALU_DEP_3)
	v_cndmask_b32_e32 v19, 0, v19, vcc_lo
	v_dual_cndmask_b32 v18, 7, v18 :: v_dual_lshlrev_b32 v23, 3, v23
	s_delay_alu instid0(VALU_DEP_1) | instskip(NEXT) | instid1(VALU_DEP_2)
	v_and_b32_e32 v23, 0xf8, v23
	v_cmp_eq_u64_e32 vcc_lo, 0, v[18:19]
	s_delay_alu instid0(VALU_DEP_2)
	v_and_or_b32 v18, v18, 7, v23
	s_and_b32 s10, s10, vcc_lo
	s_delay_alu instid0(VALU_DEP_1) | instid1(SALU_CYCLE_1)
	v_cndmask_b32_e64 v18, v18, 0, s10
	s_delay_alu instid0(VALU_DEP_1)
	v_or_b32_e32 v60, v18, v61
.LBB4_462:                              ;   in Loop: Header=BB4_128 Depth=2
	s_or_b32 exec_lo, exec_lo, s29
                                        ; implicit-def: $vgpr61
.LBB4_463:                              ;   in Loop: Header=BB4_128 Depth=2
	s_and_not1_saveexec_b32 s10, s28
; %bb.464:                              ;   in Loop: Header=BB4_128 Depth=2
	v_or_b32_e32 v60, 0x7e, v61
; %bb.465:                              ;   in Loop: Header=BB4_128 Depth=2
	s_or_b32 exec_lo, exec_lo, s10
                                        ; implicit-def: $vgpr19
.LBB4_466:                              ;   in Loop: Header=BB4_128 Depth=2
	s_and_not1_saveexec_b32 s10, s27
; %bb.467:                              ;   in Loop: Header=BB4_128 Depth=2
	v_or_b32_e32 v60, 0x7f, v19
; %bb.468:                              ;   in Loop: Header=BB4_128 Depth=2
	s_or_b32 exec_lo, exec_lo, s10
	v_dual_mov_b32 v18, 0 :: v_dual_mov_b32 v19, 0
	s_mov_b32 s10, exec_lo
	v_cmpx_lt_u32_e32 0xffffff, v24
	s_cbranch_execz .LBB4_476
; %bb.469:                              ;   in Loop: Header=BB4_128 Depth=2
	v_lshrrev_b32_e32 v22, 24, v24
	v_bfrev_b32_e32 v19, 1
	s_mov_b32 s27, exec_lo
	s_delay_alu instid0(VALU_DEP_2)
	v_cmpx_ne_u32_e32 0x80, v22
	s_cbranch_execz .LBB4_475
; %bb.470:                              ;   in Loop: Header=BB4_128 Depth=2
	v_bfe_u32 v23, v24, 24, 7
	v_mov_b32_e32 v19, 0x7f800001
	s_mov_b32 s28, exec_lo
	s_delay_alu instid0(VALU_DEP_2)
	v_cmpx_ne_u32_e32 0x7f, v23
	s_cbranch_execz .LBB4_474
; %bb.471:                              ;   in Loop: Header=BB4_128 Depth=2
	v_dual_lshrrev_b32 v19, 3, v23 :: v_dual_bitop2_b32 v64, 7, v22 bitop3:0x40
	s_mov_b32 s29, exec_lo
	v_cmpx_gt_u32_e32 8, v23
; %bb.472:                              ;   in Loop: Header=BB4_128 Depth=2
	s_delay_alu instid0(VALU_DEP_2) | instskip(NEXT) | instid1(VALU_DEP_1)
	v_clz_i32_u32_e32 v19, v64
	v_min_u32_e32 v19, 32, v19
	s_delay_alu instid0(VALU_DEP_1) | instskip(NEXT) | instid1(VALU_DEP_1)
	v_subrev_nc_u32_e32 v23, 28, v19
	v_lshlrev_b64_e32 v[62:63], v23, v[64:65]
	s_delay_alu instid0(VALU_DEP_1)
	v_dual_sub_nc_u32 v19, 29, v19 :: v_dual_bitop2_b32 v64, 7, v62 bitop3:0x40
; %bb.473:                              ;   in Loop: Header=BB4_128 Depth=2
	s_or_b32 exec_lo, exec_lo, s29
	s_delay_alu instid0(VALU_DEP_1) | instskip(NEXT) | instid1(VALU_DEP_2)
	v_dual_lshlrev_b32 v22, 24, v22 :: v_dual_lshlrev_b32 v23, 20, v64
	v_lshl_add_u32 v19, v19, 23, 0x3c000000
	s_delay_alu instid0(VALU_DEP_2) | instskip(NEXT) | instid1(VALU_DEP_1)
	v_and_b32_e32 v22, 0x80000000, v22
	v_or3_b32 v19, v23, v22, v19
.LBB4_474:                              ;   in Loop: Header=BB4_128 Depth=2
	s_or_b32 exec_lo, exec_lo, s28
.LBB4_475:                              ;   in Loop: Header=BB4_128 Depth=2
	s_delay_alu instid0(SALU_CYCLE_1)
	s_or_b32 exec_lo, exec_lo, s27
.LBB4_476:                              ;   in Loop: Header=BB4_128 Depth=2
	s_delay_alu instid0(SALU_CYCLE_1) | instskip(NEXT) | instid1(SALU_CYCLE_1)
	s_or_b32 exec_lo, exec_lo, s10
	s_mov_b32 s10, exec_lo
	v_cmpx_lt_u32_e32 0xffffff, v20
	s_cbranch_execz .LBB4_484
; %bb.477:                              ;   in Loop: Header=BB4_128 Depth=2
	v_lshrrev_b32_e32 v22, 24, v20
	v_bfrev_b32_e32 v18, 1
	s_mov_b32 s27, exec_lo
	s_delay_alu instid0(VALU_DEP_2)
	v_cmpx_ne_u32_e32 0x80, v22
	s_cbranch_execz .LBB4_483
; %bb.478:                              ;   in Loop: Header=BB4_128 Depth=2
	v_bfe_u32 v23, v20, 24, 7
	v_mov_b32_e32 v18, 0x7f800001
	s_mov_b32 s28, exec_lo
	s_delay_alu instid0(VALU_DEP_2)
	v_cmpx_ne_u32_e32 0x7f, v23
	s_cbranch_execz .LBB4_482
; %bb.479:                              ;   in Loop: Header=BB4_128 Depth=2
	v_dual_lshrrev_b32 v18, 3, v23 :: v_dual_bitop2_b32 v64, 7, v22 bitop3:0x40
	s_mov_b32 s29, exec_lo
	v_cmpx_gt_u32_e32 8, v23
; %bb.480:                              ;   in Loop: Header=BB4_128 Depth=2
	s_delay_alu instid0(VALU_DEP_2) | instskip(NEXT) | instid1(VALU_DEP_1)
	v_clz_i32_u32_e32 v18, v64
	v_min_u32_e32 v18, 32, v18
	s_delay_alu instid0(VALU_DEP_1) | instskip(SKIP_1) | instid1(VALU_DEP_2)
	v_subrev_nc_u32_e32 v23, 28, v18
	v_sub_nc_u32_e32 v18, 29, v18
	v_lshlrev_b64_e32 v[62:63], v23, v[64:65]
	s_delay_alu instid0(VALU_DEP_1)
	v_and_b32_e32 v64, 7, v62
; %bb.481:                              ;   in Loop: Header=BB4_128 Depth=2
	s_or_b32 exec_lo, exec_lo, s29
	s_delay_alu instid0(VALU_DEP_1) | instskip(SKIP_1) | instid1(VALU_DEP_2)
	v_dual_lshlrev_b32 v22, 24, v22 :: v_dual_lshlrev_b32 v23, 20, v64
	v_lshl_add_u32 v18, v18, 23, 0x3c000000
	v_and_b32_e32 v22, 0x80000000, v22
	s_delay_alu instid0(VALU_DEP_1)
	v_or3_b32 v18, v23, v22, v18
.LBB4_482:                              ;   in Loop: Header=BB4_128 Depth=2
	s_or_b32 exec_lo, exec_lo, s28
.LBB4_483:                              ;   in Loop: Header=BB4_128 Depth=2
	s_delay_alu instid0(SALU_CYCLE_1)
	s_or_b32 exec_lo, exec_lo, s27
.LBB4_484:                              ;   in Loop: Header=BB4_128 Depth=2
	s_delay_alu instid0(SALU_CYCLE_1) | instskip(NEXT) | instid1(VALU_DEP_1)
	s_or_b32 exec_lo, exec_lo, s10
	v_mul_f32_e32 v18, v19, v18
                                        ; implicit-def: $vgpr61
	s_mov_b32 s10, exec_lo
	s_delay_alu instid0(VALU_DEP_1) | instskip(SKIP_1) | instid1(VALU_DEP_2)
	v_and_b32_e32 v64, 0x7f800000, v18
	v_lshrrev_b32_e32 v19, 24, v18
	v_cmpx_ne_u64_e32 0x7f800000, v[64:65]
	s_xor_b32 s27, exec_lo, s10
	s_cbranch_execz .LBB4_498
; %bb.485:                              ;   in Loop: Header=BB4_128 Depth=2
	v_and_b32_e32 v64, 0x7fffffff, v18
	v_and_b32_e32 v62, 0x80, v19
                                        ; implicit-def: $vgpr61
	s_mov_b32 s10, exec_lo
	s_delay_alu instid0(VALU_DEP_2)
	v_cmpx_gt_u64_e32 0x43e00001, v[64:65]
	s_xor_b32 s28, exec_lo, s10
	s_cbranch_execz .LBB4_495
; %bb.486:                              ;   in Loop: Header=BB4_128 Depth=2
	v_mov_b32_e32 v61, 0
	s_mov_b32 s29, exec_lo
	v_cmpx_ne_u32_e32 0, v18
	s_cbranch_execz .LBB4_494
; %bb.487:                              ;   in Loop: Header=BB4_128 Depth=2
	v_bfe_u32 v61, v18, 23, 8
	v_and_b32_e32 v22, 0x7fffff, v18
	s_delay_alu instid0(VALU_DEP_2) | instskip(NEXT) | instid1(VALU_DEP_2)
	v_cmp_gt_u32_e32 vcc_lo, 0x7a, v61
	v_or_b32_e32 v23, 0x800000, v22
	v_sub_nc_u32_e32 v19, 0x79, v61
	s_delay_alu instid0(VALU_DEP_1) | instskip(SKIP_1) | instid1(VALU_DEP_2)
	v_cndmask_b32_e32 v19, 0, v19, vcc_lo
	v_cmp_eq_u32_e32 vcc_lo, 0, v61
	v_cndmask_b32_e64 v63, v19, 0x78, vcc_lo
	s_delay_alu instid0(VALU_DEP_1) | instskip(SKIP_1) | instid1(VALU_DEP_2)
	v_dual_cndmask_b32 v64, v23, v22, vcc_lo :: v_dual_add_nc_u32 v18, 20, v63
	v_add_nc_u32_e32 v72, 19, v63
	v_lshlrev_b64_e64 v[18:19], v18, -1
	s_delay_alu instid0(VALU_DEP_2) | instskip(NEXT) | instid1(VALU_DEP_2)
	v_lshlrev_b64_e64 v[22:23], v72, 1
	v_bfi_b32 v73, v19, 0, 0
	s_delay_alu instid0(VALU_DEP_3) | instskip(SKIP_1) | instid1(VALU_DEP_2)
	v_bfi_b32 v72, v18, 0, v64
	v_lshrrev_b64 v[18:19], v63, v[64:65]
	v_cmp_eq_u64_e64 s10, v[72:73], v[22:23]
	s_delay_alu instid0(VALU_DEP_2)
	v_mov_b64_e32 v[22:23], v[18:19]
	s_and_saveexec_b32 s40, s10
; %bb.488:                              ;   in Loop: Header=BB4_128 Depth=2
	v_bfe_u32 v64, v18, 20, 1
	s_delay_alu instid0(VALU_DEP_1) | instskip(NEXT) | instid1(VALU_DEP_1)
	v_add_nc_u64_e32 v[22:23], v[18:19], v[64:65]
	v_add_nc_u64_e32 v[22:23], -1, v[22:23]
; %bb.489:                              ;   in Loop: Header=BB4_128 Depth=2
	s_or_b32 exec_lo, exec_lo, s40
	v_add_nc_u32_e32 v19, 0xffffff81, v61
	v_lshrrev_b32_e32 v23, 23, v18
	s_mov_b32 s10, exec_lo
	s_delay_alu instid0(VALU_DEP_2) | instskip(NEXT) | instid1(VALU_DEP_1)
	v_cndmask_b32_e64 v19, v19, 0xffffff82, vcc_lo
	v_add3_u32 v23, v63, v19, v23
	v_and_b32_e32 v19, 0xfffff, v22
                                        ; implicit-def: $vgpr22
	s_delay_alu instid0(VALU_DEP_1) | instskip(NEXT) | instid1(VALU_DEP_1)
	v_dual_add_nc_u32 v61, 6, v23 :: v_dual_add_nc_u32 v64, v19, v18
                                        ; implicit-def: $vgpr18_vgpr19
	v_cmpx_ne_u32_e32 0, v61
	s_xor_b32 s10, exec_lo, s10
; %bb.490:                              ;   in Loop: Header=BB4_128 Depth=2
	s_delay_alu instid0(VALU_DEP_2) | instskip(SKIP_1) | instid1(VALU_DEP_1)
	v_cmp_lt_u64_e32 vcc_lo, 0xffffff, v[64:65]
	v_add_nc_u32_e32 v18, 7, v23
	v_cndmask_b32_e32 v22, v61, v18, vcc_lo
	v_cndmask_b32_e64 v18, 0, 1, vcc_lo
	s_delay_alu instid0(VALU_DEP_1)
	v_lshrrev_b64 v[18:19], v18, v[64:65]
; %bb.491:                              ;   in Loop: Header=BB4_128 Depth=2
	s_and_not1_saveexec_b32 s10, s10
; %bb.492:                              ;   in Loop: Header=BB4_128 Depth=2
	v_mov_b64_e32 v[18:19], v[64:65]
	v_bfe_u32 v22, v64, 23, 1
; %bb.493:                              ;   in Loop: Header=BB4_128 Depth=2
	s_or_b32 exec_lo, exec_lo, s10
	s_delay_alu instid0(VALU_DEP_2) | instskip(NEXT) | instid1(VALU_DEP_2)
	v_lshrrev_b64 v[18:19], 20, v[18:19]
	v_cmp_gt_i32_e32 vcc_lo, 16, v22
	v_min_i32_e32 v23, 15, v22
	v_cmp_eq_u32_e64 s10, 0, v22
	s_delay_alu instid0(VALU_DEP_4) | instskip(NEXT) | instid1(VALU_DEP_3)
	v_cndmask_b32_e32 v19, 0, v19, vcc_lo
	v_dual_cndmask_b32 v18, 7, v18 :: v_dual_lshlrev_b32 v23, 3, v23
	s_delay_alu instid0(VALU_DEP_1) | instskip(NEXT) | instid1(VALU_DEP_2)
	v_and_b32_e32 v23, 0xf8, v23
	v_cmp_eq_u64_e32 vcc_lo, 0, v[18:19]
	s_delay_alu instid0(VALU_DEP_2)
	v_and_or_b32 v18, v18, 7, v23
	s_and_b32 s10, s10, vcc_lo
	s_delay_alu instid0(VALU_DEP_1) | instid1(SALU_CYCLE_1)
	v_cndmask_b32_e64 v18, v18, 0, s10
	s_delay_alu instid0(VALU_DEP_1)
	v_or_b32_e32 v61, v18, v62
.LBB4_494:                              ;   in Loop: Header=BB4_128 Depth=2
	s_or_b32 exec_lo, exec_lo, s29
                                        ; implicit-def: $vgpr62
.LBB4_495:                              ;   in Loop: Header=BB4_128 Depth=2
	s_and_not1_saveexec_b32 s10, s28
; %bb.496:                              ;   in Loop: Header=BB4_128 Depth=2
	v_or_b32_e32 v61, 0x7e, v62
; %bb.497:                              ;   in Loop: Header=BB4_128 Depth=2
	s_or_b32 exec_lo, exec_lo, s10
                                        ; implicit-def: $vgpr19
.LBB4_498:                              ;   in Loop: Header=BB4_128 Depth=2
	s_and_not1_saveexec_b32 s10, s27
; %bb.499:                              ;   in Loop: Header=BB4_128 Depth=2
	v_or_b32_e32 v61, 0x7f, v19
; %bb.500:                              ;   in Loop: Header=BB4_128 Depth=2
	s_or_b32 exec_lo, exec_lo, s10
	v_and_b32_e32 v22, 0xff, v25
	v_dual_mov_b32 v64, v25 :: v_dual_mov_b32 v19, 0
	v_mov_b32_e32 v18, 0
	s_mov_b32 s10, exec_lo
	s_delay_alu instid0(VALU_DEP_3)
	v_cmpx_ne_u16_e32 0, v22
	s_cbranch_execz .LBB4_506
; %bb.501:                              ;   in Loop: Header=BB4_128 Depth=2
	v_bfrev_b32_e32 v18, 1
	s_mov_b32 s27, exec_lo
	v_cmpx_ne_u16_e32 0x80, v22
	s_cbranch_execz .LBB4_505
; %bb.502:                              ;   in Loop: Header=BB4_128 Depth=2
	v_and_b32_e32 v22, 0x7f, v25
	v_mov_b32_e32 v18, 0x7f800001
	s_mov_b32 s28, exec_lo
	s_delay_alu instid0(VALU_DEP_2)
	v_cmpx_ne_u32_e32 0x7f, v22
	s_cbranch_execz .LBB4_504
; %bb.503:                              ;   in Loop: Header=BB4_128 Depth=2
	v_dual_lshrrev_b32 v23, 3, v22 :: v_dual_bitop2_b32 v18, 7, v25 bitop3:0x40
	v_cmp_gt_u32_e32 vcc_lo, 8, v22
	s_delay_alu instid0(VALU_DEP_2) | instskip(NEXT) | instid1(VALU_DEP_1)
	v_clz_i32_u32_e32 v18, v18
	v_min_u32_e32 v18, 32, v18
	s_delay_alu instid0(VALU_DEP_1) | instskip(SKIP_1) | instid1(VALU_DEP_2)
	v_subrev_nc_u32_e32 v62, 28, v18
	v_sub_nc_u32_e32 v18, 29, v18
	v_cndmask_b32_e32 v22, 0, v62, vcc_lo
	s_delay_alu instid0(VALU_DEP_2) | instskip(NEXT) | instid1(VALU_DEP_2)
	v_cndmask_b32_e32 v18, v23, v18, vcc_lo
	v_lshlrev_b64_e32 v[22:23], v22, v[64:65]
	v_lshlrev_b32_e32 v23, 24, v64
	s_delay_alu instid0(VALU_DEP_3) | instskip(NEXT) | instid1(VALU_DEP_2)
	v_lshl_add_u32 v18, v18, 23, 0x3c000000
	v_and_b32_e32 v23, 0x80000000, v23
	s_delay_alu instid0(VALU_DEP_4) | instskip(NEXT) | instid1(VALU_DEP_1)
	v_lshlrev_b32_e32 v22, 20, v22
	v_and_b32_e32 v22, 0x700000, v22
	s_delay_alu instid0(VALU_DEP_1)
	v_or3_b32 v18, v22, v23, v18
.LBB4_504:                              ;   in Loop: Header=BB4_128 Depth=2
	s_or_b32 exec_lo, exec_lo, s28
.LBB4_505:                              ;   in Loop: Header=BB4_128 Depth=2
	s_delay_alu instid0(SALU_CYCLE_1)
	s_or_b32 exec_lo, exec_lo, s27
.LBB4_506:                              ;   in Loop: Header=BB4_128 Depth=2
	s_delay_alu instid0(SALU_CYCLE_1) | instskip(SKIP_2) | instid1(VALU_DEP_1)
	s_or_b32 exec_lo, exec_lo, s10
	v_and_b32_e32 v22, 0xff, v21
	s_mov_b32 s10, exec_lo
	v_cmpx_ne_u16_e32 0, v22
	s_cbranch_execz .LBB4_512
; %bb.507:                              ;   in Loop: Header=BB4_128 Depth=2
	v_bfrev_b32_e32 v19, 1
	s_mov_b32 s27, exec_lo
	v_cmpx_ne_u16_e32 0x80, v22
	s_cbranch_execz .LBB4_511
; %bb.508:                              ;   in Loop: Header=BB4_128 Depth=2
	v_and_b32_e32 v22, 0x7f, v21
	v_mov_b32_e32 v19, 0x7f800001
	s_mov_b32 s28, exec_lo
	s_delay_alu instid0(VALU_DEP_2)
	v_cmpx_ne_u32_e32 0x7f, v22
	s_cbranch_execz .LBB4_510
; %bb.509:                              ;   in Loop: Header=BB4_128 Depth=2
	v_dual_lshrrev_b32 v62, 3, v22 :: v_dual_bitop2_b32 v19, 7, v21 bitop3:0x40
	v_cmp_gt_u32_e32 vcc_lo, 8, v22
	v_mov_b32_e32 v22, v21
	s_delay_alu instid0(VALU_DEP_3) | instskip(NEXT) | instid1(VALU_DEP_1)
	v_clz_i32_u32_e32 v19, v19
	v_min_u32_e32 v19, 32, v19
	s_delay_alu instid0(VALU_DEP_1) | instskip(SKIP_1) | instid1(VALU_DEP_2)
	v_sub_nc_u32_e32 v63, 29, v19
	v_subrev_nc_u32_e32 v19, 28, v19
	v_dual_mov_b32 v23, v65 :: v_dual_cndmask_b32 v72, v62, v63
	s_delay_alu instid0(VALU_DEP_2) | instskip(NEXT) | instid1(VALU_DEP_1)
	v_cndmask_b32_e32 v19, 0, v19, vcc_lo
	v_lshlrev_b64_e32 v[62:63], v19, v[22:23]
	v_lshlrev_b32_e32 v19, 24, v22
	s_delay_alu instid0(VALU_DEP_4) | instskip(NEXT) | instid1(VALU_DEP_2)
	v_lshl_add_u32 v23, v72, 23, 0x3c000000
	v_and_b32_e32 v19, 0x80000000, v19
	s_delay_alu instid0(VALU_DEP_4) | instskip(NEXT) | instid1(VALU_DEP_1)
	v_lshlrev_b32_e32 v22, 20, v62
	v_and_b32_e32 v22, 0x700000, v22
	s_delay_alu instid0(VALU_DEP_1)
	v_or3_b32 v19, v22, v19, v23
.LBB4_510:                              ;   in Loop: Header=BB4_128 Depth=2
	s_or_b32 exec_lo, exec_lo, s28
.LBB4_511:                              ;   in Loop: Header=BB4_128 Depth=2
	s_delay_alu instid0(SALU_CYCLE_1)
	s_or_b32 exec_lo, exec_lo, s27
.LBB4_512:                              ;   in Loop: Header=BB4_128 Depth=2
	s_delay_alu instid0(SALU_CYCLE_1) | instskip(NEXT) | instid1(VALU_DEP_1)
	s_or_b32 exec_lo, exec_lo, s10
	v_dual_mul_f32 v18, v18, v19 :: v_dual_mov_b32 v23, v65
                                        ; implicit-def: $vgpr62
	s_mov_b32 s10, exec_lo
	s_delay_alu instid0(VALU_DEP_1) | instskip(SKIP_1) | instid1(VALU_DEP_2)
	v_and_b32_e32 v22, 0x7f800000, v18
	v_lshrrev_b32_e32 v19, 24, v18
	v_cmpx_ne_u64_e32 0x7f800000, v[22:23]
	s_xor_b32 s27, exec_lo, s10
	s_cbranch_execz .LBB4_526
; %bb.513:                              ;   in Loop: Header=BB4_128 Depth=2
	v_and_b32_e32 v22, 0x7fffffff, v18
	v_mov_b32_e32 v23, v65
	v_and_b32_e32 v63, 0x80, v19
                                        ; implicit-def: $vgpr62
	s_mov_b32 s10, exec_lo
	s_delay_alu instid0(VALU_DEP_2)
	v_cmpx_gt_u64_e32 0x43e00001, v[22:23]
	s_xor_b32 s28, exec_lo, s10
	s_cbranch_execz .LBB4_523
; %bb.514:                              ;   in Loop: Header=BB4_128 Depth=2
	v_mov_b32_e32 v62, 0
	s_mov_b32 s29, exec_lo
	v_cmpx_ne_u32_e32 0, v18
	s_cbranch_execz .LBB4_522
; %bb.515:                              ;   in Loop: Header=BB4_128 Depth=2
	v_bfe_u32 v62, v18, 23, 8
	v_and_b32_e32 v22, 0x7fffff, v18
	s_mov_b32 s40, exec_lo
	s_delay_alu instid0(VALU_DEP_2) | instskip(SKIP_1) | instid1(VALU_DEP_3)
	v_sub_nc_u32_e32 v19, 0x79, v62
	v_cmp_gt_u32_e32 vcc_lo, 0x7a, v62
	v_or_b32_e32 v23, 0x800000, v22
	s_delay_alu instid0(VALU_DEP_3) | instskip(SKIP_1) | instid1(VALU_DEP_2)
	v_cndmask_b32_e32 v19, 0, v19, vcc_lo
	v_cmp_eq_u32_e32 vcc_lo, 0, v62
	v_cndmask_b32_e64 v72, v19, 0x78, vcc_lo
	s_delay_alu instid0(VALU_DEP_4) | instskip(NEXT) | instid1(VALU_DEP_2)
	v_dual_cndmask_b32 v22, v23, v22 :: v_dual_mov_b32 v23, v65
	v_dual_add_nc_u32 v18, 20, v72 :: v_dual_add_nc_u32 v73, 19, v72
	s_delay_alu instid0(VALU_DEP_1) | instskip(NEXT) | instid1(VALU_DEP_2)
	v_lshlrev_b64_e64 v[18:19], v18, -1
	v_lshlrev_b64_e64 v[74:75], v73, 1
	s_delay_alu instid0(VALU_DEP_2) | instskip(NEXT) | instid1(VALU_DEP_3)
	v_bfi_b32 v77, v19, 0, 0
	v_bfi_b32 v76, v18, 0, v22
	v_lshrrev_b64 v[18:19], v72, v[22:23]
	s_delay_alu instid0(VALU_DEP_1) | instskip(NEXT) | instid1(VALU_DEP_3)
	v_mov_b64_e32 v[22:23], v[18:19]
	v_cmpx_eq_u64_e64 v[76:77], v[74:75]
; %bb.516:                              ;   in Loop: Header=BB4_128 Depth=2
	v_bfe_u32 v22, v18, 20, 1
	v_mov_b32_e32 v23, v65
	s_delay_alu instid0(VALU_DEP_1) | instskip(NEXT) | instid1(VALU_DEP_1)
	v_add_nc_u64_e32 v[22:23], v[18:19], v[22:23]
	v_add_nc_u64_e32 v[22:23], -1, v[22:23]
; %bb.517:                              ;   in Loop: Header=BB4_128 Depth=2
	s_or_b32 exec_lo, exec_lo, s40
	v_add_nc_u32_e32 v19, 0xffffff81, v62
	v_lshrrev_b32_e32 v23, 23, v18
	s_mov_b32 s10, exec_lo
	s_delay_alu instid0(VALU_DEP_2) | instskip(NEXT) | instid1(VALU_DEP_1)
	v_cndmask_b32_e64 v19, v19, 0xffffff82, vcc_lo
	v_add3_u32 v23, v72, v19, v23
	v_and_b32_e32 v19, 0xfffff, v22
                                        ; implicit-def: $vgpr22
	s_delay_alu instid0(VALU_DEP_1) | instskip(SKIP_1) | instid1(VALU_DEP_2)
	v_dual_add_nc_u32 v62, 6, v23 :: v_dual_add_nc_u32 v18, v19, v18
	v_mov_b32_e32 v19, v65
	v_cmpx_ne_u32_e32 0, v62
	s_xor_b32 s10, exec_lo, s10
; %bb.518:                              ;   in Loop: Header=BB4_128 Depth=2
	s_delay_alu instid0(VALU_DEP_2) | instskip(SKIP_2) | instid1(VALU_DEP_2)
	v_cmp_lt_u64_e32 vcc_lo, 0xffffff, v[18:19]
	v_add_nc_u32_e32 v22, 7, v23
	v_cndmask_b32_e64 v23, 0, 1, vcc_lo
	v_cndmask_b32_e32 v22, v62, v22, vcc_lo
	s_delay_alu instid0(VALU_DEP_2)
	v_lshrrev_b64 v[18:19], v23, v[18:19]
; %bb.519:                              ;   in Loop: Header=BB4_128 Depth=2
	s_and_not1_saveexec_b32 s10, s10
; %bb.520:                              ;   in Loop: Header=BB4_128 Depth=2
	s_delay_alu instid0(VALU_DEP_1)
	v_bfe_u32 v22, v18, 23, 1
; %bb.521:                              ;   in Loop: Header=BB4_128 Depth=2
	s_or_b32 exec_lo, exec_lo, s10
	s_delay_alu instid0(VALU_DEP_2) | instskip(NEXT) | instid1(VALU_DEP_2)
	v_lshrrev_b64 v[18:19], 20, v[18:19]
	v_cmp_gt_i32_e32 vcc_lo, 16, v22
	v_min_i32_e32 v23, 15, v22
	v_cmp_eq_u32_e64 s10, 0, v22
	s_delay_alu instid0(VALU_DEP_4) | instskip(NEXT) | instid1(VALU_DEP_3)
	v_cndmask_b32_e32 v19, 0, v19, vcc_lo
	v_dual_cndmask_b32 v18, 7, v18 :: v_dual_lshlrev_b32 v23, 3, v23
	s_delay_alu instid0(VALU_DEP_1) | instskip(NEXT) | instid1(VALU_DEP_2)
	v_and_b32_e32 v23, 0xf8, v23
	v_cmp_eq_u64_e32 vcc_lo, 0, v[18:19]
	s_delay_alu instid0(VALU_DEP_2)
	v_and_or_b32 v18, v18, 7, v23
	s_and_b32 s10, s10, vcc_lo
	s_delay_alu instid0(VALU_DEP_1) | instid1(SALU_CYCLE_1)
	v_cndmask_b32_e64 v18, v18, 0, s10
	s_delay_alu instid0(VALU_DEP_1)
	v_or_b32_e32 v62, v18, v63
.LBB4_522:                              ;   in Loop: Header=BB4_128 Depth=2
	s_or_b32 exec_lo, exec_lo, s29
                                        ; implicit-def: $vgpr63
.LBB4_523:                              ;   in Loop: Header=BB4_128 Depth=2
	s_and_not1_saveexec_b32 s10, s28
; %bb.524:                              ;   in Loop: Header=BB4_128 Depth=2
	v_or_b32_e32 v62, 0x7e, v63
; %bb.525:                              ;   in Loop: Header=BB4_128 Depth=2
	s_or_b32 exec_lo, exec_lo, s10
                                        ; implicit-def: $vgpr19
.LBB4_526:                              ;   in Loop: Header=BB4_128 Depth=2
	s_and_not1_saveexec_b32 s10, s27
; %bb.527:                              ;   in Loop: Header=BB4_128 Depth=2
	v_or_b32_e32 v62, 0x7f, v19
; %bb.528:                              ;   in Loop: Header=BB4_128 Depth=2
	s_or_b32 exec_lo, exec_lo, s10
	v_lshrrev_b16 v19, 8, v64
	v_dual_mov_b32 v22, 0 :: v_dual_mov_b32 v18, 0
	s_mov_b32 s10, exec_lo
	s_delay_alu instid0(VALU_DEP_2)
	v_cmpx_ne_u16_e32 0, v19
	s_cbranch_execz .LBB4_536
; %bb.529:                              ;   in Loop: Header=BB4_128 Depth=2
	v_bfrev_b32_e32 v18, 1
	s_mov_b32 s27, exec_lo
	v_cmpx_ne_u16_e32 0x80, v19
	s_cbranch_execz .LBB4_535
; %bb.530:                              ;   in Loop: Header=BB4_128 Depth=2
	v_and_b32_e32 v19, 0xffff, v19
	v_mov_b32_e32 v18, 0x7f800001
	s_mov_b32 s28, exec_lo
	s_delay_alu instid0(VALU_DEP_2) | instskip(NEXT) | instid1(VALU_DEP_1)
	v_and_b32_e32 v63, 0x7f, v19
	v_cmpx_ne_u32_e32 0x7f, v63
	s_cbranch_execz .LBB4_534
; %bb.531:                              ;   in Loop: Header=BB4_128 Depth=2
	v_dual_mov_b32 v19, v65 :: v_dual_bitop2_b32 v18, 7, v19 bitop3:0x40
	v_lshrrev_b32_e32 v23, 3, v63
	s_mov_b32 s29, exec_lo
	v_cmpx_gt_u32_e32 8, v63
; %bb.532:                              ;   in Loop: Header=BB4_128 Depth=2
	s_delay_alu instid0(VALU_DEP_3) | instskip(NEXT) | instid1(VALU_DEP_1)
	v_clz_i32_u32_e32 v23, v18
	v_min_u32_e32 v23, 32, v23
	s_delay_alu instid0(VALU_DEP_1) | instskip(NEXT) | instid1(VALU_DEP_1)
	v_subrev_nc_u32_e32 v63, 28, v23
	v_lshlrev_b64_e32 v[18:19], v63, v[18:19]
	s_delay_alu instid0(VALU_DEP_1)
	v_dual_sub_nc_u32 v23, 29, v23 :: v_dual_bitop2_b32 v18, 7, v18 bitop3:0x40
; %bb.533:                              ;   in Loop: Header=BB4_128 Depth=2
	s_or_b32 exec_lo, exec_lo, s29
	s_delay_alu instid0(VALU_DEP_1) | instskip(NEXT) | instid1(VALU_DEP_2)
	v_dual_lshlrev_b32 v19, 16, v64 :: v_dual_lshlrev_b32 v18, 20, v18
	v_lshl_add_u32 v23, v23, 23, 0x3c000000
	s_delay_alu instid0(VALU_DEP_2) | instskip(NEXT) | instid1(VALU_DEP_1)
	v_and_b32_e32 v19, 0x80000000, v19
	v_or3_b32 v18, v18, v19, v23
.LBB4_534:                              ;   in Loop: Header=BB4_128 Depth=2
	s_or_b32 exec_lo, exec_lo, s28
.LBB4_535:                              ;   in Loop: Header=BB4_128 Depth=2
	s_delay_alu instid0(SALU_CYCLE_1)
	s_or_b32 exec_lo, exec_lo, s27
.LBB4_536:                              ;   in Loop: Header=BB4_128 Depth=2
	s_delay_alu instid0(SALU_CYCLE_1) | instskip(SKIP_2) | instid1(VALU_DEP_1)
	s_or_b32 exec_lo, exec_lo, s10
	v_lshrrev_b16 v19, 8, v21
	s_mov_b32 s10, exec_lo
	v_cmpx_ne_u16_e32 0, v19
	s_cbranch_execz .LBB4_544
; %bb.537:                              ;   in Loop: Header=BB4_128 Depth=2
	v_bfrev_b32_e32 v22, 1
	s_mov_b32 s27, exec_lo
	v_cmpx_ne_u16_e32 0x80, v19
	s_cbranch_execz .LBB4_543
; %bb.538:                              ;   in Loop: Header=BB4_128 Depth=2
	v_and_b32_e32 v19, 0xffff, v19
	v_mov_b32_e32 v22, 0x7f800001
	s_mov_b32 s28, exec_lo
	s_delay_alu instid0(VALU_DEP_2) | instskip(NEXT) | instid1(VALU_DEP_1)
	v_and_b32_e32 v23, 0x7f, v19
	v_cmpx_ne_u32_e32 0x7f, v23
	s_cbranch_execz .LBB4_542
; %bb.539:                              ;   in Loop: Header=BB4_128 Depth=2
	v_and_b32_e32 v64, 7, v19
	v_lshrrev_b32_e32 v19, 3, v23
	s_mov_b32 s29, exec_lo
	v_cmpx_gt_u32_e32 8, v23
; %bb.540:                              ;   in Loop: Header=BB4_128 Depth=2
	s_delay_alu instid0(VALU_DEP_3) | instskip(NEXT) | instid1(VALU_DEP_1)
	v_clz_i32_u32_e32 v19, v64
	v_min_u32_e32 v19, 32, v19
	s_delay_alu instid0(VALU_DEP_1) | instskip(NEXT) | instid1(VALU_DEP_1)
	v_subrev_nc_u32_e32 v22, 28, v19
	v_lshlrev_b64_e32 v[22:23], v22, v[64:65]
	s_delay_alu instid0(VALU_DEP_1)
	v_dual_sub_nc_u32 v19, 29, v19 :: v_dual_bitop2_b32 v64, 7, v22 bitop3:0x40
; %bb.541:                              ;   in Loop: Header=BB4_128 Depth=2
	s_or_b32 exec_lo, exec_lo, s29
	s_delay_alu instid0(VALU_DEP_1) | instskip(NEXT) | instid1(VALU_DEP_2)
	v_dual_lshlrev_b32 v22, 16, v21 :: v_dual_lshlrev_b32 v23, 20, v64
	v_lshl_add_u32 v19, v19, 23, 0x3c000000
	s_delay_alu instid0(VALU_DEP_2) | instskip(NEXT) | instid1(VALU_DEP_1)
	v_and_b32_e32 v22, 0x80000000, v22
	v_or3_b32 v22, v23, v22, v19
.LBB4_542:                              ;   in Loop: Header=BB4_128 Depth=2
	s_or_b32 exec_lo, exec_lo, s28
.LBB4_543:                              ;   in Loop: Header=BB4_128 Depth=2
	s_delay_alu instid0(SALU_CYCLE_1)
	s_or_b32 exec_lo, exec_lo, s27
.LBB4_544:                              ;   in Loop: Header=BB4_128 Depth=2
	s_delay_alu instid0(SALU_CYCLE_1) | instskip(NEXT) | instid1(VALU_DEP_1)
	s_or_b32 exec_lo, exec_lo, s10
	v_mul_f32_e32 v18, v18, v22
                                        ; implicit-def: $vgpr63
	s_mov_b32 s10, exec_lo
	s_delay_alu instid0(VALU_DEP_1) | instskip(SKIP_1) | instid1(VALU_DEP_2)
	v_and_b32_e32 v64, 0x7f800000, v18
	v_lshrrev_b32_e32 v19, 24, v18
	v_cmpx_ne_u64_e32 0x7f800000, v[64:65]
	s_xor_b32 s27, exec_lo, s10
	s_cbranch_execz .LBB4_558
; %bb.545:                              ;   in Loop: Header=BB4_128 Depth=2
	v_and_b32_e32 v64, 0x7fffffff, v18
	v_and_b32_e32 v72, 0x80, v19
                                        ; implicit-def: $vgpr63
	s_mov_b32 s10, exec_lo
	s_delay_alu instid0(VALU_DEP_2)
	v_cmpx_gt_u64_e32 0x43e00001, v[64:65]
	s_xor_b32 s28, exec_lo, s10
	s_cbranch_execz .LBB4_555
; %bb.546:                              ;   in Loop: Header=BB4_128 Depth=2
	v_mov_b32_e32 v63, 0
	s_mov_b32 s29, exec_lo
	v_cmpx_ne_u32_e32 0, v18
	s_cbranch_execz .LBB4_554
; %bb.547:                              ;   in Loop: Header=BB4_128 Depth=2
	v_bfe_u32 v63, v18, 23, 8
	v_and_b32_e32 v22, 0x7fffff, v18
	s_delay_alu instid0(VALU_DEP_2) | instskip(NEXT) | instid1(VALU_DEP_2)
	v_cmp_gt_u32_e32 vcc_lo, 0x7a, v63
	v_or_b32_e32 v23, 0x800000, v22
	v_sub_nc_u32_e32 v19, 0x79, v63
	s_delay_alu instid0(VALU_DEP_1) | instskip(SKIP_1) | instid1(VALU_DEP_2)
	v_cndmask_b32_e32 v19, 0, v19, vcc_lo
	v_cmp_eq_u32_e32 vcc_lo, 0, v63
	v_cndmask_b32_e64 v73, v19, 0x78, vcc_lo
	s_delay_alu instid0(VALU_DEP_1) | instskip(SKIP_1) | instid1(VALU_DEP_2)
	v_dual_cndmask_b32 v64, v23, v22, vcc_lo :: v_dual_add_nc_u32 v18, 20, v73
	v_add_nc_u32_e32 v74, 19, v73
	v_lshlrev_b64_e64 v[18:19], v18, -1
	s_delay_alu instid0(VALU_DEP_2) | instskip(NEXT) | instid1(VALU_DEP_2)
	v_lshlrev_b64_e64 v[22:23], v74, 1
	v_bfi_b32 v75, v19, 0, 0
	s_delay_alu instid0(VALU_DEP_3) | instskip(SKIP_1) | instid1(VALU_DEP_2)
	v_bfi_b32 v74, v18, 0, v64
	v_lshrrev_b64 v[18:19], v73, v[64:65]
	v_cmp_eq_u64_e64 s10, v[74:75], v[22:23]
	s_delay_alu instid0(VALU_DEP_2)
	v_mov_b64_e32 v[22:23], v[18:19]
	s_and_saveexec_b32 s40, s10
; %bb.548:                              ;   in Loop: Header=BB4_128 Depth=2
	v_bfe_u32 v64, v18, 20, 1
	s_delay_alu instid0(VALU_DEP_1) | instskip(NEXT) | instid1(VALU_DEP_1)
	v_add_nc_u64_e32 v[22:23], v[18:19], v[64:65]
	v_add_nc_u64_e32 v[22:23], -1, v[22:23]
; %bb.549:                              ;   in Loop: Header=BB4_128 Depth=2
	s_or_b32 exec_lo, exec_lo, s40
	v_add_nc_u32_e32 v19, 0xffffff81, v63
	v_lshrrev_b32_e32 v23, 23, v18
	s_mov_b32 s10, exec_lo
	s_delay_alu instid0(VALU_DEP_2) | instskip(NEXT) | instid1(VALU_DEP_1)
	v_cndmask_b32_e64 v19, v19, 0xffffff82, vcc_lo
	v_add3_u32 v23, v73, v19, v23
	v_and_b32_e32 v19, 0xfffff, v22
                                        ; implicit-def: $vgpr22
	s_delay_alu instid0(VALU_DEP_1) | instskip(NEXT) | instid1(VALU_DEP_1)
	v_dual_add_nc_u32 v63, 6, v23 :: v_dual_add_nc_u32 v64, v19, v18
                                        ; implicit-def: $vgpr18_vgpr19
	v_cmpx_ne_u32_e32 0, v63
	s_xor_b32 s10, exec_lo, s10
; %bb.550:                              ;   in Loop: Header=BB4_128 Depth=2
	s_delay_alu instid0(VALU_DEP_2) | instskip(SKIP_1) | instid1(VALU_DEP_1)
	v_cmp_lt_u64_e32 vcc_lo, 0xffffff, v[64:65]
	v_add_nc_u32_e32 v18, 7, v23
	v_cndmask_b32_e32 v22, v63, v18, vcc_lo
	v_cndmask_b32_e64 v18, 0, 1, vcc_lo
	s_delay_alu instid0(VALU_DEP_1)
	v_lshrrev_b64 v[18:19], v18, v[64:65]
; %bb.551:                              ;   in Loop: Header=BB4_128 Depth=2
	s_and_not1_saveexec_b32 s10, s10
; %bb.552:                              ;   in Loop: Header=BB4_128 Depth=2
	v_mov_b64_e32 v[18:19], v[64:65]
	v_bfe_u32 v22, v64, 23, 1
; %bb.553:                              ;   in Loop: Header=BB4_128 Depth=2
	s_or_b32 exec_lo, exec_lo, s10
	s_delay_alu instid0(VALU_DEP_2) | instskip(NEXT) | instid1(VALU_DEP_2)
	v_lshrrev_b64 v[18:19], 20, v[18:19]
	v_cmp_gt_i32_e32 vcc_lo, 16, v22
	v_min_i32_e32 v23, 15, v22
	v_cmp_eq_u32_e64 s10, 0, v22
	s_delay_alu instid0(VALU_DEP_4) | instskip(NEXT) | instid1(VALU_DEP_3)
	v_cndmask_b32_e32 v19, 0, v19, vcc_lo
	v_dual_cndmask_b32 v18, 7, v18 :: v_dual_lshlrev_b32 v23, 3, v23
	s_delay_alu instid0(VALU_DEP_1) | instskip(NEXT) | instid1(VALU_DEP_2)
	v_and_b32_e32 v23, 0xf8, v23
	v_cmp_eq_u64_e32 vcc_lo, 0, v[18:19]
	s_delay_alu instid0(VALU_DEP_2)
	v_and_or_b32 v18, v18, 7, v23
	s_and_b32 s10, s10, vcc_lo
	s_delay_alu instid0(VALU_DEP_1) | instid1(SALU_CYCLE_1)
	v_cndmask_b32_e64 v18, v18, 0, s10
	s_delay_alu instid0(VALU_DEP_1)
	v_or_b32_e32 v63, v18, v72
.LBB4_554:                              ;   in Loop: Header=BB4_128 Depth=2
	s_or_b32 exec_lo, exec_lo, s29
                                        ; implicit-def: $vgpr72
.LBB4_555:                              ;   in Loop: Header=BB4_128 Depth=2
	s_and_not1_saveexec_b32 s10, s28
; %bb.556:                              ;   in Loop: Header=BB4_128 Depth=2
	v_or_b32_e32 v63, 0x7e, v72
; %bb.557:                              ;   in Loop: Header=BB4_128 Depth=2
	s_or_b32 exec_lo, exec_lo, s10
                                        ; implicit-def: $vgpr19
.LBB4_558:                              ;   in Loop: Header=BB4_128 Depth=2
	s_and_not1_saveexec_b32 s10, s27
; %bb.559:                              ;   in Loop: Header=BB4_128 Depth=2
	v_or_b32_e32 v63, 0x7f, v19
; %bb.560:                              ;   in Loop: Header=BB4_128 Depth=2
	s_or_b32 exec_lo, exec_lo, s10
	v_dual_lshrrev_b32 v22, 16, v25 :: v_dual_mov_b32 v18, 0
	v_mov_b32_e32 v19, 0
	s_mov_b32 s10, exec_lo
	s_delay_alu instid0(VALU_DEP_2) | instskip(NEXT) | instid1(VALU_DEP_1)
	v_and_b32_e32 v23, 0xff, v22
	v_cmpx_ne_u16_e32 0, v23
	s_cbranch_execz .LBB4_568
; %bb.561:                              ;   in Loop: Header=BB4_128 Depth=2
	v_bfrev_b32_e32 v19, 1
	s_mov_b32 s27, exec_lo
	v_cmpx_ne_u16_e32 0x80, v23
	s_cbranch_execz .LBB4_567
; %bb.562:                              ;   in Loop: Header=BB4_128 Depth=2
	v_bfe_u32 v23, v25, 16, 7
	v_mov_b32_e32 v19, 0x7f800001
	s_mov_b32 s28, exec_lo
	s_delay_alu instid0(VALU_DEP_2)
	v_cmpx_ne_u32_e32 0x7f, v23
	s_cbranch_execz .LBB4_566
; %bb.563:                              ;   in Loop: Header=BB4_128 Depth=2
	v_dual_lshrrev_b32 v19, 3, v23 :: v_dual_bitop2_b32 v64, 7, v22 bitop3:0x40
	s_mov_b32 s29, exec_lo
	v_cmpx_gt_u32_e32 8, v23
; %bb.564:                              ;   in Loop: Header=BB4_128 Depth=2
	s_delay_alu instid0(VALU_DEP_2) | instskip(NEXT) | instid1(VALU_DEP_1)
	v_clz_i32_u32_e32 v19, v64
	v_min_u32_e32 v19, 32, v19
	s_delay_alu instid0(VALU_DEP_1) | instskip(NEXT) | instid1(VALU_DEP_1)
	v_subrev_nc_u32_e32 v23, 28, v19
	v_lshlrev_b64_e32 v[72:73], v23, v[64:65]
	s_delay_alu instid0(VALU_DEP_1)
	v_dual_sub_nc_u32 v19, 29, v19 :: v_dual_bitop2_b32 v64, 7, v72 bitop3:0x40
; %bb.565:                              ;   in Loop: Header=BB4_128 Depth=2
	s_or_b32 exec_lo, exec_lo, s29
	s_delay_alu instid0(VALU_DEP_1) | instskip(NEXT) | instid1(VALU_DEP_2)
	v_dual_lshlrev_b32 v22, 24, v22 :: v_dual_lshlrev_b32 v23, 20, v64
	v_lshl_add_u32 v19, v19, 23, 0x3c000000
	s_delay_alu instid0(VALU_DEP_2) | instskip(NEXT) | instid1(VALU_DEP_1)
	v_and_b32_e32 v22, 0x80000000, v22
	v_or3_b32 v19, v23, v22, v19
.LBB4_566:                              ;   in Loop: Header=BB4_128 Depth=2
	s_or_b32 exec_lo, exec_lo, s28
.LBB4_567:                              ;   in Loop: Header=BB4_128 Depth=2
	s_delay_alu instid0(SALU_CYCLE_1)
	s_or_b32 exec_lo, exec_lo, s27
.LBB4_568:                              ;   in Loop: Header=BB4_128 Depth=2
	s_delay_alu instid0(SALU_CYCLE_1) | instskip(SKIP_2) | instid1(VALU_DEP_1)
	s_or_b32 exec_lo, exec_lo, s10
	v_lshrrev_b32_e32 v22, 16, v21
	s_mov_b32 s10, exec_lo
	v_and_b32_e32 v23, 0xff, v22
	s_delay_alu instid0(VALU_DEP_1)
	v_cmpx_ne_u16_e32 0, v23
	s_cbranch_execz .LBB4_576
; %bb.569:                              ;   in Loop: Header=BB4_128 Depth=2
	v_bfrev_b32_e32 v18, 1
	s_mov_b32 s27, exec_lo
	v_cmpx_ne_u16_e32 0x80, v23
	s_cbranch_execz .LBB4_575
; %bb.570:                              ;   in Loop: Header=BB4_128 Depth=2
	v_bfe_u32 v23, v21, 16, 7
	v_mov_b32_e32 v18, 0x7f800001
	s_mov_b32 s28, exec_lo
	s_delay_alu instid0(VALU_DEP_2)
	v_cmpx_ne_u32_e32 0x7f, v23
	s_cbranch_execz .LBB4_574
; %bb.571:                              ;   in Loop: Header=BB4_128 Depth=2
	v_dual_lshrrev_b32 v18, 3, v23 :: v_dual_bitop2_b32 v64, 7, v22 bitop3:0x40
	s_mov_b32 s29, exec_lo
	v_cmpx_gt_u32_e32 8, v23
; %bb.572:                              ;   in Loop: Header=BB4_128 Depth=2
	s_delay_alu instid0(VALU_DEP_2) | instskip(NEXT) | instid1(VALU_DEP_1)
	v_clz_i32_u32_e32 v18, v64
	v_min_u32_e32 v18, 32, v18
	s_delay_alu instid0(VALU_DEP_1) | instskip(SKIP_1) | instid1(VALU_DEP_2)
	v_subrev_nc_u32_e32 v22, 28, v18
	v_sub_nc_u32_e32 v18, 29, v18
	v_lshlrev_b64_e32 v[22:23], v22, v[64:65]
	s_delay_alu instid0(VALU_DEP_1)
	v_and_b32_e32 v64, 7, v22
; %bb.573:                              ;   in Loop: Header=BB4_128 Depth=2
	s_or_b32 exec_lo, exec_lo, s29
	s_delay_alu instid0(VALU_DEP_1) | instskip(SKIP_1) | instid1(VALU_DEP_2)
	v_dual_lshlrev_b32 v22, 8, v21 :: v_dual_lshlrev_b32 v23, 20, v64
	v_lshl_add_u32 v18, v18, 23, 0x3c000000
	v_and_b32_e32 v22, 0x80000000, v22
	s_delay_alu instid0(VALU_DEP_1)
	v_or3_b32 v18, v23, v22, v18
.LBB4_574:                              ;   in Loop: Header=BB4_128 Depth=2
	s_or_b32 exec_lo, exec_lo, s28
.LBB4_575:                              ;   in Loop: Header=BB4_128 Depth=2
	s_delay_alu instid0(SALU_CYCLE_1)
	s_or_b32 exec_lo, exec_lo, s27
.LBB4_576:                              ;   in Loop: Header=BB4_128 Depth=2
	s_delay_alu instid0(SALU_CYCLE_1) | instskip(NEXT) | instid1(VALU_DEP_1)
	s_or_b32 exec_lo, exec_lo, s10
	v_mul_f32_e32 v18, v19, v18
                                        ; implicit-def: $vgpr22
	s_mov_b32 s10, exec_lo
	s_delay_alu instid0(VALU_DEP_1) | instskip(SKIP_1) | instid1(VALU_DEP_2)
	v_and_b32_e32 v64, 0x7f800000, v18
	v_lshrrev_b32_e32 v19, 24, v18
	v_cmpx_ne_u64_e32 0x7f800000, v[64:65]
	s_xor_b32 s27, exec_lo, s10
	s_cbranch_execz .LBB4_590
; %bb.577:                              ;   in Loop: Header=BB4_128 Depth=2
	v_and_b32_e32 v64, 0x7fffffff, v18
	v_and_b32_e32 v72, 0x80, v19
                                        ; implicit-def: $vgpr22
	s_mov_b32 s10, exec_lo
	s_delay_alu instid0(VALU_DEP_2)
	v_cmpx_gt_u64_e32 0x43e00001, v[64:65]
	s_xor_b32 s28, exec_lo, s10
	s_cbranch_execz .LBB4_587
; %bb.578:                              ;   in Loop: Header=BB4_128 Depth=2
	v_mov_b32_e32 v22, 0
	s_mov_b32 s29, exec_lo
	v_cmpx_ne_u32_e32 0, v18
	s_cbranch_execz .LBB4_586
; %bb.579:                              ;   in Loop: Header=BB4_128 Depth=2
	v_bfe_u32 v73, v18, 23, 8
	v_and_b32_e32 v22, 0x7fffff, v18
	s_delay_alu instid0(VALU_DEP_2) | instskip(NEXT) | instid1(VALU_DEP_2)
	v_cmp_gt_u32_e32 vcc_lo, 0x7a, v73
	v_or_b32_e32 v23, 0x800000, v22
	v_sub_nc_u32_e32 v19, 0x79, v73
	s_delay_alu instid0(VALU_DEP_1) | instskip(SKIP_1) | instid1(VALU_DEP_2)
	v_cndmask_b32_e32 v19, 0, v19, vcc_lo
	v_cmp_eq_u32_e32 vcc_lo, 0, v73
	v_cndmask_b32_e64 v74, v19, 0x78, vcc_lo
	v_cndmask_b32_e32 v64, v23, v22, vcc_lo
	s_delay_alu instid0(VALU_DEP_2) | instskip(NEXT) | instid1(VALU_DEP_1)
	v_dual_add_nc_u32 v18, 20, v74 :: v_dual_add_nc_u32 v75, 19, v74
	v_lshlrev_b64_e64 v[18:19], v18, -1
	s_delay_alu instid0(VALU_DEP_2) | instskip(NEXT) | instid1(VALU_DEP_2)
	v_lshlrev_b64_e64 v[22:23], v75, 1
	v_bfi_b32 v77, v19, 0, 0
	s_delay_alu instid0(VALU_DEP_3) | instskip(SKIP_1) | instid1(VALU_DEP_2)
	v_bfi_b32 v76, v18, 0, v64
	v_lshrrev_b64 v[18:19], v74, v[64:65]
	v_cmp_eq_u64_e64 s10, v[76:77], v[22:23]
	s_delay_alu instid0(VALU_DEP_2)
	v_mov_b64_e32 v[22:23], v[18:19]
	s_and_saveexec_b32 s40, s10
; %bb.580:                              ;   in Loop: Header=BB4_128 Depth=2
	v_bfe_u32 v64, v18, 20, 1
	s_delay_alu instid0(VALU_DEP_1) | instskip(NEXT) | instid1(VALU_DEP_1)
	v_add_nc_u64_e32 v[22:23], v[18:19], v[64:65]
	v_add_nc_u64_e32 v[22:23], -1, v[22:23]
; %bb.581:                              ;   in Loop: Header=BB4_128 Depth=2
	s_or_b32 exec_lo, exec_lo, s40
	v_add_nc_u32_e32 v19, 0xffffff81, v73
	v_lshrrev_b32_e32 v23, 23, v18
	s_mov_b32 s10, exec_lo
	s_delay_alu instid0(VALU_DEP_2) | instskip(NEXT) | instid1(VALU_DEP_1)
	v_cndmask_b32_e64 v19, v19, 0xffffff82, vcc_lo
	v_add3_u32 v23, v74, v19, v23
	v_and_b32_e32 v19, 0xfffff, v22
                                        ; implicit-def: $vgpr22
	s_delay_alu instid0(VALU_DEP_1) | instskip(NEXT) | instid1(VALU_DEP_1)
	v_dual_add_nc_u32 v73, 6, v23 :: v_dual_add_nc_u32 v64, v19, v18
                                        ; implicit-def: $vgpr18_vgpr19
	v_cmpx_ne_u32_e32 0, v73
	s_xor_b32 s10, exec_lo, s10
; %bb.582:                              ;   in Loop: Header=BB4_128 Depth=2
	s_delay_alu instid0(VALU_DEP_2) | instskip(SKIP_1) | instid1(VALU_DEP_1)
	v_cmp_lt_u64_e32 vcc_lo, 0xffffff, v[64:65]
	v_add_nc_u32_e32 v18, 7, v23
	v_cndmask_b32_e32 v22, v73, v18, vcc_lo
	v_cndmask_b32_e64 v18, 0, 1, vcc_lo
	s_delay_alu instid0(VALU_DEP_1)
	v_lshrrev_b64 v[18:19], v18, v[64:65]
; %bb.583:                              ;   in Loop: Header=BB4_128 Depth=2
	s_and_not1_saveexec_b32 s10, s10
; %bb.584:                              ;   in Loop: Header=BB4_128 Depth=2
	v_mov_b64_e32 v[18:19], v[64:65]
	v_bfe_u32 v22, v64, 23, 1
; %bb.585:                              ;   in Loop: Header=BB4_128 Depth=2
	s_or_b32 exec_lo, exec_lo, s10
	s_delay_alu instid0(VALU_DEP_2) | instskip(NEXT) | instid1(VALU_DEP_2)
	v_lshrrev_b64 v[18:19], 20, v[18:19]
	v_cmp_gt_i32_e32 vcc_lo, 16, v22
	v_min_i32_e32 v23, 15, v22
	v_cmp_eq_u32_e64 s10, 0, v22
	s_delay_alu instid0(VALU_DEP_4) | instskip(NEXT) | instid1(VALU_DEP_3)
	v_cndmask_b32_e32 v19, 0, v19, vcc_lo
	v_dual_cndmask_b32 v18, 7, v18 :: v_dual_lshlrev_b32 v23, 3, v23
	s_delay_alu instid0(VALU_DEP_1) | instskip(NEXT) | instid1(VALU_DEP_2)
	v_and_b32_e32 v23, 0xf8, v23
	v_cmp_eq_u64_e32 vcc_lo, 0, v[18:19]
	s_delay_alu instid0(VALU_DEP_2)
	v_and_or_b32 v18, v18, 7, v23
	s_and_b32 s10, s10, vcc_lo
	s_delay_alu instid0(VALU_DEP_1) | instid1(SALU_CYCLE_1)
	v_cndmask_b32_e64 v18, v18, 0, s10
	s_delay_alu instid0(VALU_DEP_1)
	v_or_b32_e32 v22, v18, v72
.LBB4_586:                              ;   in Loop: Header=BB4_128 Depth=2
	s_or_b32 exec_lo, exec_lo, s29
                                        ; implicit-def: $vgpr72
.LBB4_587:                              ;   in Loop: Header=BB4_128 Depth=2
	s_and_not1_saveexec_b32 s10, s28
; %bb.588:                              ;   in Loop: Header=BB4_128 Depth=2
	v_or_b32_e32 v22, 0x7e, v72
; %bb.589:                              ;   in Loop: Header=BB4_128 Depth=2
	s_or_b32 exec_lo, exec_lo, s10
                                        ; implicit-def: $vgpr19
.LBB4_590:                              ;   in Loop: Header=BB4_128 Depth=2
	s_and_not1_saveexec_b32 s10, s27
; %bb.591:                              ;   in Loop: Header=BB4_128 Depth=2
	v_or_b32_e32 v22, 0x7f, v19
; %bb.592:                              ;   in Loop: Header=BB4_128 Depth=2
	s_or_b32 exec_lo, exec_lo, s10
	v_dual_mov_b32 v18, 0 :: v_dual_mov_b32 v19, 0
	s_mov_b32 s10, exec_lo
	v_cmpx_lt_u64_e64 s[14:15], v[24:25]
	s_cbranch_execz .LBB4_600
; %bb.593:                              ;   in Loop: Header=BB4_128 Depth=2
	v_lshrrev_b32_e32 v23, 24, v25
	v_bfrev_b32_e32 v19, 1
	s_mov_b32 s27, exec_lo
	s_delay_alu instid0(VALU_DEP_2)
	v_cmpx_ne_u32_e32 0x80, v23
	s_cbranch_execz .LBB4_599
; %bb.594:                              ;   in Loop: Header=BB4_128 Depth=2
	v_bfe_u32 v24, v25, 24, 7
	v_mov_b32_e32 v19, 0x7f800001
	s_mov_b32 s28, exec_lo
	s_delay_alu instid0(VALU_DEP_2)
	v_cmpx_ne_u32_e32 0x7f, v24
	s_cbranch_execz .LBB4_598
; %bb.595:                              ;   in Loop: Header=BB4_128 Depth=2
	v_dual_lshrrev_b32 v19, 3, v24 :: v_dual_bitop2_b32 v64, 7, v23 bitop3:0x40
	s_mov_b32 s29, exec_lo
	v_cmpx_gt_u32_e32 8, v24
; %bb.596:                              ;   in Loop: Header=BB4_128 Depth=2
	s_delay_alu instid0(VALU_DEP_2) | instskip(NEXT) | instid1(VALU_DEP_1)
	v_clz_i32_u32_e32 v19, v64
	v_min_u32_e32 v19, 32, v19
	s_delay_alu instid0(VALU_DEP_1) | instskip(NEXT) | instid1(VALU_DEP_1)
	v_subrev_nc_u32_e32 v24, 28, v19
	v_lshlrev_b64_e32 v[24:25], v24, v[64:65]
	s_delay_alu instid0(VALU_DEP_1)
	v_dual_sub_nc_u32 v19, 29, v19 :: v_dual_bitop2_b32 v64, 7, v24 bitop3:0x40
; %bb.597:                              ;   in Loop: Header=BB4_128 Depth=2
	s_or_b32 exec_lo, exec_lo, s29
	s_delay_alu instid0(VALU_DEP_1) | instskip(NEXT) | instid1(VALU_DEP_2)
	v_dual_lshlrev_b32 v23, 24, v23 :: v_dual_lshlrev_b32 v24, 20, v64
	v_lshl_add_u32 v19, v19, 23, 0x3c000000
	s_delay_alu instid0(VALU_DEP_2) | instskip(NEXT) | instid1(VALU_DEP_1)
	v_and_b32_e32 v23, 0x80000000, v23
	v_or3_b32 v19, v24, v23, v19
.LBB4_598:                              ;   in Loop: Header=BB4_128 Depth=2
	s_or_b32 exec_lo, exec_lo, s28
.LBB4_599:                              ;   in Loop: Header=BB4_128 Depth=2
	s_delay_alu instid0(SALU_CYCLE_1)
	s_or_b32 exec_lo, exec_lo, s27
.LBB4_600:                              ;   in Loop: Header=BB4_128 Depth=2
	s_delay_alu instid0(SALU_CYCLE_1) | instskip(NEXT) | instid1(SALU_CYCLE_1)
	s_or_b32 exec_lo, exec_lo, s10
	s_mov_b32 s10, exec_lo
	v_cmpx_lt_u64_e64 s[14:15], v[20:21]
	s_cbranch_execz .LBB4_608
; %bb.601:                              ;   in Loop: Header=BB4_128 Depth=2
	v_lshrrev_b32_e32 v20, 24, v21
	v_bfrev_b32_e32 v18, 1
	s_mov_b32 s27, exec_lo
	s_delay_alu instid0(VALU_DEP_2)
	v_cmpx_ne_u32_e32 0x80, v20
	s_cbranch_execz .LBB4_607
; %bb.602:                              ;   in Loop: Header=BB4_128 Depth=2
	v_bfe_u32 v21, v21, 24, 7
	v_mov_b32_e32 v18, 0x7f800001
	s_mov_b32 s28, exec_lo
	s_delay_alu instid0(VALU_DEP_2)
	v_cmpx_ne_u32_e32 0x7f, v21
	s_cbranch_execz .LBB4_606
; %bb.603:                              ;   in Loop: Header=BB4_128 Depth=2
	v_dual_lshrrev_b32 v18, 3, v21 :: v_dual_bitop2_b32 v64, 7, v20 bitop3:0x40
	s_mov_b32 s29, exec_lo
	v_cmpx_gt_u32_e32 8, v21
; %bb.604:                              ;   in Loop: Header=BB4_128 Depth=2
	s_delay_alu instid0(VALU_DEP_2) | instskip(NEXT) | instid1(VALU_DEP_1)
	v_clz_i32_u32_e32 v18, v64
	v_min_u32_e32 v18, 32, v18
	s_delay_alu instid0(VALU_DEP_1) | instskip(NEXT) | instid1(VALU_DEP_1)
	v_subrev_nc_u32_e32 v21, 28, v18
	v_lshlrev_b64_e32 v[24:25], v21, v[64:65]
	s_delay_alu instid0(VALU_DEP_1)
	v_dual_sub_nc_u32 v18, 29, v18 :: v_dual_bitop2_b32 v64, 7, v24 bitop3:0x40
; %bb.605:                              ;   in Loop: Header=BB4_128 Depth=2
	s_or_b32 exec_lo, exec_lo, s29
	v_lshlrev_b32_e32 v20, 24, v20
	s_delay_alu instid0(VALU_DEP_2) | instskip(NEXT) | instid1(VALU_DEP_3)
	v_lshlrev_b32_e32 v21, 20, v64
	v_lshl_add_u32 v18, v18, 23, 0x3c000000
	s_delay_alu instid0(VALU_DEP_3) | instskip(NEXT) | instid1(VALU_DEP_1)
	v_and_b32_e32 v20, 0x80000000, v20
	v_or3_b32 v18, v21, v20, v18
.LBB4_606:                              ;   in Loop: Header=BB4_128 Depth=2
	s_or_b32 exec_lo, exec_lo, s28
.LBB4_607:                              ;   in Loop: Header=BB4_128 Depth=2
	s_delay_alu instid0(SALU_CYCLE_1)
	s_or_b32 exec_lo, exec_lo, s27
.LBB4_608:                              ;   in Loop: Header=BB4_128 Depth=2
	s_delay_alu instid0(SALU_CYCLE_1) | instskip(NEXT) | instid1(VALU_DEP_1)
	s_or_b32 exec_lo, exec_lo, s10
	v_mul_f32_e32 v18, v19, v18
                                        ; implicit-def: $vgpr23
	s_mov_b32 s10, exec_lo
	s_delay_alu instid0(VALU_DEP_1) | instskip(SKIP_1) | instid1(VALU_DEP_2)
	v_and_b32_e32 v64, 0x7f800000, v18
	v_lshrrev_b32_e32 v19, 24, v18
	v_cmpx_ne_u64_e32 0x7f800000, v[64:65]
	s_xor_b32 s27, exec_lo, s10
	s_cbranch_execz .LBB4_622
; %bb.609:                              ;   in Loop: Header=BB4_128 Depth=2
	v_and_b32_e32 v64, 0x7fffffff, v18
	v_and_b32_e32 v24, 0x80, v19
                                        ; implicit-def: $vgpr23
	s_mov_b32 s10, exec_lo
	s_delay_alu instid0(VALU_DEP_2)
	v_cmpx_gt_u64_e32 0x43e00001, v[64:65]
	s_xor_b32 s28, exec_lo, s10
	s_cbranch_execz .LBB4_619
; %bb.610:                              ;   in Loop: Header=BB4_128 Depth=2
	v_mov_b32_e32 v23, 0
	s_mov_b32 s29, exec_lo
	v_cmpx_ne_u32_e32 0, v18
	s_cbranch_execz .LBB4_618
; %bb.611:                              ;   in Loop: Header=BB4_128 Depth=2
	v_bfe_u32 v23, v18, 23, 8
	v_and_b32_e32 v20, 0x7fffff, v18
	s_delay_alu instid0(VALU_DEP_2) | instskip(NEXT) | instid1(VALU_DEP_2)
	v_cmp_gt_u32_e32 vcc_lo, 0x7a, v23
	v_or_b32_e32 v21, 0x800000, v20
	v_sub_nc_u32_e32 v19, 0x79, v23
	s_delay_alu instid0(VALU_DEP_1) | instskip(SKIP_1) | instid1(VALU_DEP_2)
	v_cndmask_b32_e32 v19, 0, v19, vcc_lo
	v_cmp_eq_u32_e32 vcc_lo, 0, v23
	v_cndmask_b32_e64 v25, v19, 0x78, vcc_lo
	s_delay_alu instid0(VALU_DEP_1) | instskip(SKIP_1) | instid1(VALU_DEP_2)
	v_dual_cndmask_b32 v64, v21, v20, vcc_lo :: v_dual_add_nc_u32 v18, 20, v25
	v_add_nc_u32_e32 v72, 19, v25
	v_lshlrev_b64_e64 v[18:19], v18, -1
	s_delay_alu instid0(VALU_DEP_2) | instskip(NEXT) | instid1(VALU_DEP_2)
	v_lshlrev_b64_e64 v[20:21], v72, 1
	v_bfi_b32 v73, v19, 0, 0
	s_delay_alu instid0(VALU_DEP_3) | instskip(SKIP_1) | instid1(VALU_DEP_2)
	v_bfi_b32 v72, v18, 0, v64
	v_lshrrev_b64 v[18:19], v25, v[64:65]
	v_cmp_eq_u64_e64 s10, v[72:73], v[20:21]
	s_delay_alu instid0(VALU_DEP_2)
	v_mov_b64_e32 v[20:21], v[18:19]
	s_and_saveexec_b32 s40, s10
; %bb.612:                              ;   in Loop: Header=BB4_128 Depth=2
	v_bfe_u32 v64, v18, 20, 1
	s_delay_alu instid0(VALU_DEP_1) | instskip(NEXT) | instid1(VALU_DEP_1)
	v_add_nc_u64_e32 v[20:21], v[18:19], v[64:65]
	v_add_nc_u64_e32 v[20:21], -1, v[20:21]
; %bb.613:                              ;   in Loop: Header=BB4_128 Depth=2
	s_or_b32 exec_lo, exec_lo, s40
	v_add_nc_u32_e32 v19, 0xffffff81, v23
	v_lshrrev_b32_e32 v21, 23, v18
	s_mov_b32 s10, exec_lo
	s_delay_alu instid0(VALU_DEP_2) | instskip(NEXT) | instid1(VALU_DEP_1)
	v_cndmask_b32_e64 v19, v19, 0xffffff82, vcc_lo
	v_add3_u32 v21, v25, v19, v21
	v_and_b32_e32 v19, 0xfffff, v20
                                        ; implicit-def: $vgpr20
	s_delay_alu instid0(VALU_DEP_1) | instskip(NEXT) | instid1(VALU_DEP_1)
	v_dual_add_nc_u32 v23, 6, v21 :: v_dual_add_nc_u32 v64, v19, v18
                                        ; implicit-def: $vgpr18_vgpr19
	v_cmpx_ne_u32_e32 0, v23
	s_xor_b32 s10, exec_lo, s10
; %bb.614:                              ;   in Loop: Header=BB4_128 Depth=2
	s_delay_alu instid0(VALU_DEP_2) | instskip(SKIP_1) | instid1(VALU_DEP_1)
	v_cmp_lt_u64_e32 vcc_lo, 0xffffff, v[64:65]
	v_add_nc_u32_e32 v18, 7, v21
	v_cndmask_b32_e32 v20, v23, v18, vcc_lo
	v_cndmask_b32_e64 v18, 0, 1, vcc_lo
	s_delay_alu instid0(VALU_DEP_1)
	v_lshrrev_b64 v[18:19], v18, v[64:65]
; %bb.615:                              ;   in Loop: Header=BB4_128 Depth=2
	s_and_not1_saveexec_b32 s10, s10
; %bb.616:                              ;   in Loop: Header=BB4_128 Depth=2
	v_mov_b64_e32 v[18:19], v[64:65]
	v_bfe_u32 v20, v64, 23, 1
; %bb.617:                              ;   in Loop: Header=BB4_128 Depth=2
	s_or_b32 exec_lo, exec_lo, s10
	s_delay_alu instid0(VALU_DEP_2) | instskip(NEXT) | instid1(VALU_DEP_2)
	v_lshrrev_b64 v[18:19], 20, v[18:19]
	v_cmp_gt_i32_e32 vcc_lo, 16, v20
	v_min_i32_e32 v21, 15, v20
	v_cmp_eq_u32_e64 s10, 0, v20
	s_delay_alu instid0(VALU_DEP_2) | instskip(SKIP_1) | instid1(VALU_DEP_2)
	v_dual_cndmask_b32 v19, 0, v19, vcc_lo :: v_dual_lshlrev_b32 v21, 3, v21
	v_cndmask_b32_e32 v18, 7, v18, vcc_lo
	v_and_b32_e32 v21, 0xf8, v21
	s_delay_alu instid0(VALU_DEP_2) | instskip(NEXT) | instid1(VALU_DEP_2)
	v_cmp_eq_u64_e32 vcc_lo, 0, v[18:19]
	v_and_or_b32 v18, v18, 7, v21
	s_and_b32 s10, s10, vcc_lo
	s_delay_alu instid0(VALU_DEP_1) | instid1(SALU_CYCLE_1)
	v_cndmask_b32_e64 v18, v18, 0, s10
	s_delay_alu instid0(VALU_DEP_1)
	v_or_b32_e32 v23, v18, v24
.LBB4_618:                              ;   in Loop: Header=BB4_128 Depth=2
	s_or_b32 exec_lo, exec_lo, s29
                                        ; implicit-def: $vgpr24
.LBB4_619:                              ;   in Loop: Header=BB4_128 Depth=2
	s_and_not1_saveexec_b32 s10, s28
; %bb.620:                              ;   in Loop: Header=BB4_128 Depth=2
	v_or_b32_e32 v23, 0x7e, v24
; %bb.621:                              ;   in Loop: Header=BB4_128 Depth=2
	s_or_b32 exec_lo, exec_lo, s10
                                        ; implicit-def: $vgpr19
.LBB4_622:                              ;   in Loop: Header=BB4_128 Depth=2
	s_and_not1_saveexec_b32 s10, s27
; %bb.623:                              ;   in Loop: Header=BB4_128 Depth=2
	v_or_b32_e32 v23, 0x7f, v19
; %bb.624:                              ;   in Loop: Header=BB4_128 Depth=2
	s_or_b32 exec_lo, exec_lo, s10
	v_and_b32_e32 v20, 0xff, v14
	v_dual_mov_b32 v18, 0 :: v_dual_mov_b32 v19, 0
	s_mov_b32 s10, exec_lo
	s_delay_alu instid0(VALU_DEP_2)
	v_cmpx_ne_u16_e32 0, v20
	s_cbranch_execz .LBB4_630
; %bb.625:                              ;   in Loop: Header=BB4_128 Depth=2
	v_bfrev_b32_e32 v19, 1
	s_mov_b32 s27, exec_lo
	v_cmpx_ne_u16_e32 0x80, v20
	s_cbranch_execz .LBB4_629
; %bb.626:                              ;   in Loop: Header=BB4_128 Depth=2
	v_and_b32_e32 v20, 0x7f, v14
	v_mov_b32_e32 v19, 0x7f800001
	s_mov_b32 s28, exec_lo
	s_delay_alu instid0(VALU_DEP_2)
	v_cmpx_ne_u32_e32 0x7f, v20
	s_cbranch_execz .LBB4_628
; %bb.627:                              ;   in Loop: Header=BB4_128 Depth=2
	v_dual_lshrrev_b32 v21, 3, v20 :: v_dual_bitop2_b32 v19, 7, v14 bitop3:0x40
	v_cmp_gt_u32_e32 vcc_lo, 8, v20
	s_delay_alu instid0(VALU_DEP_2) | instskip(NEXT) | instid1(VALU_DEP_1)
	v_clz_i32_u32_e32 v19, v19
	v_min_u32_e32 v19, 32, v19
	s_delay_alu instid0(VALU_DEP_1) | instskip(NEXT) | instid1(VALU_DEP_1)
	v_subrev_nc_u32_e32 v24, 28, v19
	v_dual_cndmask_b32 v20, 0, v24 :: v_dual_sub_nc_u32 v19, 29, v19
	s_delay_alu instid0(VALU_DEP_1) | instskip(NEXT) | instid1(VALU_DEP_2)
	v_cndmask_b32_e32 v19, v21, v19, vcc_lo
	v_lshlrev_b64_e32 v[20:21], v20, v[14:15]
	v_lshlrev_b32_e32 v21, 24, v14
	s_delay_alu instid0(VALU_DEP_3) | instskip(NEXT) | instid1(VALU_DEP_2)
	v_lshl_add_u32 v19, v19, 23, 0x3c000000
	v_and_b32_e32 v21, 0x80000000, v21
	s_delay_alu instid0(VALU_DEP_4) | instskip(NEXT) | instid1(VALU_DEP_1)
	v_lshlrev_b32_e32 v20, 20, v20
	v_and_b32_e32 v20, 0x700000, v20
	s_delay_alu instid0(VALU_DEP_1)
	v_or3_b32 v19, v20, v21, v19
.LBB4_628:                              ;   in Loop: Header=BB4_128 Depth=2
	s_or_b32 exec_lo, exec_lo, s28
.LBB4_629:                              ;   in Loop: Header=BB4_128 Depth=2
	s_delay_alu instid0(SALU_CYCLE_1)
	s_or_b32 exec_lo, exec_lo, s27
.LBB4_630:                              ;   in Loop: Header=BB4_128 Depth=2
	s_delay_alu instid0(SALU_CYCLE_1) | instskip(SKIP_3) | instid1(VALU_DEP_1)
	s_or_b32 exec_lo, exec_lo, s10
	s_wait_loadcnt 0x0
	v_and_b32_e32 v20, 0xff, v10
	s_mov_b32 s10, exec_lo
	v_cmpx_ne_u16_e32 0, v20
	s_cbranch_execz .LBB4_636
; %bb.631:                              ;   in Loop: Header=BB4_128 Depth=2
	v_bfrev_b32_e32 v18, 1
	s_mov_b32 s27, exec_lo
	v_cmpx_ne_u16_e32 0x80, v20
	s_cbranch_execz .LBB4_635
; %bb.632:                              ;   in Loop: Header=BB4_128 Depth=2
	v_and_b32_e32 v20, 0x7f, v10
	v_mov_b32_e32 v18, 0x7f800001
	s_mov_b32 s28, exec_lo
	s_delay_alu instid0(VALU_DEP_2)
	v_cmpx_ne_u32_e32 0x7f, v20
	s_cbranch_execz .LBB4_634
; %bb.633:                              ;   in Loop: Header=BB4_128 Depth=2
	v_dual_lshrrev_b32 v21, 3, v20 :: v_dual_bitop2_b32 v18, 7, v10 bitop3:0x40
	v_cmp_gt_u32_e32 vcc_lo, 8, v20
	s_delay_alu instid0(VALU_DEP_2) | instskip(NEXT) | instid1(VALU_DEP_1)
	v_clz_i32_u32_e32 v18, v18
	v_min_u32_e32 v18, 32, v18
	s_delay_alu instid0(VALU_DEP_1) | instskip(NEXT) | instid1(VALU_DEP_1)
	v_subrev_nc_u32_e32 v24, 28, v18
	v_dual_sub_nc_u32 v18, 29, v18 :: v_dual_cndmask_b32 v20, 0, v24, vcc_lo
	s_delay_alu instid0(VALU_DEP_1) | instskip(NEXT) | instid1(VALU_DEP_2)
	v_cndmask_b32_e32 v18, v21, v18, vcc_lo
	v_lshlrev_b64_e32 v[20:21], v20, v[10:11]
	v_lshlrev_b32_e32 v21, 24, v10
	s_delay_alu instid0(VALU_DEP_1) | instskip(NEXT) | instid1(VALU_DEP_3)
	v_and_b32_e32 v21, 0x80000000, v21
	v_lshlrev_b32_e32 v20, 20, v20
	v_lshl_add_u32 v18, v18, 23, 0x3c000000
	s_delay_alu instid0(VALU_DEP_2) | instskip(NEXT) | instid1(VALU_DEP_1)
	v_and_b32_e32 v20, 0x700000, v20
	v_or3_b32 v18, v20, v21, v18
.LBB4_634:                              ;   in Loop: Header=BB4_128 Depth=2
	s_or_b32 exec_lo, exec_lo, s28
.LBB4_635:                              ;   in Loop: Header=BB4_128 Depth=2
	s_delay_alu instid0(SALU_CYCLE_1)
	s_or_b32 exec_lo, exec_lo, s27
.LBB4_636:                              ;   in Loop: Header=BB4_128 Depth=2
	s_delay_alu instid0(SALU_CYCLE_1) | instskip(NEXT) | instid1(VALU_DEP_1)
	s_or_b32 exec_lo, exec_lo, s10
	v_mul_f32_e32 v18, v19, v18
                                        ; implicit-def: $vgpr24
	s_mov_b32 s10, exec_lo
	s_delay_alu instid0(VALU_DEP_1) | instskip(SKIP_1) | instid1(VALU_DEP_2)
	v_and_b32_e32 v64, 0x7f800000, v18
	v_lshrrev_b32_e32 v19, 24, v18
	v_cmpx_ne_u64_e32 0x7f800000, v[64:65]
	s_xor_b32 s27, exec_lo, s10
	s_cbranch_execz .LBB4_650
; %bb.637:                              ;   in Loop: Header=BB4_128 Depth=2
	v_and_b32_e32 v64, 0x7fffffff, v18
	v_and_b32_e32 v25, 0x80, v19
                                        ; implicit-def: $vgpr24
	s_mov_b32 s10, exec_lo
	s_delay_alu instid0(VALU_DEP_2)
	v_cmpx_gt_u64_e32 0x43e00001, v[64:65]
	s_xor_b32 s28, exec_lo, s10
	s_cbranch_execz .LBB4_647
; %bb.638:                              ;   in Loop: Header=BB4_128 Depth=2
	v_mov_b32_e32 v24, 0
	s_mov_b32 s29, exec_lo
	v_cmpx_ne_u32_e32 0, v18
	s_cbranch_execz .LBB4_646
; %bb.639:                              ;   in Loop: Header=BB4_128 Depth=2
	v_bfe_u32 v24, v18, 23, 8
	v_and_b32_e32 v20, 0x7fffff, v18
	s_delay_alu instid0(VALU_DEP_2) | instskip(SKIP_1) | instid1(VALU_DEP_3)
	v_sub_nc_u32_e32 v19, 0x79, v24
	v_cmp_gt_u32_e32 vcc_lo, 0x7a, v24
	v_or_b32_e32 v21, 0x800000, v20
	s_delay_alu instid0(VALU_DEP_3) | instskip(SKIP_1) | instid1(VALU_DEP_2)
	v_cndmask_b32_e32 v19, 0, v19, vcc_lo
	v_cmp_eq_u32_e32 vcc_lo, 0, v24
	v_cndmask_b32_e64 v72, v19, 0x78, vcc_lo
	s_delay_alu instid0(VALU_DEP_4) | instskip(NEXT) | instid1(VALU_DEP_2)
	v_cndmask_b32_e32 v64, v21, v20, vcc_lo
	v_dual_add_nc_u32 v18, 20, v72 :: v_dual_add_nc_u32 v73, 19, v72
	s_delay_alu instid0(VALU_DEP_1) | instskip(NEXT) | instid1(VALU_DEP_2)
	v_lshlrev_b64_e64 v[18:19], v18, -1
	v_lshlrev_b64_e64 v[20:21], v73, 1
	s_delay_alu instid0(VALU_DEP_2) | instskip(NEXT) | instid1(VALU_DEP_3)
	v_bfi_b32 v75, v19, 0, 0
	v_bfi_b32 v74, v18, 0, v64
	v_lshrrev_b64 v[18:19], v72, v[64:65]
	s_delay_alu instid0(VALU_DEP_2) | instskip(NEXT) | instid1(VALU_DEP_2)
	v_cmp_eq_u64_e64 s10, v[74:75], v[20:21]
	v_mov_b64_e32 v[20:21], v[18:19]
	s_and_saveexec_b32 s40, s10
; %bb.640:                              ;   in Loop: Header=BB4_128 Depth=2
	v_bfe_u32 v64, v18, 20, 1
	s_delay_alu instid0(VALU_DEP_1) | instskip(NEXT) | instid1(VALU_DEP_1)
	v_add_nc_u64_e32 v[20:21], v[18:19], v[64:65]
	v_add_nc_u64_e32 v[20:21], -1, v[20:21]
; %bb.641:                              ;   in Loop: Header=BB4_128 Depth=2
	s_or_b32 exec_lo, exec_lo, s40
	v_add_nc_u32_e32 v19, 0xffffff81, v24
	v_lshrrev_b32_e32 v21, 23, v18
	s_mov_b32 s10, exec_lo
	s_delay_alu instid0(VALU_DEP_2) | instskip(NEXT) | instid1(VALU_DEP_1)
	v_cndmask_b32_e64 v19, v19, 0xffffff82, vcc_lo
	v_add3_u32 v21, v72, v19, v21
	v_and_b32_e32 v19, 0xfffff, v20
                                        ; implicit-def: $vgpr20
	s_delay_alu instid0(VALU_DEP_1) | instskip(NEXT) | instid1(VALU_DEP_1)
	v_dual_add_nc_u32 v24, 6, v21 :: v_dual_add_nc_u32 v64, v19, v18
                                        ; implicit-def: $vgpr18_vgpr19
	v_cmpx_ne_u32_e32 0, v24
	s_xor_b32 s10, exec_lo, s10
; %bb.642:                              ;   in Loop: Header=BB4_128 Depth=2
	s_delay_alu instid0(VALU_DEP_2) | instskip(SKIP_1) | instid1(VALU_DEP_1)
	v_cmp_lt_u64_e32 vcc_lo, 0xffffff, v[64:65]
	v_add_nc_u32_e32 v18, 7, v21
	v_cndmask_b32_e32 v20, v24, v18, vcc_lo
	v_cndmask_b32_e64 v18, 0, 1, vcc_lo
	s_delay_alu instid0(VALU_DEP_1)
	v_lshrrev_b64 v[18:19], v18, v[64:65]
; %bb.643:                              ;   in Loop: Header=BB4_128 Depth=2
	s_and_not1_saveexec_b32 s10, s10
; %bb.644:                              ;   in Loop: Header=BB4_128 Depth=2
	v_mov_b64_e32 v[18:19], v[64:65]
	v_bfe_u32 v20, v64, 23, 1
; %bb.645:                              ;   in Loop: Header=BB4_128 Depth=2
	s_or_b32 exec_lo, exec_lo, s10
	s_delay_alu instid0(VALU_DEP_2) | instskip(NEXT) | instid1(VALU_DEP_2)
	v_lshrrev_b64 v[18:19], 20, v[18:19]
	v_cmp_gt_i32_e32 vcc_lo, 16, v20
	v_min_i32_e32 v21, 15, v20
	v_cmp_eq_u32_e64 s10, 0, v20
	s_delay_alu instid0(VALU_DEP_2) | instskip(SKIP_1) | instid1(VALU_DEP_2)
	v_dual_cndmask_b32 v19, 0, v19, vcc_lo :: v_dual_lshlrev_b32 v21, 3, v21
	v_cndmask_b32_e32 v18, 7, v18, vcc_lo
	v_and_b32_e32 v21, 0xf8, v21
	s_delay_alu instid0(VALU_DEP_2) | instskip(NEXT) | instid1(VALU_DEP_2)
	v_cmp_eq_u64_e32 vcc_lo, 0, v[18:19]
	v_and_or_b32 v18, v18, 7, v21
	s_and_b32 s10, s10, vcc_lo
	s_delay_alu instid0(VALU_DEP_1) | instid1(SALU_CYCLE_1)
	v_cndmask_b32_e64 v18, v18, 0, s10
	s_delay_alu instid0(VALU_DEP_1)
	v_or_b32_e32 v24, v18, v25
.LBB4_646:                              ;   in Loop: Header=BB4_128 Depth=2
	s_or_b32 exec_lo, exec_lo, s29
                                        ; implicit-def: $vgpr25
.LBB4_647:                              ;   in Loop: Header=BB4_128 Depth=2
	s_and_not1_saveexec_b32 s10, s28
; %bb.648:                              ;   in Loop: Header=BB4_128 Depth=2
	v_or_b32_e32 v24, 0x7e, v25
; %bb.649:                              ;   in Loop: Header=BB4_128 Depth=2
	s_or_b32 exec_lo, exec_lo, s10
                                        ; implicit-def: $vgpr19
.LBB4_650:                              ;   in Loop: Header=BB4_128 Depth=2
	s_and_not1_saveexec_b32 s10, s27
; %bb.651:                              ;   in Loop: Header=BB4_128 Depth=2
	v_or_b32_e32 v24, 0x7f, v19
; %bb.652:                              ;   in Loop: Header=BB4_128 Depth=2
	s_or_b32 exec_lo, exec_lo, s10
	v_lshrrev_b16 v20, 8, v14
	v_dual_mov_b32 v18, 0 :: v_dual_mov_b32 v19, 0
	s_mov_b32 s10, exec_lo
	s_delay_alu instid0(VALU_DEP_2)
	v_cmpx_ne_u16_e32 0, v20
	s_cbranch_execz .LBB4_660
; %bb.653:                              ;   in Loop: Header=BB4_128 Depth=2
	v_bfrev_b32_e32 v19, 1
	s_mov_b32 s27, exec_lo
	v_cmpx_ne_u16_e32 0x80, v20
	s_cbranch_execz .LBB4_659
; %bb.654:                              ;   in Loop: Header=BB4_128 Depth=2
	v_and_b32_e32 v21, 0xffff, v20
	v_mov_b32_e32 v19, 0x7f800001
	s_mov_b32 s28, exec_lo
	s_delay_alu instid0(VALU_DEP_2) | instskip(NEXT) | instid1(VALU_DEP_1)
	v_and_b32_e32 v20, 0x7f, v21
	v_cmpx_ne_u32_e32 0x7f, v20
	s_cbranch_execz .LBB4_658
; %bb.655:                              ;   in Loop: Header=BB4_128 Depth=2
	v_dual_lshrrev_b32 v19, 3, v20 :: v_dual_bitop2_b32 v64, 7, v21 bitop3:0x40
	s_mov_b32 s29, exec_lo
	v_cmpx_gt_u32_e32 8, v20
; %bb.656:                              ;   in Loop: Header=BB4_128 Depth=2
	s_delay_alu instid0(VALU_DEP_2) | instskip(NEXT) | instid1(VALU_DEP_1)
	v_clz_i32_u32_e32 v19, v64
	v_min_u32_e32 v19, 32, v19
	s_delay_alu instid0(VALU_DEP_1) | instskip(NEXT) | instid1(VALU_DEP_1)
	v_subrev_nc_u32_e32 v20, 28, v19
	v_lshlrev_b64_e32 v[20:21], v20, v[64:65]
	s_delay_alu instid0(VALU_DEP_1)
	v_dual_sub_nc_u32 v19, 29, v19 :: v_dual_bitop2_b32 v64, 7, v20 bitop3:0x40
; %bb.657:                              ;   in Loop: Header=BB4_128 Depth=2
	s_or_b32 exec_lo, exec_lo, s29
	s_delay_alu instid0(VALU_DEP_1) | instskip(NEXT) | instid1(VALU_DEP_2)
	v_dual_lshlrev_b32 v20, 16, v14 :: v_dual_lshlrev_b32 v21, 20, v64
	v_lshl_add_u32 v19, v19, 23, 0x3c000000
	s_delay_alu instid0(VALU_DEP_2) | instskip(NEXT) | instid1(VALU_DEP_1)
	v_and_b32_e32 v20, 0x80000000, v20
	v_or3_b32 v19, v21, v20, v19
.LBB4_658:                              ;   in Loop: Header=BB4_128 Depth=2
	s_or_b32 exec_lo, exec_lo, s28
.LBB4_659:                              ;   in Loop: Header=BB4_128 Depth=2
	s_delay_alu instid0(SALU_CYCLE_1)
	s_or_b32 exec_lo, exec_lo, s27
.LBB4_660:                              ;   in Loop: Header=BB4_128 Depth=2
	s_delay_alu instid0(SALU_CYCLE_1) | instskip(SKIP_2) | instid1(VALU_DEP_1)
	s_or_b32 exec_lo, exec_lo, s10
	v_lshrrev_b16 v20, 8, v10
	s_mov_b32 s10, exec_lo
	v_cmpx_ne_u16_e32 0, v20
	s_cbranch_execz .LBB4_668
; %bb.661:                              ;   in Loop: Header=BB4_128 Depth=2
	v_bfrev_b32_e32 v18, 1
	s_mov_b32 s27, exec_lo
	v_cmpx_ne_u16_e32 0x80, v20
	s_cbranch_execz .LBB4_667
; %bb.662:                              ;   in Loop: Header=BB4_128 Depth=2
	v_and_b32_e32 v21, 0xffff, v20
	v_mov_b32_e32 v18, 0x7f800001
	s_mov_b32 s28, exec_lo
	s_delay_alu instid0(VALU_DEP_2) | instskip(NEXT) | instid1(VALU_DEP_1)
	v_and_b32_e32 v20, 0x7f, v21
	v_cmpx_ne_u32_e32 0x7f, v20
	s_cbranch_execz .LBB4_666
; %bb.663:                              ;   in Loop: Header=BB4_128 Depth=2
	v_dual_lshrrev_b32 v18, 3, v20 :: v_dual_bitop2_b32 v64, 7, v21 bitop3:0x40
	s_mov_b32 s29, exec_lo
	v_cmpx_gt_u32_e32 8, v20
; %bb.664:                              ;   in Loop: Header=BB4_128 Depth=2
	s_delay_alu instid0(VALU_DEP_2) | instskip(NEXT) | instid1(VALU_DEP_1)
	v_clz_i32_u32_e32 v18, v64
	v_min_u32_e32 v18, 32, v18
	s_delay_alu instid0(VALU_DEP_1) | instskip(NEXT) | instid1(VALU_DEP_1)
	v_subrev_nc_u32_e32 v20, 28, v18
	v_lshlrev_b64_e32 v[20:21], v20, v[64:65]
	s_delay_alu instid0(VALU_DEP_1)
	v_dual_sub_nc_u32 v18, 29, v18 :: v_dual_bitop2_b32 v64, 7, v20 bitop3:0x40
; %bb.665:                              ;   in Loop: Header=BB4_128 Depth=2
	s_or_b32 exec_lo, exec_lo, s29
	s_delay_alu instid0(VALU_DEP_1) | instskip(NEXT) | instid1(VALU_DEP_2)
	v_dual_lshlrev_b32 v20, 16, v10 :: v_dual_lshlrev_b32 v21, 20, v64
	v_lshl_add_u32 v18, v18, 23, 0x3c000000
	s_delay_alu instid0(VALU_DEP_2) | instskip(NEXT) | instid1(VALU_DEP_1)
	v_and_b32_e32 v20, 0x80000000, v20
	v_or3_b32 v18, v21, v20, v18
.LBB4_666:                              ;   in Loop: Header=BB4_128 Depth=2
	s_or_b32 exec_lo, exec_lo, s28
.LBB4_667:                              ;   in Loop: Header=BB4_128 Depth=2
	s_delay_alu instid0(SALU_CYCLE_1)
	s_or_b32 exec_lo, exec_lo, s27
.LBB4_668:                              ;   in Loop: Header=BB4_128 Depth=2
	s_delay_alu instid0(SALU_CYCLE_1) | instskip(NEXT) | instid1(VALU_DEP_1)
	s_or_b32 exec_lo, exec_lo, s10
	v_mul_f32_e32 v18, v19, v18
                                        ; implicit-def: $vgpr25
	s_mov_b32 s10, exec_lo
	s_delay_alu instid0(VALU_DEP_1) | instskip(SKIP_1) | instid1(VALU_DEP_2)
	v_and_b32_e32 v64, 0x7f800000, v18
	v_lshrrev_b32_e32 v19, 24, v18
	v_cmpx_ne_u64_e32 0x7f800000, v[64:65]
	s_xor_b32 s27, exec_lo, s10
	s_cbranch_execz .LBB4_682
; %bb.669:                              ;   in Loop: Header=BB4_128 Depth=2
	v_and_b32_e32 v64, 0x7fffffff, v18
	v_and_b32_e32 v72, 0x80, v19
                                        ; implicit-def: $vgpr25
	s_mov_b32 s10, exec_lo
	s_delay_alu instid0(VALU_DEP_2)
	v_cmpx_gt_u64_e32 0x43e00001, v[64:65]
	s_xor_b32 s28, exec_lo, s10
	s_cbranch_execz .LBB4_679
; %bb.670:                              ;   in Loop: Header=BB4_128 Depth=2
	v_mov_b32_e32 v25, 0
	s_mov_b32 s29, exec_lo
	v_cmpx_ne_u32_e32 0, v18
	s_cbranch_execz .LBB4_678
; %bb.671:                              ;   in Loop: Header=BB4_128 Depth=2
	v_bfe_u32 v25, v18, 23, 8
	v_and_b32_e32 v20, 0x7fffff, v18
	s_delay_alu instid0(VALU_DEP_2) | instskip(NEXT) | instid1(VALU_DEP_2)
	v_cmp_gt_u32_e32 vcc_lo, 0x7a, v25
	v_or_b32_e32 v21, 0x800000, v20
	v_sub_nc_u32_e32 v19, 0x79, v25
	s_delay_alu instid0(VALU_DEP_1) | instskip(SKIP_1) | instid1(VALU_DEP_2)
	v_cndmask_b32_e32 v19, 0, v19, vcc_lo
	v_cmp_eq_u32_e32 vcc_lo, 0, v25
	v_cndmask_b32_e64 v73, v19, 0x78, vcc_lo
	s_delay_alu instid0(VALU_DEP_1) | instskip(SKIP_1) | instid1(VALU_DEP_2)
	v_dual_cndmask_b32 v64, v21, v20, vcc_lo :: v_dual_add_nc_u32 v18, 20, v73
	v_add_nc_u32_e32 v74, 19, v73
	v_lshlrev_b64_e64 v[18:19], v18, -1
	s_delay_alu instid0(VALU_DEP_2) | instskip(NEXT) | instid1(VALU_DEP_2)
	v_lshlrev_b64_e64 v[20:21], v74, 1
	v_bfi_b32 v75, v19, 0, 0
	s_delay_alu instid0(VALU_DEP_3) | instskip(SKIP_1) | instid1(VALU_DEP_2)
	v_bfi_b32 v74, v18, 0, v64
	v_lshrrev_b64 v[18:19], v73, v[64:65]
	v_cmp_eq_u64_e64 s10, v[74:75], v[20:21]
	s_delay_alu instid0(VALU_DEP_2)
	v_mov_b64_e32 v[20:21], v[18:19]
	s_and_saveexec_b32 s40, s10
; %bb.672:                              ;   in Loop: Header=BB4_128 Depth=2
	v_bfe_u32 v64, v18, 20, 1
	s_delay_alu instid0(VALU_DEP_1) | instskip(NEXT) | instid1(VALU_DEP_1)
	v_add_nc_u64_e32 v[20:21], v[18:19], v[64:65]
	v_add_nc_u64_e32 v[20:21], -1, v[20:21]
; %bb.673:                              ;   in Loop: Header=BB4_128 Depth=2
	s_or_b32 exec_lo, exec_lo, s40
	v_add_nc_u32_e32 v19, 0xffffff81, v25
	v_lshrrev_b32_e32 v21, 23, v18
	s_mov_b32 s10, exec_lo
	s_delay_alu instid0(VALU_DEP_2) | instskip(NEXT) | instid1(VALU_DEP_1)
	v_cndmask_b32_e64 v19, v19, 0xffffff82, vcc_lo
	v_add3_u32 v21, v73, v19, v21
	v_and_b32_e32 v19, 0xfffff, v20
                                        ; implicit-def: $vgpr20
	s_delay_alu instid0(VALU_DEP_1) | instskip(NEXT) | instid1(VALU_DEP_1)
	v_dual_add_nc_u32 v25, 6, v21 :: v_dual_add_nc_u32 v64, v19, v18
                                        ; implicit-def: $vgpr18_vgpr19
	v_cmpx_ne_u32_e32 0, v25
	s_xor_b32 s10, exec_lo, s10
; %bb.674:                              ;   in Loop: Header=BB4_128 Depth=2
	s_delay_alu instid0(VALU_DEP_2) | instskip(SKIP_1) | instid1(VALU_DEP_1)
	v_cmp_lt_u64_e32 vcc_lo, 0xffffff, v[64:65]
	v_add_nc_u32_e32 v18, 7, v21
	v_cndmask_b32_e32 v20, v25, v18, vcc_lo
	v_cndmask_b32_e64 v18, 0, 1, vcc_lo
	s_delay_alu instid0(VALU_DEP_1)
	v_lshrrev_b64 v[18:19], v18, v[64:65]
; %bb.675:                              ;   in Loop: Header=BB4_128 Depth=2
	s_and_not1_saveexec_b32 s10, s10
; %bb.676:                              ;   in Loop: Header=BB4_128 Depth=2
	v_mov_b64_e32 v[18:19], v[64:65]
	v_bfe_u32 v20, v64, 23, 1
; %bb.677:                              ;   in Loop: Header=BB4_128 Depth=2
	s_or_b32 exec_lo, exec_lo, s10
	s_delay_alu instid0(VALU_DEP_2) | instskip(NEXT) | instid1(VALU_DEP_2)
	v_lshrrev_b64 v[18:19], 20, v[18:19]
	v_cmp_gt_i32_e32 vcc_lo, 16, v20
	v_min_i32_e32 v21, 15, v20
	v_cmp_eq_u32_e64 s10, 0, v20
	s_delay_alu instid0(VALU_DEP_2) | instskip(SKIP_1) | instid1(VALU_DEP_2)
	v_dual_cndmask_b32 v19, 0, v19, vcc_lo :: v_dual_lshlrev_b32 v21, 3, v21
	v_cndmask_b32_e32 v18, 7, v18, vcc_lo
	v_and_b32_e32 v21, 0xf8, v21
	s_delay_alu instid0(VALU_DEP_2) | instskip(NEXT) | instid1(VALU_DEP_2)
	v_cmp_eq_u64_e32 vcc_lo, 0, v[18:19]
	v_and_or_b32 v18, v18, 7, v21
	s_and_b32 s10, s10, vcc_lo
	s_delay_alu instid0(VALU_DEP_1) | instid1(SALU_CYCLE_1)
	v_cndmask_b32_e64 v18, v18, 0, s10
	s_delay_alu instid0(VALU_DEP_1)
	v_or_b32_e32 v25, v18, v72
.LBB4_678:                              ;   in Loop: Header=BB4_128 Depth=2
	s_or_b32 exec_lo, exec_lo, s29
                                        ; implicit-def: $vgpr72
.LBB4_679:                              ;   in Loop: Header=BB4_128 Depth=2
	s_and_not1_saveexec_b32 s10, s28
; %bb.680:                              ;   in Loop: Header=BB4_128 Depth=2
	v_or_b32_e32 v25, 0x7e, v72
; %bb.681:                              ;   in Loop: Header=BB4_128 Depth=2
	s_or_b32 exec_lo, exec_lo, s10
                                        ; implicit-def: $vgpr19
.LBB4_682:                              ;   in Loop: Header=BB4_128 Depth=2
	s_and_not1_saveexec_b32 s10, s27
; %bb.683:                              ;   in Loop: Header=BB4_128 Depth=2
	v_or_b32_e32 v25, 0x7f, v19
; %bb.684:                              ;   in Loop: Header=BB4_128 Depth=2
	s_or_b32 exec_lo, exec_lo, s10
	v_dual_lshrrev_b32 v20, 16, v14 :: v_dual_mov_b32 v18, 0
	v_mov_b32_e32 v19, 0
	s_mov_b32 s10, exec_lo
	s_delay_alu instid0(VALU_DEP_2) | instskip(NEXT) | instid1(VALU_DEP_1)
	v_and_b32_e32 v21, 0xff, v20
	v_cmpx_ne_u16_e32 0, v21
	s_cbranch_execz .LBB4_692
; %bb.685:                              ;   in Loop: Header=BB4_128 Depth=2
	v_bfrev_b32_e32 v19, 1
	s_mov_b32 s27, exec_lo
	v_cmpx_ne_u16_e32 0x80, v21
	s_cbranch_execz .LBB4_691
; %bb.686:                              ;   in Loop: Header=BB4_128 Depth=2
	v_bfe_u32 v21, v14, 16, 7
	v_mov_b32_e32 v19, 0x7f800001
	s_mov_b32 s28, exec_lo
	s_delay_alu instid0(VALU_DEP_2)
	v_cmpx_ne_u32_e32 0x7f, v21
	s_cbranch_execz .LBB4_690
; %bb.687:                              ;   in Loop: Header=BB4_128 Depth=2
	v_dual_lshrrev_b32 v19, 3, v21 :: v_dual_bitop2_b32 v64, 7, v20 bitop3:0x40
	s_mov_b32 s29, exec_lo
	v_cmpx_gt_u32_e32 8, v21
; %bb.688:                              ;   in Loop: Header=BB4_128 Depth=2
	s_delay_alu instid0(VALU_DEP_2) | instskip(NEXT) | instid1(VALU_DEP_1)
	v_clz_i32_u32_e32 v19, v64
	v_min_u32_e32 v19, 32, v19
	s_delay_alu instid0(VALU_DEP_1) | instskip(NEXT) | instid1(VALU_DEP_1)
	v_subrev_nc_u32_e32 v21, 28, v19
	v_lshlrev_b64_e32 v[72:73], v21, v[64:65]
	s_delay_alu instid0(VALU_DEP_1)
	v_dual_sub_nc_u32 v19, 29, v19 :: v_dual_bitop2_b32 v64, 7, v72 bitop3:0x40
; %bb.689:                              ;   in Loop: Header=BB4_128 Depth=2
	s_or_b32 exec_lo, exec_lo, s29
	v_lshlrev_b32_e32 v20, 24, v20
	s_delay_alu instid0(VALU_DEP_2) | instskip(NEXT) | instid1(VALU_DEP_3)
	v_lshlrev_b32_e32 v21, 20, v64
	v_lshl_add_u32 v19, v19, 23, 0x3c000000
	s_delay_alu instid0(VALU_DEP_3) | instskip(NEXT) | instid1(VALU_DEP_1)
	v_and_b32_e32 v20, 0x80000000, v20
	v_or3_b32 v19, v21, v20, v19
.LBB4_690:                              ;   in Loop: Header=BB4_128 Depth=2
	s_or_b32 exec_lo, exec_lo, s28
.LBB4_691:                              ;   in Loop: Header=BB4_128 Depth=2
	s_delay_alu instid0(SALU_CYCLE_1)
	s_or_b32 exec_lo, exec_lo, s27
.LBB4_692:                              ;   in Loop: Header=BB4_128 Depth=2
	s_delay_alu instid0(SALU_CYCLE_1) | instskip(SKIP_2) | instid1(VALU_DEP_1)
	s_or_b32 exec_lo, exec_lo, s10
	v_lshrrev_b32_e32 v20, 16, v10
	s_mov_b32 s10, exec_lo
	v_and_b32_e32 v21, 0xff, v20
	s_delay_alu instid0(VALU_DEP_1)
	v_cmpx_ne_u16_e32 0, v21
	s_cbranch_execz .LBB4_700
; %bb.693:                              ;   in Loop: Header=BB4_128 Depth=2
	v_bfrev_b32_e32 v18, 1
	s_mov_b32 s27, exec_lo
	v_cmpx_ne_u16_e32 0x80, v21
	s_cbranch_execz .LBB4_699
; %bb.694:                              ;   in Loop: Header=BB4_128 Depth=2
	v_bfe_u32 v21, v10, 16, 7
	v_mov_b32_e32 v18, 0x7f800001
	s_mov_b32 s28, exec_lo
	s_delay_alu instid0(VALU_DEP_2)
	v_cmpx_ne_u32_e32 0x7f, v21
	s_cbranch_execz .LBB4_698
; %bb.695:                              ;   in Loop: Header=BB4_128 Depth=2
	v_dual_lshrrev_b32 v18, 3, v21 :: v_dual_bitop2_b32 v64, 7, v20 bitop3:0x40
	s_mov_b32 s29, exec_lo
	v_cmpx_gt_u32_e32 8, v21
; %bb.696:                              ;   in Loop: Header=BB4_128 Depth=2
	s_delay_alu instid0(VALU_DEP_2) | instskip(NEXT) | instid1(VALU_DEP_1)
	v_clz_i32_u32_e32 v18, v64
	v_min_u32_e32 v18, 32, v18
	s_delay_alu instid0(VALU_DEP_1) | instskip(NEXT) | instid1(VALU_DEP_1)
	v_subrev_nc_u32_e32 v20, 28, v18
	v_lshlrev_b64_e32 v[20:21], v20, v[64:65]
	s_delay_alu instid0(VALU_DEP_1)
	v_dual_sub_nc_u32 v18, 29, v18 :: v_dual_bitop2_b32 v64, 7, v20 bitop3:0x40
; %bb.697:                              ;   in Loop: Header=BB4_128 Depth=2
	s_or_b32 exec_lo, exec_lo, s29
	s_delay_alu instid0(VALU_DEP_1) | instskip(NEXT) | instid1(VALU_DEP_2)
	v_dual_lshlrev_b32 v20, 8, v10 :: v_dual_lshlrev_b32 v21, 20, v64
	v_lshl_add_u32 v18, v18, 23, 0x3c000000
	s_delay_alu instid0(VALU_DEP_2) | instskip(NEXT) | instid1(VALU_DEP_1)
	v_and_b32_e32 v20, 0x80000000, v20
	v_or3_b32 v18, v21, v20, v18
.LBB4_698:                              ;   in Loop: Header=BB4_128 Depth=2
	s_or_b32 exec_lo, exec_lo, s28
.LBB4_699:                              ;   in Loop: Header=BB4_128 Depth=2
	s_delay_alu instid0(SALU_CYCLE_1)
	s_or_b32 exec_lo, exec_lo, s27
.LBB4_700:                              ;   in Loop: Header=BB4_128 Depth=2
	s_delay_alu instid0(SALU_CYCLE_1) | instskip(NEXT) | instid1(VALU_DEP_1)
	s_or_b32 exec_lo, exec_lo, s10
	v_mul_f32_e32 v18, v19, v18
                                        ; implicit-def: $vgpr72
	s_mov_b32 s10, exec_lo
	s_delay_alu instid0(VALU_DEP_1) | instskip(SKIP_1) | instid1(VALU_DEP_2)
	v_and_b32_e32 v64, 0x7f800000, v18
	v_lshrrev_b32_e32 v19, 24, v18
	v_cmpx_ne_u64_e32 0x7f800000, v[64:65]
	s_xor_b32 s27, exec_lo, s10
	s_cbranch_execz .LBB4_714
; %bb.701:                              ;   in Loop: Header=BB4_128 Depth=2
	v_and_b32_e32 v64, 0x7fffffff, v18
	v_and_b32_e32 v73, 0x80, v19
                                        ; implicit-def: $vgpr72
	s_mov_b32 s10, exec_lo
	s_delay_alu instid0(VALU_DEP_2)
	v_cmpx_gt_u64_e32 0x43e00001, v[64:65]
	s_xor_b32 s28, exec_lo, s10
	s_cbranch_execz .LBB4_711
; %bb.702:                              ;   in Loop: Header=BB4_128 Depth=2
	v_mov_b32_e32 v72, 0
	s_mov_b32 s29, exec_lo
	v_cmpx_ne_u32_e32 0, v18
	s_cbranch_execz .LBB4_710
; %bb.703:                              ;   in Loop: Header=BB4_128 Depth=2
	v_bfe_u32 v72, v18, 23, 8
	v_and_b32_e32 v20, 0x7fffff, v18
	s_delay_alu instid0(VALU_DEP_2) | instskip(SKIP_1) | instid1(VALU_DEP_3)
	v_sub_nc_u32_e32 v19, 0x79, v72
	v_cmp_gt_u32_e32 vcc_lo, 0x7a, v72
	v_or_b32_e32 v21, 0x800000, v20
	s_delay_alu instid0(VALU_DEP_3) | instskip(SKIP_1) | instid1(VALU_DEP_2)
	v_cndmask_b32_e32 v19, 0, v19, vcc_lo
	v_cmp_eq_u32_e32 vcc_lo, 0, v72
	v_cndmask_b32_e64 v74, v19, 0x78, vcc_lo
	s_delay_alu instid0(VALU_DEP_1) | instskip(SKIP_1) | instid1(VALU_DEP_2)
	v_dual_cndmask_b32 v64, v21, v20 :: v_dual_add_nc_u32 v75, 19, v74
	v_add_nc_u32_e32 v18, 20, v74
	v_lshlrev_b64_e64 v[20:21], v75, 1
	s_delay_alu instid0(VALU_DEP_2) | instskip(NEXT) | instid1(VALU_DEP_1)
	v_lshlrev_b64_e64 v[18:19], v18, -1
	v_bfi_b32 v77, v19, 0, 0
	s_delay_alu instid0(VALU_DEP_2) | instskip(SKIP_1) | instid1(VALU_DEP_2)
	v_bfi_b32 v76, v18, 0, v64
	v_lshrrev_b64 v[18:19], v74, v[64:65]
	v_cmp_eq_u64_e64 s10, v[76:77], v[20:21]
	s_delay_alu instid0(VALU_DEP_2)
	v_mov_b64_e32 v[20:21], v[18:19]
	s_and_saveexec_b32 s40, s10
; %bb.704:                              ;   in Loop: Header=BB4_128 Depth=2
	v_bfe_u32 v64, v18, 20, 1
	s_delay_alu instid0(VALU_DEP_1) | instskip(NEXT) | instid1(VALU_DEP_1)
	v_add_nc_u64_e32 v[20:21], v[18:19], v[64:65]
	v_add_nc_u64_e32 v[20:21], -1, v[20:21]
; %bb.705:                              ;   in Loop: Header=BB4_128 Depth=2
	s_or_b32 exec_lo, exec_lo, s40
	v_add_nc_u32_e32 v19, 0xffffff81, v72
	v_lshrrev_b32_e32 v21, 23, v18
	s_mov_b32 s10, exec_lo
	s_delay_alu instid0(VALU_DEP_2) | instskip(NEXT) | instid1(VALU_DEP_1)
	v_cndmask_b32_e64 v19, v19, 0xffffff82, vcc_lo
	v_add3_u32 v21, v74, v19, v21
	v_and_b32_e32 v19, 0xfffff, v20
                                        ; implicit-def: $vgpr20
	s_delay_alu instid0(VALU_DEP_1) | instskip(NEXT) | instid1(VALU_DEP_1)
	v_dual_add_nc_u32 v72, 6, v21 :: v_dual_add_nc_u32 v64, v19, v18
                                        ; implicit-def: $vgpr18_vgpr19
	v_cmpx_ne_u32_e32 0, v72
	s_xor_b32 s10, exec_lo, s10
; %bb.706:                              ;   in Loop: Header=BB4_128 Depth=2
	s_delay_alu instid0(VALU_DEP_2) | instskip(SKIP_1) | instid1(VALU_DEP_1)
	v_cmp_lt_u64_e32 vcc_lo, 0xffffff, v[64:65]
	v_add_nc_u32_e32 v18, 7, v21
	v_cndmask_b32_e32 v20, v72, v18, vcc_lo
	v_cndmask_b32_e64 v18, 0, 1, vcc_lo
	s_delay_alu instid0(VALU_DEP_1)
	v_lshrrev_b64 v[18:19], v18, v[64:65]
; %bb.707:                              ;   in Loop: Header=BB4_128 Depth=2
	s_and_not1_saveexec_b32 s10, s10
; %bb.708:                              ;   in Loop: Header=BB4_128 Depth=2
	v_mov_b64_e32 v[18:19], v[64:65]
	v_bfe_u32 v20, v64, 23, 1
; %bb.709:                              ;   in Loop: Header=BB4_128 Depth=2
	s_or_b32 exec_lo, exec_lo, s10
	s_delay_alu instid0(VALU_DEP_2) | instskip(NEXT) | instid1(VALU_DEP_2)
	v_lshrrev_b64 v[18:19], 20, v[18:19]
	v_cmp_gt_i32_e32 vcc_lo, 16, v20
	v_min_i32_e32 v21, 15, v20
	v_cmp_eq_u32_e64 s10, 0, v20
	s_delay_alu instid0(VALU_DEP_2) | instskip(SKIP_1) | instid1(VALU_DEP_2)
	v_dual_cndmask_b32 v19, 0, v19, vcc_lo :: v_dual_lshlrev_b32 v21, 3, v21
	v_cndmask_b32_e32 v18, 7, v18, vcc_lo
	v_and_b32_e32 v21, 0xf8, v21
	s_delay_alu instid0(VALU_DEP_2) | instskip(NEXT) | instid1(VALU_DEP_2)
	v_cmp_eq_u64_e32 vcc_lo, 0, v[18:19]
	v_and_or_b32 v18, v18, 7, v21
	s_and_b32 s10, s10, vcc_lo
	s_delay_alu instid0(VALU_DEP_1) | instid1(SALU_CYCLE_1)
	v_cndmask_b32_e64 v18, v18, 0, s10
	s_delay_alu instid0(VALU_DEP_1)
	v_or_b32_e32 v72, v18, v73
.LBB4_710:                              ;   in Loop: Header=BB4_128 Depth=2
	s_or_b32 exec_lo, exec_lo, s29
                                        ; implicit-def: $vgpr73
.LBB4_711:                              ;   in Loop: Header=BB4_128 Depth=2
	s_and_not1_saveexec_b32 s10, s28
; %bb.712:                              ;   in Loop: Header=BB4_128 Depth=2
	v_or_b32_e32 v72, 0x7e, v73
; %bb.713:                              ;   in Loop: Header=BB4_128 Depth=2
	s_or_b32 exec_lo, exec_lo, s10
                                        ; implicit-def: $vgpr19
.LBB4_714:                              ;   in Loop: Header=BB4_128 Depth=2
	s_and_not1_saveexec_b32 s10, s27
; %bb.715:                              ;   in Loop: Header=BB4_128 Depth=2
	v_or_b32_e32 v72, 0x7f, v19
; %bb.716:                              ;   in Loop: Header=BB4_128 Depth=2
	s_or_b32 exec_lo, exec_lo, s10
	v_dual_mov_b32 v18, 0 :: v_dual_mov_b32 v19, 0
	s_mov_b32 s10, exec_lo
	v_cmpx_lt_u32_e32 0xffffff, v14
	s_cbranch_execz .LBB4_724
; %bb.717:                              ;   in Loop: Header=BB4_128 Depth=2
	v_lshrrev_b32_e32 v20, 24, v14
	v_bfrev_b32_e32 v19, 1
	s_mov_b32 s27, exec_lo
	s_delay_alu instid0(VALU_DEP_2)
	v_cmpx_ne_u32_e32 0x80, v20
	s_cbranch_execz .LBB4_723
; %bb.718:                              ;   in Loop: Header=BB4_128 Depth=2
	v_bfe_u32 v21, v14, 24, 7
	v_mov_b32_e32 v19, 0x7f800001
	s_mov_b32 s28, exec_lo
	s_delay_alu instid0(VALU_DEP_2)
	v_cmpx_ne_u32_e32 0x7f, v21
	s_cbranch_execz .LBB4_722
; %bb.719:                              ;   in Loop: Header=BB4_128 Depth=2
	v_dual_lshrrev_b32 v19, 3, v21 :: v_dual_bitop2_b32 v64, 7, v20 bitop3:0x40
	s_mov_b32 s29, exec_lo
	v_cmpx_gt_u32_e32 8, v21
; %bb.720:                              ;   in Loop: Header=BB4_128 Depth=2
	s_delay_alu instid0(VALU_DEP_2) | instskip(NEXT) | instid1(VALU_DEP_1)
	v_clz_i32_u32_e32 v19, v64
	v_min_u32_e32 v19, 32, v19
	s_delay_alu instid0(VALU_DEP_1) | instskip(NEXT) | instid1(VALU_DEP_1)
	v_subrev_nc_u32_e32 v21, 28, v19
	v_lshlrev_b64_e32 v[74:75], v21, v[64:65]
	s_delay_alu instid0(VALU_DEP_1)
	v_dual_sub_nc_u32 v19, 29, v19 :: v_dual_bitop2_b32 v64, 7, v74 bitop3:0x40
; %bb.721:                              ;   in Loop: Header=BB4_128 Depth=2
	s_or_b32 exec_lo, exec_lo, s29
	v_lshlrev_b32_e32 v20, 24, v20
	s_delay_alu instid0(VALU_DEP_2) | instskip(NEXT) | instid1(VALU_DEP_3)
	v_lshlrev_b32_e32 v21, 20, v64
	v_lshl_add_u32 v19, v19, 23, 0x3c000000
	s_delay_alu instid0(VALU_DEP_3) | instskip(NEXT) | instid1(VALU_DEP_1)
	v_and_b32_e32 v20, 0x80000000, v20
	v_or3_b32 v19, v21, v20, v19
.LBB4_722:                              ;   in Loop: Header=BB4_128 Depth=2
	s_or_b32 exec_lo, exec_lo, s28
.LBB4_723:                              ;   in Loop: Header=BB4_128 Depth=2
	s_delay_alu instid0(SALU_CYCLE_1)
	s_or_b32 exec_lo, exec_lo, s27
.LBB4_724:                              ;   in Loop: Header=BB4_128 Depth=2
	s_delay_alu instid0(SALU_CYCLE_1) | instskip(NEXT) | instid1(SALU_CYCLE_1)
	s_or_b32 exec_lo, exec_lo, s10
	s_mov_b32 s10, exec_lo
	v_cmpx_lt_u32_e32 0xffffff, v10
	s_cbranch_execz .LBB4_732
; %bb.725:                              ;   in Loop: Header=BB4_128 Depth=2
	v_lshrrev_b32_e32 v20, 24, v10
	v_bfrev_b32_e32 v18, 1
	s_mov_b32 s27, exec_lo
	s_delay_alu instid0(VALU_DEP_2)
	v_cmpx_ne_u32_e32 0x80, v20
	s_cbranch_execz .LBB4_731
; %bb.726:                              ;   in Loop: Header=BB4_128 Depth=2
	v_bfe_u32 v21, v10, 24, 7
	v_mov_b32_e32 v18, 0x7f800001
	s_mov_b32 s28, exec_lo
	s_delay_alu instid0(VALU_DEP_2)
	v_cmpx_ne_u32_e32 0x7f, v21
	s_cbranch_execz .LBB4_730
; %bb.727:                              ;   in Loop: Header=BB4_128 Depth=2
	v_dual_lshrrev_b32 v18, 3, v21 :: v_dual_bitop2_b32 v64, 7, v20 bitop3:0x40
	s_mov_b32 s29, exec_lo
	v_cmpx_gt_u32_e32 8, v21
; %bb.728:                              ;   in Loop: Header=BB4_128 Depth=2
	s_delay_alu instid0(VALU_DEP_2) | instskip(NEXT) | instid1(VALU_DEP_1)
	v_clz_i32_u32_e32 v18, v64
	v_min_u32_e32 v18, 32, v18
	s_delay_alu instid0(VALU_DEP_1) | instskip(SKIP_1) | instid1(VALU_DEP_2)
	v_subrev_nc_u32_e32 v21, 28, v18
	v_sub_nc_u32_e32 v18, 29, v18
	v_lshlrev_b64_e32 v[74:75], v21, v[64:65]
	s_delay_alu instid0(VALU_DEP_1)
	v_and_b32_e32 v64, 7, v74
; %bb.729:                              ;   in Loop: Header=BB4_128 Depth=2
	s_or_b32 exec_lo, exec_lo, s29
	v_lshlrev_b32_e32 v20, 24, v20
	s_delay_alu instid0(VALU_DEP_2) | instskip(SKIP_1) | instid1(VALU_DEP_3)
	v_lshlrev_b32_e32 v21, 20, v64
	v_lshl_add_u32 v18, v18, 23, 0x3c000000
	v_and_b32_e32 v20, 0x80000000, v20
	s_delay_alu instid0(VALU_DEP_1)
	v_or3_b32 v18, v21, v20, v18
.LBB4_730:                              ;   in Loop: Header=BB4_128 Depth=2
	s_or_b32 exec_lo, exec_lo, s28
.LBB4_731:                              ;   in Loop: Header=BB4_128 Depth=2
	s_delay_alu instid0(SALU_CYCLE_1)
	s_or_b32 exec_lo, exec_lo, s27
.LBB4_732:                              ;   in Loop: Header=BB4_128 Depth=2
	s_delay_alu instid0(SALU_CYCLE_1) | instskip(NEXT) | instid1(VALU_DEP_1)
	s_or_b32 exec_lo, exec_lo, s10
	v_mul_f32_e32 v18, v19, v18
                                        ; implicit-def: $vgpr73
	s_mov_b32 s10, exec_lo
	s_delay_alu instid0(VALU_DEP_1) | instskip(SKIP_1) | instid1(VALU_DEP_2)
	v_and_b32_e32 v64, 0x7f800000, v18
	v_lshrrev_b32_e32 v19, 24, v18
	v_cmpx_ne_u64_e32 0x7f800000, v[64:65]
	s_xor_b32 s27, exec_lo, s10
	s_cbranch_execz .LBB4_746
; %bb.733:                              ;   in Loop: Header=BB4_128 Depth=2
	v_and_b32_e32 v64, 0x7fffffff, v18
	v_and_b32_e32 v74, 0x80, v19
                                        ; implicit-def: $vgpr73
	s_mov_b32 s10, exec_lo
	s_delay_alu instid0(VALU_DEP_2)
	v_cmpx_gt_u64_e32 0x43e00001, v[64:65]
	s_xor_b32 s28, exec_lo, s10
	s_cbranch_execz .LBB4_743
; %bb.734:                              ;   in Loop: Header=BB4_128 Depth=2
	v_mov_b32_e32 v73, 0
	s_mov_b32 s29, exec_lo
	v_cmpx_ne_u32_e32 0, v18
	s_cbranch_execz .LBB4_742
; %bb.735:                              ;   in Loop: Header=BB4_128 Depth=2
	v_bfe_u32 v73, v18, 23, 8
	v_and_b32_e32 v20, 0x7fffff, v18
	s_delay_alu instid0(VALU_DEP_2) | instskip(NEXT) | instid1(VALU_DEP_2)
	v_cmp_gt_u32_e32 vcc_lo, 0x7a, v73
	v_or_b32_e32 v21, 0x800000, v20
	v_sub_nc_u32_e32 v19, 0x79, v73
	s_delay_alu instid0(VALU_DEP_1) | instskip(SKIP_1) | instid1(VALU_DEP_2)
	v_cndmask_b32_e32 v19, 0, v19, vcc_lo
	v_cmp_eq_u32_e32 vcc_lo, 0, v73
	v_cndmask_b32_e64 v75, v19, 0x78, vcc_lo
	s_delay_alu instid0(VALU_DEP_1) | instskip(SKIP_1) | instid1(VALU_DEP_2)
	v_dual_cndmask_b32 v64, v21, v20, vcc_lo :: v_dual_add_nc_u32 v18, 20, v75
	v_add_nc_u32_e32 v76, 19, v75
	v_lshlrev_b64_e64 v[18:19], v18, -1
	s_delay_alu instid0(VALU_DEP_2) | instskip(NEXT) | instid1(VALU_DEP_2)
	v_lshlrev_b64_e64 v[20:21], v76, 1
	v_bfi_b32 v77, v19, 0, 0
	s_delay_alu instid0(VALU_DEP_3) | instskip(SKIP_1) | instid1(VALU_DEP_2)
	v_bfi_b32 v76, v18, 0, v64
	v_lshrrev_b64 v[18:19], v75, v[64:65]
	v_cmp_eq_u64_e64 s10, v[76:77], v[20:21]
	s_delay_alu instid0(VALU_DEP_2)
	v_mov_b64_e32 v[20:21], v[18:19]
	s_and_saveexec_b32 s40, s10
; %bb.736:                              ;   in Loop: Header=BB4_128 Depth=2
	v_bfe_u32 v64, v18, 20, 1
	s_delay_alu instid0(VALU_DEP_1) | instskip(NEXT) | instid1(VALU_DEP_1)
	v_add_nc_u64_e32 v[20:21], v[18:19], v[64:65]
	v_add_nc_u64_e32 v[20:21], -1, v[20:21]
; %bb.737:                              ;   in Loop: Header=BB4_128 Depth=2
	s_or_b32 exec_lo, exec_lo, s40
	v_add_nc_u32_e32 v19, 0xffffff81, v73
	v_lshrrev_b32_e32 v21, 23, v18
	s_mov_b32 s10, exec_lo
	s_delay_alu instid0(VALU_DEP_2) | instskip(NEXT) | instid1(VALU_DEP_1)
	v_cndmask_b32_e64 v19, v19, 0xffffff82, vcc_lo
	v_add3_u32 v21, v75, v19, v21
	v_and_b32_e32 v19, 0xfffff, v20
                                        ; implicit-def: $vgpr20
	s_delay_alu instid0(VALU_DEP_1) | instskip(NEXT) | instid1(VALU_DEP_1)
	v_dual_add_nc_u32 v73, 6, v21 :: v_dual_add_nc_u32 v64, v19, v18
                                        ; implicit-def: $vgpr18_vgpr19
	v_cmpx_ne_u32_e32 0, v73
	s_xor_b32 s10, exec_lo, s10
; %bb.738:                              ;   in Loop: Header=BB4_128 Depth=2
	s_delay_alu instid0(VALU_DEP_2) | instskip(SKIP_1) | instid1(VALU_DEP_1)
	v_cmp_lt_u64_e32 vcc_lo, 0xffffff, v[64:65]
	v_add_nc_u32_e32 v18, 7, v21
	v_cndmask_b32_e32 v20, v73, v18, vcc_lo
	v_cndmask_b32_e64 v18, 0, 1, vcc_lo
	s_delay_alu instid0(VALU_DEP_1)
	v_lshrrev_b64 v[18:19], v18, v[64:65]
; %bb.739:                              ;   in Loop: Header=BB4_128 Depth=2
	s_and_not1_saveexec_b32 s10, s10
; %bb.740:                              ;   in Loop: Header=BB4_128 Depth=2
	v_mov_b64_e32 v[18:19], v[64:65]
	v_bfe_u32 v20, v64, 23, 1
; %bb.741:                              ;   in Loop: Header=BB4_128 Depth=2
	s_or_b32 exec_lo, exec_lo, s10
	s_delay_alu instid0(VALU_DEP_2) | instskip(NEXT) | instid1(VALU_DEP_2)
	v_lshrrev_b64 v[18:19], 20, v[18:19]
	v_cmp_gt_i32_e32 vcc_lo, 16, v20
	v_min_i32_e32 v21, 15, v20
	v_cmp_eq_u32_e64 s10, 0, v20
	s_delay_alu instid0(VALU_DEP_2) | instskip(SKIP_1) | instid1(VALU_DEP_2)
	v_dual_cndmask_b32 v19, 0, v19, vcc_lo :: v_dual_lshlrev_b32 v21, 3, v21
	v_cndmask_b32_e32 v18, 7, v18, vcc_lo
	v_and_b32_e32 v21, 0xf8, v21
	s_delay_alu instid0(VALU_DEP_2) | instskip(NEXT) | instid1(VALU_DEP_2)
	v_cmp_eq_u64_e32 vcc_lo, 0, v[18:19]
	v_and_or_b32 v18, v18, 7, v21
	s_and_b32 s10, s10, vcc_lo
	s_delay_alu instid0(VALU_DEP_1) | instid1(SALU_CYCLE_1)
	v_cndmask_b32_e64 v18, v18, 0, s10
	s_delay_alu instid0(VALU_DEP_1)
	v_or_b32_e32 v73, v18, v74
.LBB4_742:                              ;   in Loop: Header=BB4_128 Depth=2
	s_or_b32 exec_lo, exec_lo, s29
                                        ; implicit-def: $vgpr74
.LBB4_743:                              ;   in Loop: Header=BB4_128 Depth=2
	s_and_not1_saveexec_b32 s10, s28
; %bb.744:                              ;   in Loop: Header=BB4_128 Depth=2
	v_or_b32_e32 v73, 0x7e, v74
; %bb.745:                              ;   in Loop: Header=BB4_128 Depth=2
	s_or_b32 exec_lo, exec_lo, s10
                                        ; implicit-def: $vgpr19
.LBB4_746:                              ;   in Loop: Header=BB4_128 Depth=2
	s_and_not1_saveexec_b32 s10, s27
; %bb.747:                              ;   in Loop: Header=BB4_128 Depth=2
	v_or_b32_e32 v73, 0x7f, v19
; %bb.748:                              ;   in Loop: Header=BB4_128 Depth=2
	s_or_b32 exec_lo, exec_lo, s10
	v_and_b32_e32 v20, 0xff, v15
	v_dual_mov_b32 v64, v15 :: v_dual_mov_b32 v19, 0
	v_mov_b32_e32 v18, 0
	s_mov_b32 s10, exec_lo
	s_delay_alu instid0(VALU_DEP_3)
	v_cmpx_ne_u16_e32 0, v20
	s_cbranch_execz .LBB4_754
; %bb.749:                              ;   in Loop: Header=BB4_128 Depth=2
	v_bfrev_b32_e32 v18, 1
	s_mov_b32 s27, exec_lo
	v_cmpx_ne_u16_e32 0x80, v20
	s_cbranch_execz .LBB4_753
; %bb.750:                              ;   in Loop: Header=BB4_128 Depth=2
	v_and_b32_e32 v20, 0x7f, v15
	v_mov_b32_e32 v18, 0x7f800001
	s_mov_b32 s28, exec_lo
	s_delay_alu instid0(VALU_DEP_2)
	v_cmpx_ne_u32_e32 0x7f, v20
	s_cbranch_execz .LBB4_752
; %bb.751:                              ;   in Loop: Header=BB4_128 Depth=2
	v_dual_lshrrev_b32 v21, 3, v20 :: v_dual_bitop2_b32 v18, 7, v15 bitop3:0x40
	v_cmp_gt_u32_e32 vcc_lo, 8, v20
	s_delay_alu instid0(VALU_DEP_2) | instskip(NEXT) | instid1(VALU_DEP_1)
	v_clz_i32_u32_e32 v18, v18
	v_min_u32_e32 v18, 32, v18
	s_delay_alu instid0(VALU_DEP_1) | instskip(SKIP_1) | instid1(VALU_DEP_2)
	v_subrev_nc_u32_e32 v74, 28, v18
	v_sub_nc_u32_e32 v18, 29, v18
	v_cndmask_b32_e32 v20, 0, v74, vcc_lo
	s_delay_alu instid0(VALU_DEP_2) | instskip(NEXT) | instid1(VALU_DEP_2)
	v_cndmask_b32_e32 v18, v21, v18, vcc_lo
	v_lshlrev_b64_e32 v[20:21], v20, v[64:65]
	v_lshlrev_b32_e32 v21, 24, v64
	s_delay_alu instid0(VALU_DEP_1) | instskip(NEXT) | instid1(VALU_DEP_3)
	v_and_b32_e32 v21, 0x80000000, v21
	v_lshlrev_b32_e32 v20, 20, v20
	v_lshl_add_u32 v18, v18, 23, 0x3c000000
	s_delay_alu instid0(VALU_DEP_2) | instskip(NEXT) | instid1(VALU_DEP_1)
	v_and_b32_e32 v20, 0x700000, v20
	v_or3_b32 v18, v20, v21, v18
.LBB4_752:                              ;   in Loop: Header=BB4_128 Depth=2
	s_or_b32 exec_lo, exec_lo, s28
.LBB4_753:                              ;   in Loop: Header=BB4_128 Depth=2
	s_delay_alu instid0(SALU_CYCLE_1)
	s_or_b32 exec_lo, exec_lo, s27
.LBB4_754:                              ;   in Loop: Header=BB4_128 Depth=2
	s_delay_alu instid0(SALU_CYCLE_1) | instskip(SKIP_2) | instid1(VALU_DEP_1)
	s_or_b32 exec_lo, exec_lo, s10
	v_and_b32_e32 v20, 0xff, v11
	s_mov_b32 s10, exec_lo
	v_cmpx_ne_u16_e32 0, v20
	s_cbranch_execz .LBB4_760
; %bb.755:                              ;   in Loop: Header=BB4_128 Depth=2
	v_bfrev_b32_e32 v19, 1
	s_mov_b32 s27, exec_lo
	v_cmpx_ne_u16_e32 0x80, v20
	s_cbranch_execz .LBB4_759
; %bb.756:                              ;   in Loop: Header=BB4_128 Depth=2
	v_and_b32_e32 v20, 0x7f, v11
	v_mov_b32_e32 v19, 0x7f800001
	s_mov_b32 s28, exec_lo
	s_delay_alu instid0(VALU_DEP_2)
	v_cmpx_ne_u32_e32 0x7f, v20
	s_cbranch_execz .LBB4_758
; %bb.757:                              ;   in Loop: Header=BB4_128 Depth=2
	v_dual_lshrrev_b32 v74, 3, v20 :: v_dual_bitop2_b32 v19, 7, v11 bitop3:0x40
	v_cmp_gt_u32_e32 vcc_lo, 8, v20
	v_mov_b32_e32 v20, v11
	s_delay_alu instid0(VALU_DEP_3) | instskip(NEXT) | instid1(VALU_DEP_1)
	v_clz_i32_u32_e32 v19, v19
	v_min_u32_e32 v19, 32, v19
	s_delay_alu instid0(VALU_DEP_1) | instskip(SKIP_1) | instid1(VALU_DEP_2)
	v_sub_nc_u32_e32 v75, 29, v19
	v_subrev_nc_u32_e32 v19, 28, v19
	v_dual_mov_b32 v21, v65 :: v_dual_cndmask_b32 v76, v74, v75
	s_delay_alu instid0(VALU_DEP_2) | instskip(NEXT) | instid1(VALU_DEP_1)
	v_cndmask_b32_e32 v19, 0, v19, vcc_lo
	v_lshlrev_b64_e32 v[74:75], v19, v[20:21]
	v_lshlrev_b32_e32 v19, 24, v20
	s_delay_alu instid0(VALU_DEP_4) | instskip(NEXT) | instid1(VALU_DEP_2)
	v_lshl_add_u32 v21, v76, 23, 0x3c000000
	v_and_b32_e32 v19, 0x80000000, v19
	s_delay_alu instid0(VALU_DEP_4) | instskip(NEXT) | instid1(VALU_DEP_1)
	v_lshlrev_b32_e32 v20, 20, v74
	v_and_b32_e32 v20, 0x700000, v20
	s_delay_alu instid0(VALU_DEP_1)
	v_or3_b32 v19, v20, v19, v21
.LBB4_758:                              ;   in Loop: Header=BB4_128 Depth=2
	s_or_b32 exec_lo, exec_lo, s28
.LBB4_759:                              ;   in Loop: Header=BB4_128 Depth=2
	s_delay_alu instid0(SALU_CYCLE_1)
	s_or_b32 exec_lo, exec_lo, s27
.LBB4_760:                              ;   in Loop: Header=BB4_128 Depth=2
	s_delay_alu instid0(SALU_CYCLE_1) | instskip(NEXT) | instid1(VALU_DEP_1)
	s_or_b32 exec_lo, exec_lo, s10
	v_dual_mul_f32 v18, v18, v19 :: v_dual_mov_b32 v21, v65
                                        ; implicit-def: $vgpr74
	s_mov_b32 s10, exec_lo
	s_delay_alu instid0(VALU_DEP_1) | instskip(SKIP_1) | instid1(VALU_DEP_2)
	v_and_b32_e32 v20, 0x7f800000, v18
	v_lshrrev_b32_e32 v19, 24, v18
	v_cmpx_ne_u64_e32 0x7f800000, v[20:21]
	s_xor_b32 s27, exec_lo, s10
	s_cbranch_execz .LBB4_774
; %bb.761:                              ;   in Loop: Header=BB4_128 Depth=2
	v_and_b32_e32 v20, 0x7fffffff, v18
	v_mov_b32_e32 v21, v65
	v_and_b32_e32 v75, 0x80, v19
                                        ; implicit-def: $vgpr74
	s_mov_b32 s10, exec_lo
	s_delay_alu instid0(VALU_DEP_2)
	v_cmpx_gt_u64_e32 0x43e00001, v[20:21]
	s_xor_b32 s28, exec_lo, s10
	s_cbranch_execz .LBB4_771
; %bb.762:                              ;   in Loop: Header=BB4_128 Depth=2
	v_mov_b32_e32 v74, 0
	s_mov_b32 s29, exec_lo
	v_cmpx_ne_u32_e32 0, v18
	s_cbranch_execz .LBB4_770
; %bb.763:                              ;   in Loop: Header=BB4_128 Depth=2
	v_bfe_u32 v74, v18, 23, 8
	v_and_b32_e32 v20, 0x7fffff, v18
	s_mov_b32 s40, exec_lo
	s_delay_alu instid0(VALU_DEP_2) | instskip(NEXT) | instid1(VALU_DEP_2)
	v_cmp_gt_u32_e32 vcc_lo, 0x7a, v74
	v_or_b32_e32 v21, 0x800000, v20
	v_sub_nc_u32_e32 v19, 0x79, v74
	s_delay_alu instid0(VALU_DEP_1) | instskip(SKIP_1) | instid1(VALU_DEP_2)
	v_cndmask_b32_e32 v19, 0, v19, vcc_lo
	v_cmp_eq_u32_e32 vcc_lo, 0, v74
	v_cndmask_b32_e64 v76, v19, 0x78, vcc_lo
	v_cndmask_b32_e32 v20, v21, v20, vcc_lo
	s_delay_alu instid0(VALU_DEP_2) | instskip(SKIP_1) | instid1(VALU_DEP_2)
	v_dual_mov_b32 v21, v65 :: v_dual_add_nc_u32 v77, 19, v76
	v_add_nc_u32_e32 v18, 20, v76
	v_lshlrev_b64_e64 v[78:79], v77, 1
	s_delay_alu instid0(VALU_DEP_2) | instskip(NEXT) | instid1(VALU_DEP_1)
	v_lshlrev_b64_e64 v[18:19], v18, -1
	v_bfi_b32 v89, v19, 0, 0
	s_delay_alu instid0(VALU_DEP_2) | instskip(SKIP_1) | instid1(VALU_DEP_1)
	v_bfi_b32 v88, v18, 0, v20
	v_lshrrev_b64 v[18:19], v76, v[20:21]
	v_mov_b64_e32 v[20:21], v[18:19]
	s_delay_alu instid0(VALU_DEP_3)
	v_cmpx_eq_u64_e64 v[88:89], v[78:79]
; %bb.764:                              ;   in Loop: Header=BB4_128 Depth=2
	v_bfe_u32 v20, v18, 20, 1
	v_mov_b32_e32 v21, v65
	s_delay_alu instid0(VALU_DEP_1) | instskip(NEXT) | instid1(VALU_DEP_1)
	v_add_nc_u64_e32 v[20:21], v[18:19], v[20:21]
	v_add_nc_u64_e32 v[20:21], -1, v[20:21]
; %bb.765:                              ;   in Loop: Header=BB4_128 Depth=2
	s_or_b32 exec_lo, exec_lo, s40
	v_add_nc_u32_e32 v19, 0xffffff81, v74
	v_lshrrev_b32_e32 v21, 23, v18
	s_mov_b32 s10, exec_lo
	s_delay_alu instid0(VALU_DEP_2) | instskip(NEXT) | instid1(VALU_DEP_1)
	v_cndmask_b32_e64 v19, v19, 0xffffff82, vcc_lo
	v_add3_u32 v21, v76, v19, v21
	v_and_b32_e32 v19, 0xfffff, v20
                                        ; implicit-def: $vgpr20
	s_delay_alu instid0(VALU_DEP_1) | instskip(SKIP_1) | instid1(VALU_DEP_2)
	v_dual_add_nc_u32 v74, 6, v21 :: v_dual_add_nc_u32 v18, v19, v18
	v_mov_b32_e32 v19, v65
	v_cmpx_ne_u32_e32 0, v74
	s_xor_b32 s10, exec_lo, s10
; %bb.766:                              ;   in Loop: Header=BB4_128 Depth=2
	s_delay_alu instid0(VALU_DEP_2) | instskip(SKIP_2) | instid1(VALU_DEP_2)
	v_cmp_lt_u64_e32 vcc_lo, 0xffffff, v[18:19]
	v_add_nc_u32_e32 v20, 7, v21
	v_cndmask_b32_e64 v21, 0, 1, vcc_lo
	v_cndmask_b32_e32 v20, v74, v20, vcc_lo
	s_delay_alu instid0(VALU_DEP_2)
	v_lshrrev_b64 v[18:19], v21, v[18:19]
; %bb.767:                              ;   in Loop: Header=BB4_128 Depth=2
	s_and_not1_saveexec_b32 s10, s10
; %bb.768:                              ;   in Loop: Header=BB4_128 Depth=2
	s_delay_alu instid0(VALU_DEP_1)
	v_bfe_u32 v20, v18, 23, 1
; %bb.769:                              ;   in Loop: Header=BB4_128 Depth=2
	s_or_b32 exec_lo, exec_lo, s10
	s_delay_alu instid0(VALU_DEP_2) | instskip(NEXT) | instid1(VALU_DEP_2)
	v_lshrrev_b64 v[18:19], 20, v[18:19]
	v_cmp_gt_i32_e32 vcc_lo, 16, v20
	v_min_i32_e32 v21, 15, v20
	v_cmp_eq_u32_e64 s10, 0, v20
	s_delay_alu instid0(VALU_DEP_2) | instskip(SKIP_1) | instid1(VALU_DEP_2)
	v_dual_cndmask_b32 v19, 0, v19, vcc_lo :: v_dual_lshlrev_b32 v21, 3, v21
	v_cndmask_b32_e32 v18, 7, v18, vcc_lo
	v_and_b32_e32 v21, 0xf8, v21
	s_delay_alu instid0(VALU_DEP_2) | instskip(NEXT) | instid1(VALU_DEP_2)
	v_cmp_eq_u64_e32 vcc_lo, 0, v[18:19]
	v_and_or_b32 v18, v18, 7, v21
	s_and_b32 s10, s10, vcc_lo
	s_delay_alu instid0(VALU_DEP_1) | instid1(SALU_CYCLE_1)
	v_cndmask_b32_e64 v18, v18, 0, s10
	s_delay_alu instid0(VALU_DEP_1)
	v_or_b32_e32 v74, v18, v75
.LBB4_770:                              ;   in Loop: Header=BB4_128 Depth=2
	s_or_b32 exec_lo, exec_lo, s29
                                        ; implicit-def: $vgpr75
.LBB4_771:                              ;   in Loop: Header=BB4_128 Depth=2
	s_and_not1_saveexec_b32 s10, s28
; %bb.772:                              ;   in Loop: Header=BB4_128 Depth=2
	v_or_b32_e32 v74, 0x7e, v75
; %bb.773:                              ;   in Loop: Header=BB4_128 Depth=2
	s_or_b32 exec_lo, exec_lo, s10
                                        ; implicit-def: $vgpr19
.LBB4_774:                              ;   in Loop: Header=BB4_128 Depth=2
	s_and_not1_saveexec_b32 s10, s27
; %bb.775:                              ;   in Loop: Header=BB4_128 Depth=2
	v_or_b32_e32 v74, 0x7f, v19
; %bb.776:                              ;   in Loop: Header=BB4_128 Depth=2
	s_or_b32 exec_lo, exec_lo, s10
	v_lshrrev_b16 v19, 8, v64
	v_dual_mov_b32 v20, 0 :: v_dual_mov_b32 v18, 0
	s_mov_b32 s10, exec_lo
	s_delay_alu instid0(VALU_DEP_2)
	v_cmpx_ne_u16_e32 0, v19
	s_cbranch_execz .LBB4_784
; %bb.777:                              ;   in Loop: Header=BB4_128 Depth=2
	v_bfrev_b32_e32 v18, 1
	s_mov_b32 s27, exec_lo
	v_cmpx_ne_u16_e32 0x80, v19
	s_cbranch_execz .LBB4_783
; %bb.778:                              ;   in Loop: Header=BB4_128 Depth=2
	v_and_b32_e32 v19, 0xffff, v19
	v_mov_b32_e32 v18, 0x7f800001
	s_mov_b32 s28, exec_lo
	s_delay_alu instid0(VALU_DEP_2) | instskip(NEXT) | instid1(VALU_DEP_1)
	v_and_b32_e32 v75, 0x7f, v19
	v_cmpx_ne_u32_e32 0x7f, v75
	s_cbranch_execz .LBB4_782
; %bb.779:                              ;   in Loop: Header=BB4_128 Depth=2
	v_dual_mov_b32 v19, v65 :: v_dual_bitop2_b32 v18, 7, v19 bitop3:0x40
	v_lshrrev_b32_e32 v21, 3, v75
	s_mov_b32 s29, exec_lo
	v_cmpx_gt_u32_e32 8, v75
; %bb.780:                              ;   in Loop: Header=BB4_128 Depth=2
	s_delay_alu instid0(VALU_DEP_3) | instskip(NEXT) | instid1(VALU_DEP_1)
	v_clz_i32_u32_e32 v21, v18
	v_min_u32_e32 v21, 32, v21
	s_delay_alu instid0(VALU_DEP_1) | instskip(NEXT) | instid1(VALU_DEP_1)
	v_subrev_nc_u32_e32 v75, 28, v21
	v_lshlrev_b64_e32 v[18:19], v75, v[18:19]
	s_delay_alu instid0(VALU_DEP_1)
	v_dual_sub_nc_u32 v21, 29, v21 :: v_dual_bitop2_b32 v18, 7, v18 bitop3:0x40
; %bb.781:                              ;   in Loop: Header=BB4_128 Depth=2
	s_or_b32 exec_lo, exec_lo, s29
	s_delay_alu instid0(VALU_DEP_1) | instskip(NEXT) | instid1(VALU_DEP_2)
	v_dual_lshlrev_b32 v19, 16, v64 :: v_dual_lshlrev_b32 v18, 20, v18
	v_lshl_add_u32 v21, v21, 23, 0x3c000000
	s_delay_alu instid0(VALU_DEP_2) | instskip(NEXT) | instid1(VALU_DEP_1)
	v_and_b32_e32 v19, 0x80000000, v19
	v_or3_b32 v18, v18, v19, v21
.LBB4_782:                              ;   in Loop: Header=BB4_128 Depth=2
	s_or_b32 exec_lo, exec_lo, s28
.LBB4_783:                              ;   in Loop: Header=BB4_128 Depth=2
	s_delay_alu instid0(SALU_CYCLE_1)
	s_or_b32 exec_lo, exec_lo, s27
.LBB4_784:                              ;   in Loop: Header=BB4_128 Depth=2
	s_delay_alu instid0(SALU_CYCLE_1) | instskip(SKIP_2) | instid1(VALU_DEP_1)
	s_or_b32 exec_lo, exec_lo, s10
	v_lshrrev_b16 v19, 8, v11
	s_mov_b32 s10, exec_lo
	v_cmpx_ne_u16_e32 0, v19
	s_cbranch_execz .LBB4_792
; %bb.785:                              ;   in Loop: Header=BB4_128 Depth=2
	v_bfrev_b32_e32 v20, 1
	s_mov_b32 s27, exec_lo
	v_cmpx_ne_u16_e32 0x80, v19
	s_cbranch_execz .LBB4_791
; %bb.786:                              ;   in Loop: Header=BB4_128 Depth=2
	v_and_b32_e32 v19, 0xffff, v19
	v_mov_b32_e32 v20, 0x7f800001
	s_mov_b32 s28, exec_lo
	s_delay_alu instid0(VALU_DEP_2) | instskip(NEXT) | instid1(VALU_DEP_1)
	v_and_b32_e32 v21, 0x7f, v19
	v_cmpx_ne_u32_e32 0x7f, v21
	s_cbranch_execz .LBB4_790
; %bb.787:                              ;   in Loop: Header=BB4_128 Depth=2
	v_dual_lshrrev_b32 v19, 3, v21 :: v_dual_bitop2_b32 v64, 7, v19 bitop3:0x40
	s_mov_b32 s29, exec_lo
	v_cmpx_gt_u32_e32 8, v21
; %bb.788:                              ;   in Loop: Header=BB4_128 Depth=2
	s_delay_alu instid0(VALU_DEP_2) | instskip(NEXT) | instid1(VALU_DEP_1)
	v_clz_i32_u32_e32 v19, v64
	v_min_u32_e32 v19, 32, v19
	s_delay_alu instid0(VALU_DEP_1) | instskip(NEXT) | instid1(VALU_DEP_1)
	v_subrev_nc_u32_e32 v20, 28, v19
	v_lshlrev_b64_e32 v[20:21], v20, v[64:65]
	s_delay_alu instid0(VALU_DEP_1)
	v_dual_sub_nc_u32 v19, 29, v19 :: v_dual_bitop2_b32 v64, 7, v20 bitop3:0x40
; %bb.789:                              ;   in Loop: Header=BB4_128 Depth=2
	s_or_b32 exec_lo, exec_lo, s29
	s_delay_alu instid0(VALU_DEP_1) | instskip(NEXT) | instid1(VALU_DEP_2)
	v_dual_lshlrev_b32 v20, 16, v11 :: v_dual_lshlrev_b32 v21, 20, v64
	v_lshl_add_u32 v19, v19, 23, 0x3c000000
	s_delay_alu instid0(VALU_DEP_2) | instskip(NEXT) | instid1(VALU_DEP_1)
	v_and_b32_e32 v20, 0x80000000, v20
	v_or3_b32 v20, v21, v20, v19
.LBB4_790:                              ;   in Loop: Header=BB4_128 Depth=2
	s_or_b32 exec_lo, exec_lo, s28
.LBB4_791:                              ;   in Loop: Header=BB4_128 Depth=2
	s_delay_alu instid0(SALU_CYCLE_1)
	s_or_b32 exec_lo, exec_lo, s27
.LBB4_792:                              ;   in Loop: Header=BB4_128 Depth=2
	s_delay_alu instid0(SALU_CYCLE_1) | instskip(NEXT) | instid1(VALU_DEP_1)
	s_or_b32 exec_lo, exec_lo, s10
	v_mul_f32_e32 v18, v18, v20
                                        ; implicit-def: $vgpr75
	s_mov_b32 s10, exec_lo
	s_delay_alu instid0(VALU_DEP_1) | instskip(SKIP_1) | instid1(VALU_DEP_2)
	v_and_b32_e32 v64, 0x7f800000, v18
	v_lshrrev_b32_e32 v19, 24, v18
	v_cmpx_ne_u64_e32 0x7f800000, v[64:65]
	s_xor_b32 s27, exec_lo, s10
	s_cbranch_execz .LBB4_806
; %bb.793:                              ;   in Loop: Header=BB4_128 Depth=2
	v_and_b32_e32 v64, 0x7fffffff, v18
	v_and_b32_e32 v76, 0x80, v19
                                        ; implicit-def: $vgpr75
	s_mov_b32 s10, exec_lo
	s_delay_alu instid0(VALU_DEP_2)
	v_cmpx_gt_u64_e32 0x43e00001, v[64:65]
	s_xor_b32 s28, exec_lo, s10
	s_cbranch_execz .LBB4_803
; %bb.794:                              ;   in Loop: Header=BB4_128 Depth=2
	v_mov_b32_e32 v75, 0
	s_mov_b32 s29, exec_lo
	v_cmpx_ne_u32_e32 0, v18
	s_cbranch_execz .LBB4_802
; %bb.795:                              ;   in Loop: Header=BB4_128 Depth=2
	v_bfe_u32 v75, v18, 23, 8
	v_and_b32_e32 v20, 0x7fffff, v18
	s_delay_alu instid0(VALU_DEP_2) | instskip(NEXT) | instid1(VALU_DEP_2)
	v_cmp_gt_u32_e32 vcc_lo, 0x7a, v75
	v_or_b32_e32 v21, 0x800000, v20
	v_sub_nc_u32_e32 v19, 0x79, v75
	s_delay_alu instid0(VALU_DEP_1) | instskip(SKIP_1) | instid1(VALU_DEP_2)
	v_cndmask_b32_e32 v19, 0, v19, vcc_lo
	v_cmp_eq_u32_e32 vcc_lo, 0, v75
	v_cndmask_b32_e64 v77, v19, 0x78, vcc_lo
	s_delay_alu instid0(VALU_DEP_1) | instskip(SKIP_1) | instid1(VALU_DEP_2)
	v_dual_cndmask_b32 v64, v21, v20, vcc_lo :: v_dual_add_nc_u32 v18, 20, v77
	v_add_nc_u32_e32 v78, 19, v77
	v_lshlrev_b64_e64 v[18:19], v18, -1
	s_delay_alu instid0(VALU_DEP_2) | instskip(NEXT) | instid1(VALU_DEP_2)
	v_lshlrev_b64_e64 v[20:21], v78, 1
	v_bfi_b32 v79, v19, 0, 0
	s_delay_alu instid0(VALU_DEP_3) | instskip(SKIP_1) | instid1(VALU_DEP_2)
	v_bfi_b32 v78, v18, 0, v64
	v_lshrrev_b64 v[18:19], v77, v[64:65]
	v_cmp_eq_u64_e64 s10, v[78:79], v[20:21]
	s_delay_alu instid0(VALU_DEP_2)
	v_mov_b64_e32 v[20:21], v[18:19]
	s_and_saveexec_b32 s40, s10
; %bb.796:                              ;   in Loop: Header=BB4_128 Depth=2
	v_bfe_u32 v64, v18, 20, 1
	s_delay_alu instid0(VALU_DEP_1) | instskip(NEXT) | instid1(VALU_DEP_1)
	v_add_nc_u64_e32 v[20:21], v[18:19], v[64:65]
	v_add_nc_u64_e32 v[20:21], -1, v[20:21]
; %bb.797:                              ;   in Loop: Header=BB4_128 Depth=2
	s_or_b32 exec_lo, exec_lo, s40
	v_add_nc_u32_e32 v19, 0xffffff81, v75
	v_lshrrev_b32_e32 v21, 23, v18
	s_mov_b32 s10, exec_lo
	s_delay_alu instid0(VALU_DEP_2) | instskip(NEXT) | instid1(VALU_DEP_1)
	v_cndmask_b32_e64 v19, v19, 0xffffff82, vcc_lo
	v_add3_u32 v21, v77, v19, v21
	v_and_b32_e32 v19, 0xfffff, v20
                                        ; implicit-def: $vgpr20
	s_delay_alu instid0(VALU_DEP_1) | instskip(NEXT) | instid1(VALU_DEP_1)
	v_dual_add_nc_u32 v75, 6, v21 :: v_dual_add_nc_u32 v64, v19, v18
                                        ; implicit-def: $vgpr18_vgpr19
	v_cmpx_ne_u32_e32 0, v75
	s_xor_b32 s10, exec_lo, s10
; %bb.798:                              ;   in Loop: Header=BB4_128 Depth=2
	s_delay_alu instid0(VALU_DEP_2) | instskip(SKIP_1) | instid1(VALU_DEP_1)
	v_cmp_lt_u64_e32 vcc_lo, 0xffffff, v[64:65]
	v_add_nc_u32_e32 v18, 7, v21
	v_cndmask_b32_e32 v20, v75, v18, vcc_lo
	v_cndmask_b32_e64 v18, 0, 1, vcc_lo
	s_delay_alu instid0(VALU_DEP_1)
	v_lshrrev_b64 v[18:19], v18, v[64:65]
; %bb.799:                              ;   in Loop: Header=BB4_128 Depth=2
	s_and_not1_saveexec_b32 s10, s10
; %bb.800:                              ;   in Loop: Header=BB4_128 Depth=2
	v_mov_b64_e32 v[18:19], v[64:65]
	v_bfe_u32 v20, v64, 23, 1
; %bb.801:                              ;   in Loop: Header=BB4_128 Depth=2
	s_or_b32 exec_lo, exec_lo, s10
	s_delay_alu instid0(VALU_DEP_2) | instskip(NEXT) | instid1(VALU_DEP_2)
	v_lshrrev_b64 v[18:19], 20, v[18:19]
	v_cmp_gt_i32_e32 vcc_lo, 16, v20
	v_min_i32_e32 v21, 15, v20
	v_cmp_eq_u32_e64 s10, 0, v20
	s_delay_alu instid0(VALU_DEP_2) | instskip(SKIP_1) | instid1(VALU_DEP_2)
	v_dual_cndmask_b32 v19, 0, v19, vcc_lo :: v_dual_lshlrev_b32 v21, 3, v21
	v_cndmask_b32_e32 v18, 7, v18, vcc_lo
	v_and_b32_e32 v21, 0xf8, v21
	s_delay_alu instid0(VALU_DEP_2) | instskip(NEXT) | instid1(VALU_DEP_2)
	v_cmp_eq_u64_e32 vcc_lo, 0, v[18:19]
	v_and_or_b32 v18, v18, 7, v21
	s_and_b32 s10, s10, vcc_lo
	s_delay_alu instid0(VALU_DEP_1) | instid1(SALU_CYCLE_1)
	v_cndmask_b32_e64 v18, v18, 0, s10
	s_delay_alu instid0(VALU_DEP_1)
	v_or_b32_e32 v75, v18, v76
.LBB4_802:                              ;   in Loop: Header=BB4_128 Depth=2
	s_or_b32 exec_lo, exec_lo, s29
                                        ; implicit-def: $vgpr76
.LBB4_803:                              ;   in Loop: Header=BB4_128 Depth=2
	s_and_not1_saveexec_b32 s10, s28
; %bb.804:                              ;   in Loop: Header=BB4_128 Depth=2
	v_or_b32_e32 v75, 0x7e, v76
; %bb.805:                              ;   in Loop: Header=BB4_128 Depth=2
	s_or_b32 exec_lo, exec_lo, s10
                                        ; implicit-def: $vgpr19
.LBB4_806:                              ;   in Loop: Header=BB4_128 Depth=2
	s_and_not1_saveexec_b32 s10, s27
; %bb.807:                              ;   in Loop: Header=BB4_128 Depth=2
	v_or_b32_e32 v75, 0x7f, v19
; %bb.808:                              ;   in Loop: Header=BB4_128 Depth=2
	s_or_b32 exec_lo, exec_lo, s10
	v_dual_lshrrev_b32 v20, 16, v15 :: v_dual_mov_b32 v18, 0
	v_mov_b32_e32 v19, 0
	s_mov_b32 s10, exec_lo
	s_delay_alu instid0(VALU_DEP_2) | instskip(NEXT) | instid1(VALU_DEP_1)
	v_and_b32_e32 v21, 0xff, v20
	v_cmpx_ne_u16_e32 0, v21
	s_cbranch_execz .LBB4_816
; %bb.809:                              ;   in Loop: Header=BB4_128 Depth=2
	v_bfrev_b32_e32 v19, 1
	s_mov_b32 s27, exec_lo
	v_cmpx_ne_u16_e32 0x80, v21
	s_cbranch_execz .LBB4_815
; %bb.810:                              ;   in Loop: Header=BB4_128 Depth=2
	v_bfe_u32 v21, v15, 16, 7
	v_mov_b32_e32 v19, 0x7f800001
	s_mov_b32 s28, exec_lo
	s_delay_alu instid0(VALU_DEP_2)
	v_cmpx_ne_u32_e32 0x7f, v21
	s_cbranch_execz .LBB4_814
; %bb.811:                              ;   in Loop: Header=BB4_128 Depth=2
	v_dual_lshrrev_b32 v19, 3, v21 :: v_dual_bitop2_b32 v64, 7, v20 bitop3:0x40
	s_mov_b32 s29, exec_lo
	v_cmpx_gt_u32_e32 8, v21
; %bb.812:                              ;   in Loop: Header=BB4_128 Depth=2
	s_delay_alu instid0(VALU_DEP_2) | instskip(NEXT) | instid1(VALU_DEP_1)
	v_clz_i32_u32_e32 v19, v64
	v_min_u32_e32 v19, 32, v19
	s_delay_alu instid0(VALU_DEP_1) | instskip(NEXT) | instid1(VALU_DEP_1)
	v_subrev_nc_u32_e32 v21, 28, v19
	v_lshlrev_b64_e32 v[76:77], v21, v[64:65]
	s_delay_alu instid0(VALU_DEP_1)
	v_dual_sub_nc_u32 v19, 29, v19 :: v_dual_bitop2_b32 v64, 7, v76 bitop3:0x40
; %bb.813:                              ;   in Loop: Header=BB4_128 Depth=2
	s_or_b32 exec_lo, exec_lo, s29
	v_lshlrev_b32_e32 v20, 24, v20
	s_delay_alu instid0(VALU_DEP_2) | instskip(NEXT) | instid1(VALU_DEP_3)
	v_lshlrev_b32_e32 v21, 20, v64
	v_lshl_add_u32 v19, v19, 23, 0x3c000000
	s_delay_alu instid0(VALU_DEP_3) | instskip(NEXT) | instid1(VALU_DEP_1)
	v_and_b32_e32 v20, 0x80000000, v20
	v_or3_b32 v19, v21, v20, v19
.LBB4_814:                              ;   in Loop: Header=BB4_128 Depth=2
	s_or_b32 exec_lo, exec_lo, s28
.LBB4_815:                              ;   in Loop: Header=BB4_128 Depth=2
	s_delay_alu instid0(SALU_CYCLE_1)
	s_or_b32 exec_lo, exec_lo, s27
.LBB4_816:                              ;   in Loop: Header=BB4_128 Depth=2
	s_delay_alu instid0(SALU_CYCLE_1) | instskip(SKIP_2) | instid1(VALU_DEP_1)
	s_or_b32 exec_lo, exec_lo, s10
	v_lshrrev_b32_e32 v20, 16, v11
	s_mov_b32 s10, exec_lo
	v_and_b32_e32 v21, 0xff, v20
	s_delay_alu instid0(VALU_DEP_1)
	v_cmpx_ne_u16_e32 0, v21
	s_cbranch_execz .LBB4_824
; %bb.817:                              ;   in Loop: Header=BB4_128 Depth=2
	v_bfrev_b32_e32 v18, 1
	s_mov_b32 s27, exec_lo
	v_cmpx_ne_u16_e32 0x80, v21
	s_cbranch_execz .LBB4_823
; %bb.818:                              ;   in Loop: Header=BB4_128 Depth=2
	v_bfe_u32 v21, v11, 16, 7
	v_mov_b32_e32 v18, 0x7f800001
	s_mov_b32 s28, exec_lo
	s_delay_alu instid0(VALU_DEP_2)
	v_cmpx_ne_u32_e32 0x7f, v21
	s_cbranch_execz .LBB4_822
; %bb.819:                              ;   in Loop: Header=BB4_128 Depth=2
	v_dual_lshrrev_b32 v18, 3, v21 :: v_dual_bitop2_b32 v64, 7, v20 bitop3:0x40
	s_mov_b32 s29, exec_lo
	v_cmpx_gt_u32_e32 8, v21
; %bb.820:                              ;   in Loop: Header=BB4_128 Depth=2
	s_delay_alu instid0(VALU_DEP_2) | instskip(NEXT) | instid1(VALU_DEP_1)
	v_clz_i32_u32_e32 v18, v64
	v_min_u32_e32 v18, 32, v18
	s_delay_alu instid0(VALU_DEP_1) | instskip(NEXT) | instid1(VALU_DEP_1)
	v_subrev_nc_u32_e32 v20, 28, v18
	v_lshlrev_b64_e32 v[20:21], v20, v[64:65]
	s_delay_alu instid0(VALU_DEP_1)
	v_dual_sub_nc_u32 v18, 29, v18 :: v_dual_bitop2_b32 v64, 7, v20 bitop3:0x40
; %bb.821:                              ;   in Loop: Header=BB4_128 Depth=2
	s_or_b32 exec_lo, exec_lo, s29
	s_delay_alu instid0(VALU_DEP_1) | instskip(NEXT) | instid1(VALU_DEP_2)
	v_dual_lshlrev_b32 v20, 8, v11 :: v_dual_lshlrev_b32 v21, 20, v64
	v_lshl_add_u32 v18, v18, 23, 0x3c000000
	s_delay_alu instid0(VALU_DEP_2) | instskip(NEXT) | instid1(VALU_DEP_1)
	v_and_b32_e32 v20, 0x80000000, v20
	v_or3_b32 v18, v21, v20, v18
.LBB4_822:                              ;   in Loop: Header=BB4_128 Depth=2
	s_or_b32 exec_lo, exec_lo, s28
.LBB4_823:                              ;   in Loop: Header=BB4_128 Depth=2
	s_delay_alu instid0(SALU_CYCLE_1)
	s_or_b32 exec_lo, exec_lo, s27
.LBB4_824:                              ;   in Loop: Header=BB4_128 Depth=2
	s_delay_alu instid0(SALU_CYCLE_1) | instskip(NEXT) | instid1(VALU_DEP_1)
	s_or_b32 exec_lo, exec_lo, s10
	v_mul_f32_e32 v19, v19, v18
                                        ; implicit-def: $vgpr18
	s_mov_b32 s10, exec_lo
	s_delay_alu instid0(VALU_DEP_1) | instskip(SKIP_1) | instid1(VALU_DEP_2)
	v_and_b32_e32 v64, 0x7f800000, v19
	v_lshrrev_b32_e32 v20, 24, v19
	v_cmpx_ne_u64_e32 0x7f800000, v[64:65]
	s_xor_b32 s27, exec_lo, s10
	s_cbranch_execz .LBB4_838
; %bb.825:                              ;   in Loop: Header=BB4_128 Depth=2
	v_and_b32_e32 v64, 0x7fffffff, v19
	v_and_b32_e32 v76, 0x80, v20
                                        ; implicit-def: $vgpr18
	s_mov_b32 s10, exec_lo
	s_delay_alu instid0(VALU_DEP_2)
	v_cmpx_gt_u64_e32 0x43e00001, v[64:65]
	s_xor_b32 s28, exec_lo, s10
	s_cbranch_execz .LBB4_835
; %bb.826:                              ;   in Loop: Header=BB4_128 Depth=2
	v_mov_b32_e32 v18, 0
	s_mov_b32 s29, exec_lo
	v_cmpx_ne_u32_e32 0, v19
	s_cbranch_execz .LBB4_834
; %bb.827:                              ;   in Loop: Header=BB4_128 Depth=2
	v_bfe_u32 v77, v19, 23, 8
	v_and_b32_e32 v20, 0x7fffff, v19
	s_delay_alu instid0(VALU_DEP_2) | instskip(SKIP_1) | instid1(VALU_DEP_3)
	v_sub_nc_u32_e32 v18, 0x79, v77
	v_cmp_gt_u32_e32 vcc_lo, 0x7a, v77
	v_or_b32_e32 v21, 0x800000, v20
	s_delay_alu instid0(VALU_DEP_3) | instskip(SKIP_1) | instid1(VALU_DEP_3)
	v_cndmask_b32_e32 v18, 0, v18, vcc_lo
	v_cmp_eq_u32_e32 vcc_lo, 0, v77
	v_cndmask_b32_e32 v64, v21, v20, vcc_lo
	s_delay_alu instid0(VALU_DEP_3) | instskip(NEXT) | instid1(VALU_DEP_1)
	v_cndmask_b32_e64 v78, v18, 0x78, vcc_lo
	v_dual_add_nc_u32 v18, 20, v78 :: v_dual_add_nc_u32 v79, 19, v78
	s_delay_alu instid0(VALU_DEP_1) | instskip(NEXT) | instid1(VALU_DEP_2)
	v_lshlrev_b64_e64 v[18:19], v18, -1
	v_lshlrev_b64_e64 v[20:21], v79, 1
	s_delay_alu instid0(VALU_DEP_2) | instskip(NEXT) | instid1(VALU_DEP_3)
	v_bfi_b32 v89, v19, 0, 0
	v_bfi_b32 v88, v18, 0, v64
	v_lshrrev_b64 v[18:19], v78, v[64:65]
	s_delay_alu instid0(VALU_DEP_2) | instskip(NEXT) | instid1(VALU_DEP_2)
	v_cmp_eq_u64_e64 s10, v[88:89], v[20:21]
	v_mov_b64_e32 v[20:21], v[18:19]
	s_and_saveexec_b32 s40, s10
; %bb.828:                              ;   in Loop: Header=BB4_128 Depth=2
	v_bfe_u32 v64, v18, 20, 1
	s_delay_alu instid0(VALU_DEP_1) | instskip(NEXT) | instid1(VALU_DEP_1)
	v_add_nc_u64_e32 v[20:21], v[18:19], v[64:65]
	v_add_nc_u64_e32 v[20:21], -1, v[20:21]
; %bb.829:                              ;   in Loop: Header=BB4_128 Depth=2
	s_or_b32 exec_lo, exec_lo, s40
	v_add_nc_u32_e32 v19, 0xffffff81, v77
	v_lshrrev_b32_e32 v21, 23, v18
	s_mov_b32 s10, exec_lo
	s_delay_alu instid0(VALU_DEP_2) | instskip(NEXT) | instid1(VALU_DEP_1)
	v_cndmask_b32_e64 v19, v19, 0xffffff82, vcc_lo
	v_add3_u32 v21, v78, v19, v21
	v_and_b32_e32 v19, 0xfffff, v20
                                        ; implicit-def: $vgpr20
	s_delay_alu instid0(VALU_DEP_1) | instskip(NEXT) | instid1(VALU_DEP_1)
	v_dual_add_nc_u32 v77, 6, v21 :: v_dual_add_nc_u32 v64, v19, v18
                                        ; implicit-def: $vgpr18_vgpr19
	v_cmpx_ne_u32_e32 0, v77
	s_xor_b32 s10, exec_lo, s10
; %bb.830:                              ;   in Loop: Header=BB4_128 Depth=2
	s_delay_alu instid0(VALU_DEP_2) | instskip(SKIP_1) | instid1(VALU_DEP_1)
	v_cmp_lt_u64_e32 vcc_lo, 0xffffff, v[64:65]
	v_add_nc_u32_e32 v18, 7, v21
	v_cndmask_b32_e32 v20, v77, v18, vcc_lo
	v_cndmask_b32_e64 v18, 0, 1, vcc_lo
	s_delay_alu instid0(VALU_DEP_1)
	v_lshrrev_b64 v[18:19], v18, v[64:65]
; %bb.831:                              ;   in Loop: Header=BB4_128 Depth=2
	s_and_not1_saveexec_b32 s10, s10
; %bb.832:                              ;   in Loop: Header=BB4_128 Depth=2
	v_mov_b64_e32 v[18:19], v[64:65]
	v_bfe_u32 v20, v64, 23, 1
; %bb.833:                              ;   in Loop: Header=BB4_128 Depth=2
	s_or_b32 exec_lo, exec_lo, s10
	s_delay_alu instid0(VALU_DEP_2) | instskip(NEXT) | instid1(VALU_DEP_2)
	v_lshrrev_b64 v[18:19], 20, v[18:19]
	v_cmp_gt_i32_e32 vcc_lo, 16, v20
	v_min_i32_e32 v21, 15, v20
	v_cmp_eq_u32_e64 s10, 0, v20
	s_delay_alu instid0(VALU_DEP_2) | instskip(SKIP_1) | instid1(VALU_DEP_2)
	v_dual_cndmask_b32 v19, 0, v19, vcc_lo :: v_dual_lshlrev_b32 v21, 3, v21
	v_cndmask_b32_e32 v18, 7, v18, vcc_lo
	v_and_b32_e32 v21, 0xf8, v21
	s_delay_alu instid0(VALU_DEP_2) | instskip(NEXT) | instid1(VALU_DEP_2)
	v_cmp_eq_u64_e32 vcc_lo, 0, v[18:19]
	v_and_or_b32 v18, v18, 7, v21
	s_and_b32 s10, s10, vcc_lo
	s_delay_alu instid0(VALU_DEP_1) | instid1(SALU_CYCLE_1)
	v_cndmask_b32_e64 v18, v18, 0, s10
	s_delay_alu instid0(VALU_DEP_1)
	v_or_b32_e32 v18, v18, v76
.LBB4_834:                              ;   in Loop: Header=BB4_128 Depth=2
	s_or_b32 exec_lo, exec_lo, s29
                                        ; implicit-def: $vgpr76
.LBB4_835:                              ;   in Loop: Header=BB4_128 Depth=2
	s_and_not1_saveexec_b32 s10, s28
; %bb.836:                              ;   in Loop: Header=BB4_128 Depth=2
	v_or_b32_e32 v18, 0x7e, v76
; %bb.837:                              ;   in Loop: Header=BB4_128 Depth=2
	s_or_b32 exec_lo, exec_lo, s10
                                        ; implicit-def: $vgpr20
.LBB4_838:                              ;   in Loop: Header=BB4_128 Depth=2
	s_and_not1_saveexec_b32 s10, s27
; %bb.839:                              ;   in Loop: Header=BB4_128 Depth=2
	v_or_b32_e32 v18, 0x7f, v20
; %bb.840:                              ;   in Loop: Header=BB4_128 Depth=2
	s_or_b32 exec_lo, exec_lo, s10
	v_cmp_lt_u64_e32 vcc_lo, s[14:15], v[14:15]
	v_dual_mov_b32 v14, 0 :: v_dual_mov_b32 v19, 0
	s_and_saveexec_b32 s10, vcc_lo
	s_cbranch_execz .LBB4_848
; %bb.841:                              ;   in Loop: Header=BB4_128 Depth=2
	v_lshrrev_b32_e32 v20, 24, v15
	v_bfrev_b32_e32 v19, 1
	s_mov_b32 s27, exec_lo
	s_delay_alu instid0(VALU_DEP_2)
	v_cmpx_ne_u32_e32 0x80, v20
	s_cbranch_execz .LBB4_847
; %bb.842:                              ;   in Loop: Header=BB4_128 Depth=2
	v_bfe_u32 v21, v15, 24, 7
	v_mov_b32_e32 v19, 0x7f800001
	s_mov_b32 s28, exec_lo
	s_delay_alu instid0(VALU_DEP_2)
	v_cmpx_ne_u32_e32 0x7f, v21
	s_cbranch_execz .LBB4_846
; %bb.843:                              ;   in Loop: Header=BB4_128 Depth=2
	v_dual_lshrrev_b32 v15, 3, v21 :: v_dual_bitop2_b32 v64, 7, v20 bitop3:0x40
	s_mov_b32 s29, exec_lo
	v_cmpx_gt_u32_e32 8, v21
; %bb.844:                              ;   in Loop: Header=BB4_128 Depth=2
	s_delay_alu instid0(VALU_DEP_2) | instskip(NEXT) | instid1(VALU_DEP_1)
	v_clz_i32_u32_e32 v15, v64
	v_min_u32_e32 v15, 32, v15
	s_delay_alu instid0(VALU_DEP_1) | instskip(NEXT) | instid1(VALU_DEP_1)
	v_subrev_nc_u32_e32 v19, 28, v15
	v_lshlrev_b64_e32 v[76:77], v19, v[64:65]
	s_delay_alu instid0(VALU_DEP_1)
	v_dual_sub_nc_u32 v15, 29, v15 :: v_dual_bitop2_b32 v64, 7, v76 bitop3:0x40
; %bb.845:                              ;   in Loop: Header=BB4_128 Depth=2
	s_or_b32 exec_lo, exec_lo, s29
	v_lshlrev_b32_e32 v19, 24, v20
	s_delay_alu instid0(VALU_DEP_2) | instskip(NEXT) | instid1(VALU_DEP_3)
	v_lshlrev_b32_e32 v20, 20, v64
	v_lshl_add_u32 v15, v15, 23, 0x3c000000
	s_delay_alu instid0(VALU_DEP_3) | instskip(NEXT) | instid1(VALU_DEP_1)
	v_and_b32_e32 v19, 0x80000000, v19
	v_or3_b32 v19, v20, v19, v15
.LBB4_846:                              ;   in Loop: Header=BB4_128 Depth=2
	s_or_b32 exec_lo, exec_lo, s28
.LBB4_847:                              ;   in Loop: Header=BB4_128 Depth=2
	s_delay_alu instid0(SALU_CYCLE_1)
	s_or_b32 exec_lo, exec_lo, s27
.LBB4_848:                              ;   in Loop: Header=BB4_128 Depth=2
	s_delay_alu instid0(SALU_CYCLE_1) | instskip(NEXT) | instid1(SALU_CYCLE_1)
	s_or_b32 exec_lo, exec_lo, s10
	s_mov_b32 s10, exec_lo
	v_cmpx_lt_u64_e64 s[14:15], v[10:11]
	s_cbranch_execz .LBB4_856
; %bb.849:                              ;   in Loop: Header=BB4_128 Depth=2
	v_lshrrev_b32_e32 v10, 24, v11
	v_bfrev_b32_e32 v14, 1
	s_mov_b32 s27, exec_lo
	s_delay_alu instid0(VALU_DEP_2)
	v_cmpx_ne_u32_e32 0x80, v10
	s_cbranch_execz .LBB4_855
; %bb.850:                              ;   in Loop: Header=BB4_128 Depth=2
	v_bfe_u32 v15, v11, 24, 7
	v_mov_b32_e32 v14, 0x7f800001
	s_mov_b32 s28, exec_lo
	s_delay_alu instid0(VALU_DEP_2)
	v_cmpx_ne_u32_e32 0x7f, v15
	s_cbranch_execz .LBB4_854
; %bb.851:                              ;   in Loop: Header=BB4_128 Depth=2
	v_dual_lshrrev_b32 v11, 3, v15 :: v_dual_bitop2_b32 v64, 7, v10 bitop3:0x40
	s_mov_b32 s29, exec_lo
	v_cmpx_gt_u32_e32 8, v15
; %bb.852:                              ;   in Loop: Header=BB4_128 Depth=2
	s_delay_alu instid0(VALU_DEP_2) | instskip(NEXT) | instid1(VALU_DEP_1)
	v_clz_i32_u32_e32 v11, v64
	v_min_u32_e32 v11, 32, v11
	s_delay_alu instid0(VALU_DEP_1) | instskip(NEXT) | instid1(VALU_DEP_1)
	v_subrev_nc_u32_e32 v14, 28, v11
	v_lshlrev_b64_e32 v[14:15], v14, v[64:65]
	s_delay_alu instid0(VALU_DEP_1)
	v_dual_sub_nc_u32 v11, 29, v11 :: v_dual_bitop2_b32 v64, 7, v14 bitop3:0x40
; %bb.853:                              ;   in Loop: Header=BB4_128 Depth=2
	s_or_b32 exec_lo, exec_lo, s29
	s_delay_alu instid0(VALU_DEP_1) | instskip(NEXT) | instid1(VALU_DEP_2)
	v_dual_lshlrev_b32 v10, 24, v10 :: v_dual_lshlrev_b32 v14, 20, v64
	v_lshl_add_u32 v11, v11, 23, 0x3c000000
	s_delay_alu instid0(VALU_DEP_2) | instskip(NEXT) | instid1(VALU_DEP_1)
	v_and_b32_e32 v10, 0x80000000, v10
	v_or3_b32 v14, v14, v10, v11
.LBB4_854:                              ;   in Loop: Header=BB4_128 Depth=2
	s_or_b32 exec_lo, exec_lo, s28
.LBB4_855:                              ;   in Loop: Header=BB4_128 Depth=2
	s_delay_alu instid0(SALU_CYCLE_1)
	s_or_b32 exec_lo, exec_lo, s27
.LBB4_856:                              ;   in Loop: Header=BB4_128 Depth=2
	s_delay_alu instid0(SALU_CYCLE_1) | instskip(NEXT) | instid1(VALU_DEP_1)
	s_or_b32 exec_lo, exec_lo, s10
	v_mul_f32_e32 v10, v19, v14
                                        ; implicit-def: $vgpr19
	s_mov_b32 s10, exec_lo
	s_delay_alu instid0(VALU_DEP_1) | instskip(SKIP_1) | instid1(VALU_DEP_2)
	v_and_b32_e32 v64, 0x7f800000, v10
	v_lshrrev_b32_e32 v11, 24, v10
	v_cmpx_ne_u64_e32 0x7f800000, v[64:65]
	s_xor_b32 s27, exec_lo, s10
	s_cbranch_execz .LBB4_870
; %bb.857:                              ;   in Loop: Header=BB4_128 Depth=2
	v_and_b32_e32 v64, 0x7fffffff, v10
	v_and_b32_e32 v20, 0x80, v11
                                        ; implicit-def: $vgpr19
	s_mov_b32 s10, exec_lo
	s_delay_alu instid0(VALU_DEP_2)
	v_cmpx_gt_u64_e32 0x43e00001, v[64:65]
	s_xor_b32 s28, exec_lo, s10
	s_cbranch_execz .LBB4_867
; %bb.858:                              ;   in Loop: Header=BB4_128 Depth=2
	v_mov_b32_e32 v19, 0
	s_mov_b32 s29, exec_lo
	v_cmpx_ne_u32_e32 0, v10
	s_cbranch_execz .LBB4_866
; %bb.859:                              ;   in Loop: Header=BB4_128 Depth=2
	v_bfe_u32 v19, v10, 23, 8
	v_and_b32_e32 v14, 0x7fffff, v10
	s_delay_alu instid0(VALU_DEP_2) | instskip(NEXT) | instid1(VALU_DEP_2)
	v_cmp_gt_u32_e32 vcc_lo, 0x7a, v19
	v_or_b32_e32 v15, 0x800000, v14
	v_sub_nc_u32_e32 v11, 0x79, v19
	s_delay_alu instid0(VALU_DEP_1) | instskip(SKIP_1) | instid1(VALU_DEP_2)
	v_cndmask_b32_e32 v11, 0, v11, vcc_lo
	v_cmp_eq_u32_e32 vcc_lo, 0, v19
	v_cndmask_b32_e64 v21, v11, 0x78, vcc_lo
	s_delay_alu instid0(VALU_DEP_1) | instskip(SKIP_1) | instid1(VALU_DEP_2)
	v_dual_cndmask_b32 v64, v15, v14, vcc_lo :: v_dual_add_nc_u32 v10, 20, v21
	v_add_nc_u32_e32 v76, 19, v21
	v_lshlrev_b64_e64 v[10:11], v10, -1
	s_delay_alu instid0(VALU_DEP_2) | instskip(NEXT) | instid1(VALU_DEP_2)
	v_lshlrev_b64_e64 v[14:15], v76, 1
	v_bfi_b32 v77, v11, 0, 0
	s_delay_alu instid0(VALU_DEP_3) | instskip(SKIP_1) | instid1(VALU_DEP_2)
	v_bfi_b32 v76, v10, 0, v64
	v_lshrrev_b64 v[10:11], v21, v[64:65]
	v_cmp_eq_u64_e64 s10, v[76:77], v[14:15]
	s_delay_alu instid0(VALU_DEP_2)
	v_mov_b64_e32 v[14:15], v[10:11]
	s_and_saveexec_b32 s40, s10
; %bb.860:                              ;   in Loop: Header=BB4_128 Depth=2
	v_bfe_u32 v64, v10, 20, 1
	s_delay_alu instid0(VALU_DEP_1) | instskip(NEXT) | instid1(VALU_DEP_1)
	v_add_nc_u64_e32 v[14:15], v[10:11], v[64:65]
	v_add_nc_u64_e32 v[14:15], -1, v[14:15]
; %bb.861:                              ;   in Loop: Header=BB4_128 Depth=2
	s_or_b32 exec_lo, exec_lo, s40
	v_add_nc_u32_e32 v11, 0xffffff81, v19
	v_lshrrev_b32_e32 v15, 23, v10
	s_mov_b32 s10, exec_lo
	s_delay_alu instid0(VALU_DEP_2) | instskip(NEXT) | instid1(VALU_DEP_1)
	v_cndmask_b32_e64 v11, v11, 0xffffff82, vcc_lo
	v_add3_u32 v15, v21, v11, v15
	v_and_b32_e32 v11, 0xfffff, v14
                                        ; implicit-def: $vgpr14
	s_delay_alu instid0(VALU_DEP_1) | instskip(NEXT) | instid1(VALU_DEP_1)
	v_dual_add_nc_u32 v19, 6, v15 :: v_dual_add_nc_u32 v64, v11, v10
                                        ; implicit-def: $vgpr10_vgpr11
	v_cmpx_ne_u32_e32 0, v19
	s_xor_b32 s10, exec_lo, s10
; %bb.862:                              ;   in Loop: Header=BB4_128 Depth=2
	s_delay_alu instid0(VALU_DEP_2) | instskip(SKIP_1) | instid1(VALU_DEP_1)
	v_cmp_lt_u64_e32 vcc_lo, 0xffffff, v[64:65]
	v_add_nc_u32_e32 v10, 7, v15
	v_cndmask_b32_e32 v14, v19, v10, vcc_lo
	v_cndmask_b32_e64 v10, 0, 1, vcc_lo
	s_delay_alu instid0(VALU_DEP_1)
	v_lshrrev_b64 v[10:11], v10, v[64:65]
; %bb.863:                              ;   in Loop: Header=BB4_128 Depth=2
	s_and_not1_saveexec_b32 s10, s10
; %bb.864:                              ;   in Loop: Header=BB4_128 Depth=2
	v_mov_b64_e32 v[10:11], v[64:65]
	v_bfe_u32 v14, v64, 23, 1
; %bb.865:                              ;   in Loop: Header=BB4_128 Depth=2
	s_or_b32 exec_lo, exec_lo, s10
	s_delay_alu instid0(VALU_DEP_2) | instskip(NEXT) | instid1(VALU_DEP_2)
	v_lshrrev_b64 v[10:11], 20, v[10:11]
	v_cmp_gt_i32_e32 vcc_lo, 16, v14
	v_min_i32_e32 v15, 15, v14
	v_cmp_eq_u32_e64 s10, 0, v14
	s_delay_alu instid0(VALU_DEP_4) | instskip(NEXT) | instid1(VALU_DEP_3)
	v_cndmask_b32_e32 v11, 0, v11, vcc_lo
	v_dual_cndmask_b32 v10, 7, v10 :: v_dual_lshlrev_b32 v15, 3, v15
	s_delay_alu instid0(VALU_DEP_1) | instskip(NEXT) | instid1(VALU_DEP_2)
	v_and_b32_e32 v15, 0xf8, v15
	v_cmp_eq_u64_e32 vcc_lo, 0, v[10:11]
	s_delay_alu instid0(VALU_DEP_2)
	v_and_or_b32 v10, v10, 7, v15
	s_and_b32 s10, s10, vcc_lo
	s_delay_alu instid0(VALU_DEP_1) | instid1(SALU_CYCLE_1)
	v_cndmask_b32_e64 v10, v10, 0, s10
	s_delay_alu instid0(VALU_DEP_1)
	v_or_b32_e32 v19, v10, v20
.LBB4_866:                              ;   in Loop: Header=BB4_128 Depth=2
	s_or_b32 exec_lo, exec_lo, s29
                                        ; implicit-def: $vgpr20
.LBB4_867:                              ;   in Loop: Header=BB4_128 Depth=2
	s_and_not1_saveexec_b32 s10, s28
; %bb.868:                              ;   in Loop: Header=BB4_128 Depth=2
	v_or_b32_e32 v19, 0x7e, v20
; %bb.869:                              ;   in Loop: Header=BB4_128 Depth=2
	s_or_b32 exec_lo, exec_lo, s10
                                        ; implicit-def: $vgpr11
.LBB4_870:                              ;   in Loop: Header=BB4_128 Depth=2
	s_and_not1_saveexec_b32 s10, s27
; %bb.871:                              ;   in Loop: Header=BB4_128 Depth=2
	v_or_b32_e32 v19, 0x7f, v11
; %bb.872:                              ;   in Loop: Header=BB4_128 Depth=2
	s_or_b32 exec_lo, exec_lo, s10
	v_and_b32_e32 v14, 0xff, v16
	v_dual_mov_b32 v10, 0 :: v_dual_mov_b32 v11, 0
	s_mov_b32 s10, exec_lo
	s_delay_alu instid0(VALU_DEP_2)
	v_cmpx_ne_u16_e32 0, v14
	s_cbranch_execz .LBB4_878
; %bb.873:                              ;   in Loop: Header=BB4_128 Depth=2
	v_bfrev_b32_e32 v11, 1
	s_mov_b32 s27, exec_lo
	v_cmpx_ne_u16_e32 0x80, v14
	s_cbranch_execz .LBB4_877
; %bb.874:                              ;   in Loop: Header=BB4_128 Depth=2
	v_and_b32_e32 v14, 0x7f, v16
	v_mov_b32_e32 v11, 0x7f800001
	s_mov_b32 s28, exec_lo
	s_delay_alu instid0(VALU_DEP_2)
	v_cmpx_ne_u32_e32 0x7f, v14
	s_cbranch_execz .LBB4_876
; %bb.875:                              ;   in Loop: Header=BB4_128 Depth=2
	v_dual_lshrrev_b32 v15, 3, v14 :: v_dual_bitop2_b32 v11, 7, v16 bitop3:0x40
	v_cmp_gt_u32_e32 vcc_lo, 8, v14
	s_delay_alu instid0(VALU_DEP_2) | instskip(NEXT) | instid1(VALU_DEP_1)
	v_clz_i32_u32_e32 v11, v11
	v_min_u32_e32 v11, 32, v11
	s_delay_alu instid0(VALU_DEP_1) | instskip(NEXT) | instid1(VALU_DEP_1)
	v_subrev_nc_u32_e32 v20, 28, v11
	v_dual_cndmask_b32 v14, 0, v20 :: v_dual_sub_nc_u32 v11, 29, v11
	s_delay_alu instid0(VALU_DEP_1) | instskip(NEXT) | instid1(VALU_DEP_2)
	v_cndmask_b32_e32 v11, v15, v11, vcc_lo
	v_lshlrev_b64_e32 v[14:15], v14, v[16:17]
	v_lshlrev_b32_e32 v15, 24, v16
	s_delay_alu instid0(VALU_DEP_3) | instskip(NEXT) | instid1(VALU_DEP_2)
	v_lshl_add_u32 v11, v11, 23, 0x3c000000
	v_and_b32_e32 v15, 0x80000000, v15
	s_delay_alu instid0(VALU_DEP_4) | instskip(NEXT) | instid1(VALU_DEP_1)
	v_lshlrev_b32_e32 v14, 20, v14
	v_and_b32_e32 v14, 0x700000, v14
	s_delay_alu instid0(VALU_DEP_1)
	v_or3_b32 v11, v14, v15, v11
.LBB4_876:                              ;   in Loop: Header=BB4_128 Depth=2
	s_or_b32 exec_lo, exec_lo, s28
.LBB4_877:                              ;   in Loop: Header=BB4_128 Depth=2
	s_delay_alu instid0(SALU_CYCLE_1)
	s_or_b32 exec_lo, exec_lo, s27
.LBB4_878:                              ;   in Loop: Header=BB4_128 Depth=2
	s_delay_alu instid0(SALU_CYCLE_1) | instskip(SKIP_2) | instid1(VALU_DEP_1)
	s_or_b32 exec_lo, exec_lo, s10
	v_and_b32_e32 v14, 0xff, v12
	s_mov_b32 s10, exec_lo
	v_cmpx_ne_u16_e32 0, v14
	s_cbranch_execz .LBB4_884
; %bb.879:                              ;   in Loop: Header=BB4_128 Depth=2
	v_bfrev_b32_e32 v10, 1
	s_mov_b32 s27, exec_lo
	v_cmpx_ne_u16_e32 0x80, v14
	s_cbranch_execz .LBB4_883
; %bb.880:                              ;   in Loop: Header=BB4_128 Depth=2
	v_and_b32_e32 v14, 0x7f, v12
	v_mov_b32_e32 v10, 0x7f800001
	s_mov_b32 s28, exec_lo
	s_delay_alu instid0(VALU_DEP_2)
	v_cmpx_ne_u32_e32 0x7f, v14
	s_cbranch_execz .LBB4_882
; %bb.881:                              ;   in Loop: Header=BB4_128 Depth=2
	v_dual_lshrrev_b32 v15, 3, v14 :: v_dual_bitop2_b32 v10, 7, v12 bitop3:0x40
	v_cmp_gt_u32_e32 vcc_lo, 8, v14
	s_delay_alu instid0(VALU_DEP_2) | instskip(NEXT) | instid1(VALU_DEP_1)
	v_clz_i32_u32_e32 v10, v10
	v_min_u32_e32 v10, 32, v10
	s_delay_alu instid0(VALU_DEP_1) | instskip(NEXT) | instid1(VALU_DEP_1)
	v_subrev_nc_u32_e32 v20, 28, v10
	v_dual_sub_nc_u32 v10, 29, v10 :: v_dual_cndmask_b32 v14, 0, v20, vcc_lo
	s_delay_alu instid0(VALU_DEP_1) | instskip(NEXT) | instid1(VALU_DEP_2)
	v_cndmask_b32_e32 v10, v15, v10, vcc_lo
	v_lshlrev_b64_e32 v[14:15], v14, v[12:13]
	v_lshlrev_b32_e32 v15, 24, v12
	s_delay_alu instid0(VALU_DEP_3) | instskip(NEXT) | instid1(VALU_DEP_2)
	v_lshl_add_u32 v10, v10, 23, 0x3c000000
	v_and_b32_e32 v15, 0x80000000, v15
	s_delay_alu instid0(VALU_DEP_4) | instskip(NEXT) | instid1(VALU_DEP_1)
	v_lshlrev_b32_e32 v14, 20, v14
	v_and_b32_e32 v14, 0x700000, v14
	s_delay_alu instid0(VALU_DEP_1)
	v_or3_b32 v10, v14, v15, v10
.LBB4_882:                              ;   in Loop: Header=BB4_128 Depth=2
	s_or_b32 exec_lo, exec_lo, s28
.LBB4_883:                              ;   in Loop: Header=BB4_128 Depth=2
	s_delay_alu instid0(SALU_CYCLE_1)
	s_or_b32 exec_lo, exec_lo, s27
.LBB4_884:                              ;   in Loop: Header=BB4_128 Depth=2
	s_delay_alu instid0(SALU_CYCLE_1) | instskip(NEXT) | instid1(VALU_DEP_1)
	s_or_b32 exec_lo, exec_lo, s10
	v_mul_f32_e32 v10, v11, v10
                                        ; implicit-def: $vgpr20
	s_mov_b32 s10, exec_lo
	s_delay_alu instid0(VALU_DEP_1) | instskip(SKIP_1) | instid1(VALU_DEP_2)
	v_and_b32_e32 v64, 0x7f800000, v10
	v_lshrrev_b32_e32 v11, 24, v10
	v_cmpx_ne_u64_e32 0x7f800000, v[64:65]
	s_xor_b32 s27, exec_lo, s10
	s_cbranch_execz .LBB4_898
; %bb.885:                              ;   in Loop: Header=BB4_128 Depth=2
	v_and_b32_e32 v64, 0x7fffffff, v10
	v_and_b32_e32 v21, 0x80, v11
                                        ; implicit-def: $vgpr20
	s_mov_b32 s10, exec_lo
	s_delay_alu instid0(VALU_DEP_2)
	v_cmpx_gt_u64_e32 0x43e00001, v[64:65]
	s_xor_b32 s28, exec_lo, s10
	s_cbranch_execz .LBB4_895
; %bb.886:                              ;   in Loop: Header=BB4_128 Depth=2
	v_mov_b32_e32 v20, 0
	s_mov_b32 s29, exec_lo
	v_cmpx_ne_u32_e32 0, v10
	s_cbranch_execz .LBB4_894
; %bb.887:                              ;   in Loop: Header=BB4_128 Depth=2
	v_bfe_u32 v20, v10, 23, 8
	v_and_b32_e32 v14, 0x7fffff, v10
	s_delay_alu instid0(VALU_DEP_2) | instskip(NEXT) | instid1(VALU_DEP_2)
	v_cmp_gt_u32_e32 vcc_lo, 0x7a, v20
	v_or_b32_e32 v15, 0x800000, v14
	v_sub_nc_u32_e32 v11, 0x79, v20
	s_delay_alu instid0(VALU_DEP_1) | instskip(SKIP_1) | instid1(VALU_DEP_2)
	v_cndmask_b32_e32 v11, 0, v11, vcc_lo
	v_cmp_eq_u32_e32 vcc_lo, 0, v20
	v_cndmask_b32_e64 v76, v11, 0x78, vcc_lo
	s_delay_alu instid0(VALU_DEP_1) | instskip(SKIP_1) | instid1(VALU_DEP_2)
	v_dual_cndmask_b32 v64, v15, v14, vcc_lo :: v_dual_add_nc_u32 v10, 20, v76
	v_add_nc_u32_e32 v77, 19, v76
	v_lshlrev_b64_e64 v[10:11], v10, -1
	s_delay_alu instid0(VALU_DEP_2) | instskip(NEXT) | instid1(VALU_DEP_2)
	v_lshlrev_b64_e64 v[14:15], v77, 1
	v_bfi_b32 v79, v11, 0, 0
	s_delay_alu instid0(VALU_DEP_3) | instskip(SKIP_1) | instid1(VALU_DEP_2)
	v_bfi_b32 v78, v10, 0, v64
	v_lshrrev_b64 v[10:11], v76, v[64:65]
	v_cmp_eq_u64_e64 s10, v[78:79], v[14:15]
	s_delay_alu instid0(VALU_DEP_2)
	v_mov_b64_e32 v[14:15], v[10:11]
	s_and_saveexec_b32 s40, s10
; %bb.888:                              ;   in Loop: Header=BB4_128 Depth=2
	v_bfe_u32 v64, v10, 20, 1
	s_delay_alu instid0(VALU_DEP_1) | instskip(NEXT) | instid1(VALU_DEP_1)
	v_add_nc_u64_e32 v[14:15], v[10:11], v[64:65]
	v_add_nc_u64_e32 v[14:15], -1, v[14:15]
; %bb.889:                              ;   in Loop: Header=BB4_128 Depth=2
	s_or_b32 exec_lo, exec_lo, s40
	v_add_nc_u32_e32 v11, 0xffffff81, v20
	v_lshrrev_b32_e32 v15, 23, v10
	s_mov_b32 s10, exec_lo
	s_delay_alu instid0(VALU_DEP_2) | instskip(NEXT) | instid1(VALU_DEP_1)
	v_cndmask_b32_e64 v11, v11, 0xffffff82, vcc_lo
	v_add3_u32 v15, v76, v11, v15
	v_and_b32_e32 v11, 0xfffff, v14
                                        ; implicit-def: $vgpr14
	s_delay_alu instid0(VALU_DEP_1) | instskip(NEXT) | instid1(VALU_DEP_1)
	v_dual_add_nc_u32 v20, 6, v15 :: v_dual_add_nc_u32 v64, v11, v10
                                        ; implicit-def: $vgpr10_vgpr11
	v_cmpx_ne_u32_e32 0, v20
	s_xor_b32 s10, exec_lo, s10
; %bb.890:                              ;   in Loop: Header=BB4_128 Depth=2
	s_delay_alu instid0(VALU_DEP_2) | instskip(SKIP_1) | instid1(VALU_DEP_1)
	v_cmp_lt_u64_e32 vcc_lo, 0xffffff, v[64:65]
	v_add_nc_u32_e32 v10, 7, v15
	v_cndmask_b32_e32 v14, v20, v10, vcc_lo
	v_cndmask_b32_e64 v10, 0, 1, vcc_lo
	s_delay_alu instid0(VALU_DEP_1)
	v_lshrrev_b64 v[10:11], v10, v[64:65]
; %bb.891:                              ;   in Loop: Header=BB4_128 Depth=2
	s_and_not1_saveexec_b32 s10, s10
; %bb.892:                              ;   in Loop: Header=BB4_128 Depth=2
	v_mov_b64_e32 v[10:11], v[64:65]
	v_bfe_u32 v14, v64, 23, 1
; %bb.893:                              ;   in Loop: Header=BB4_128 Depth=2
	s_or_b32 exec_lo, exec_lo, s10
	s_delay_alu instid0(VALU_DEP_2) | instskip(NEXT) | instid1(VALU_DEP_2)
	v_lshrrev_b64 v[10:11], 20, v[10:11]
	v_cmp_gt_i32_e32 vcc_lo, 16, v14
	v_min_i32_e32 v15, 15, v14
	v_cmp_eq_u32_e64 s10, 0, v14
	s_delay_alu instid0(VALU_DEP_4) | instskip(NEXT) | instid1(VALU_DEP_3)
	v_cndmask_b32_e32 v11, 0, v11, vcc_lo
	v_dual_cndmask_b32 v10, 7, v10 :: v_dual_lshlrev_b32 v15, 3, v15
	s_delay_alu instid0(VALU_DEP_1) | instskip(NEXT) | instid1(VALU_DEP_2)
	v_and_b32_e32 v15, 0xf8, v15
	v_cmp_eq_u64_e32 vcc_lo, 0, v[10:11]
	s_delay_alu instid0(VALU_DEP_2)
	v_and_or_b32 v10, v10, 7, v15
	s_and_b32 s10, s10, vcc_lo
	s_delay_alu instid0(VALU_DEP_1) | instid1(SALU_CYCLE_1)
	v_cndmask_b32_e64 v10, v10, 0, s10
	s_delay_alu instid0(VALU_DEP_1)
	v_or_b32_e32 v20, v10, v21
.LBB4_894:                              ;   in Loop: Header=BB4_128 Depth=2
	s_or_b32 exec_lo, exec_lo, s29
                                        ; implicit-def: $vgpr21
.LBB4_895:                              ;   in Loop: Header=BB4_128 Depth=2
	s_and_not1_saveexec_b32 s10, s28
; %bb.896:                              ;   in Loop: Header=BB4_128 Depth=2
	v_or_b32_e32 v20, 0x7e, v21
; %bb.897:                              ;   in Loop: Header=BB4_128 Depth=2
	s_or_b32 exec_lo, exec_lo, s10
                                        ; implicit-def: $vgpr11
.LBB4_898:                              ;   in Loop: Header=BB4_128 Depth=2
	s_and_not1_saveexec_b32 s10, s27
; %bb.899:                              ;   in Loop: Header=BB4_128 Depth=2
	v_or_b32_e32 v20, 0x7f, v11
; %bb.900:                              ;   in Loop: Header=BB4_128 Depth=2
	s_or_b32 exec_lo, exec_lo, s10
	v_lshrrev_b16 v14, 8, v16
	v_dual_mov_b32 v10, 0 :: v_dual_mov_b32 v11, 0
	s_mov_b32 s10, exec_lo
	s_delay_alu instid0(VALU_DEP_2)
	v_cmpx_ne_u16_e32 0, v14
	s_cbranch_execz .LBB4_908
; %bb.901:                              ;   in Loop: Header=BB4_128 Depth=2
	v_bfrev_b32_e32 v11, 1
	s_mov_b32 s27, exec_lo
	v_cmpx_ne_u16_e32 0x80, v14
	s_cbranch_execz .LBB4_907
; %bb.902:                              ;   in Loop: Header=BB4_128 Depth=2
	v_and_b32_e32 v15, 0xffff, v14
	v_mov_b32_e32 v11, 0x7f800001
	s_mov_b32 s28, exec_lo
	s_delay_alu instid0(VALU_DEP_2) | instskip(NEXT) | instid1(VALU_DEP_1)
	v_and_b32_e32 v14, 0x7f, v15
	v_cmpx_ne_u32_e32 0x7f, v14
	s_cbranch_execz .LBB4_906
; %bb.903:                              ;   in Loop: Header=BB4_128 Depth=2
	v_dual_lshrrev_b32 v11, 3, v14 :: v_dual_bitop2_b32 v64, 7, v15 bitop3:0x40
	s_mov_b32 s29, exec_lo
	v_cmpx_gt_u32_e32 8, v14
; %bb.904:                              ;   in Loop: Header=BB4_128 Depth=2
	s_delay_alu instid0(VALU_DEP_2) | instskip(NEXT) | instid1(VALU_DEP_1)
	v_clz_i32_u32_e32 v11, v64
	v_min_u32_e32 v11, 32, v11
	s_delay_alu instid0(VALU_DEP_1) | instskip(NEXT) | instid1(VALU_DEP_1)
	v_subrev_nc_u32_e32 v14, 28, v11
	v_lshlrev_b64_e32 v[14:15], v14, v[64:65]
	s_delay_alu instid0(VALU_DEP_1)
	v_dual_sub_nc_u32 v11, 29, v11 :: v_dual_bitop2_b32 v64, 7, v14 bitop3:0x40
; %bb.905:                              ;   in Loop: Header=BB4_128 Depth=2
	s_or_b32 exec_lo, exec_lo, s29
	v_lshlrev_b32_e32 v14, 16, v16
	s_delay_alu instid0(VALU_DEP_2) | instskip(NEXT) | instid1(VALU_DEP_3)
	v_lshlrev_b32_e32 v15, 20, v64
	v_lshl_add_u32 v11, v11, 23, 0x3c000000
	s_delay_alu instid0(VALU_DEP_3) | instskip(NEXT) | instid1(VALU_DEP_1)
	v_and_b32_e32 v14, 0x80000000, v14
	v_or3_b32 v11, v15, v14, v11
.LBB4_906:                              ;   in Loop: Header=BB4_128 Depth=2
	s_or_b32 exec_lo, exec_lo, s28
.LBB4_907:                              ;   in Loop: Header=BB4_128 Depth=2
	s_delay_alu instid0(SALU_CYCLE_1)
	s_or_b32 exec_lo, exec_lo, s27
.LBB4_908:                              ;   in Loop: Header=BB4_128 Depth=2
	s_delay_alu instid0(SALU_CYCLE_1) | instskip(SKIP_2) | instid1(VALU_DEP_1)
	s_or_b32 exec_lo, exec_lo, s10
	v_lshrrev_b16 v14, 8, v12
	s_mov_b32 s10, exec_lo
	v_cmpx_ne_u16_e32 0, v14
	s_cbranch_execz .LBB4_916
; %bb.909:                              ;   in Loop: Header=BB4_128 Depth=2
	v_bfrev_b32_e32 v10, 1
	s_mov_b32 s27, exec_lo
	v_cmpx_ne_u16_e32 0x80, v14
	s_cbranch_execz .LBB4_915
; %bb.910:                              ;   in Loop: Header=BB4_128 Depth=2
	v_and_b32_e32 v15, 0xffff, v14
	v_mov_b32_e32 v10, 0x7f800001
	s_mov_b32 s28, exec_lo
	s_delay_alu instid0(VALU_DEP_2) | instskip(NEXT) | instid1(VALU_DEP_1)
	v_and_b32_e32 v14, 0x7f, v15
	v_cmpx_ne_u32_e32 0x7f, v14
	s_cbranch_execz .LBB4_914
; %bb.911:                              ;   in Loop: Header=BB4_128 Depth=2
	v_dual_lshrrev_b32 v10, 3, v14 :: v_dual_bitop2_b32 v64, 7, v15 bitop3:0x40
	s_mov_b32 s29, exec_lo
	v_cmpx_gt_u32_e32 8, v14
; %bb.912:                              ;   in Loop: Header=BB4_128 Depth=2
	s_delay_alu instid0(VALU_DEP_2) | instskip(NEXT) | instid1(VALU_DEP_1)
	v_clz_i32_u32_e32 v10, v64
	v_min_u32_e32 v10, 32, v10
	s_delay_alu instid0(VALU_DEP_1) | instskip(SKIP_1) | instid1(VALU_DEP_2)
	v_subrev_nc_u32_e32 v14, 28, v10
	v_sub_nc_u32_e32 v10, 29, v10
	v_lshlrev_b64_e32 v[14:15], v14, v[64:65]
	s_delay_alu instid0(VALU_DEP_1)
	v_and_b32_e32 v64, 7, v14
; %bb.913:                              ;   in Loop: Header=BB4_128 Depth=2
	s_or_b32 exec_lo, exec_lo, s29
	v_lshlrev_b32_e32 v14, 16, v12
	s_delay_alu instid0(VALU_DEP_2) | instskip(SKIP_1) | instid1(VALU_DEP_3)
	v_lshlrev_b32_e32 v15, 20, v64
	v_lshl_add_u32 v10, v10, 23, 0x3c000000
	v_and_b32_e32 v14, 0x80000000, v14
	s_delay_alu instid0(VALU_DEP_1)
	v_or3_b32 v10, v15, v14, v10
.LBB4_914:                              ;   in Loop: Header=BB4_128 Depth=2
	s_or_b32 exec_lo, exec_lo, s28
.LBB4_915:                              ;   in Loop: Header=BB4_128 Depth=2
	s_delay_alu instid0(SALU_CYCLE_1)
	s_or_b32 exec_lo, exec_lo, s27
.LBB4_916:                              ;   in Loop: Header=BB4_128 Depth=2
	s_delay_alu instid0(SALU_CYCLE_1) | instskip(NEXT) | instid1(VALU_DEP_1)
	s_or_b32 exec_lo, exec_lo, s10
	v_mul_f32_e32 v10, v11, v10
                                        ; implicit-def: $vgpr21
	s_mov_b32 s10, exec_lo
	s_delay_alu instid0(VALU_DEP_1) | instskip(SKIP_1) | instid1(VALU_DEP_2)
	v_and_b32_e32 v64, 0x7f800000, v10
	v_lshrrev_b32_e32 v11, 24, v10
	v_cmpx_ne_u64_e32 0x7f800000, v[64:65]
	s_xor_b32 s27, exec_lo, s10
	s_cbranch_execz .LBB4_930
; %bb.917:                              ;   in Loop: Header=BB4_128 Depth=2
	v_and_b32_e32 v64, 0x7fffffff, v10
	v_and_b32_e32 v76, 0x80, v11
                                        ; implicit-def: $vgpr21
	s_mov_b32 s10, exec_lo
	s_delay_alu instid0(VALU_DEP_2)
	v_cmpx_gt_u64_e32 0x43e00001, v[64:65]
	s_xor_b32 s28, exec_lo, s10
	s_cbranch_execz .LBB4_927
; %bb.918:                              ;   in Loop: Header=BB4_128 Depth=2
	v_mov_b32_e32 v21, 0
	s_mov_b32 s29, exec_lo
	v_cmpx_ne_u32_e32 0, v10
	s_cbranch_execz .LBB4_926
; %bb.919:                              ;   in Loop: Header=BB4_128 Depth=2
	v_bfe_u32 v21, v10, 23, 8
	v_and_b32_e32 v14, 0x7fffff, v10
	s_delay_alu instid0(VALU_DEP_2) | instskip(NEXT) | instid1(VALU_DEP_2)
	v_cmp_gt_u32_e32 vcc_lo, 0x7a, v21
	v_or_b32_e32 v15, 0x800000, v14
	v_sub_nc_u32_e32 v11, 0x79, v21
	s_delay_alu instid0(VALU_DEP_1) | instskip(SKIP_1) | instid1(VALU_DEP_2)
	v_cndmask_b32_e32 v11, 0, v11, vcc_lo
	v_cmp_eq_u32_e32 vcc_lo, 0, v21
	v_cndmask_b32_e64 v77, v11, 0x78, vcc_lo
	s_delay_alu instid0(VALU_DEP_1) | instskip(SKIP_1) | instid1(VALU_DEP_2)
	v_dual_cndmask_b32 v64, v15, v14, vcc_lo :: v_dual_add_nc_u32 v10, 20, v77
	v_add_nc_u32_e32 v78, 19, v77
	v_lshlrev_b64_e64 v[10:11], v10, -1
	s_delay_alu instid0(VALU_DEP_2) | instskip(NEXT) | instid1(VALU_DEP_2)
	v_lshlrev_b64_e64 v[14:15], v78, 1
	v_bfi_b32 v79, v11, 0, 0
	s_delay_alu instid0(VALU_DEP_3) | instskip(SKIP_1) | instid1(VALU_DEP_2)
	v_bfi_b32 v78, v10, 0, v64
	v_lshrrev_b64 v[10:11], v77, v[64:65]
	v_cmp_eq_u64_e64 s10, v[78:79], v[14:15]
	s_delay_alu instid0(VALU_DEP_2)
	v_mov_b64_e32 v[14:15], v[10:11]
	s_and_saveexec_b32 s40, s10
; %bb.920:                              ;   in Loop: Header=BB4_128 Depth=2
	v_bfe_u32 v64, v10, 20, 1
	s_delay_alu instid0(VALU_DEP_1) | instskip(NEXT) | instid1(VALU_DEP_1)
	v_add_nc_u64_e32 v[14:15], v[10:11], v[64:65]
	v_add_nc_u64_e32 v[14:15], -1, v[14:15]
; %bb.921:                              ;   in Loop: Header=BB4_128 Depth=2
	s_or_b32 exec_lo, exec_lo, s40
	v_add_nc_u32_e32 v11, 0xffffff81, v21
	v_lshrrev_b32_e32 v15, 23, v10
	s_mov_b32 s10, exec_lo
	s_delay_alu instid0(VALU_DEP_2) | instskip(NEXT) | instid1(VALU_DEP_1)
	v_cndmask_b32_e64 v11, v11, 0xffffff82, vcc_lo
	v_add3_u32 v15, v77, v11, v15
	v_and_b32_e32 v11, 0xfffff, v14
                                        ; implicit-def: $vgpr14
	s_delay_alu instid0(VALU_DEP_1) | instskip(NEXT) | instid1(VALU_DEP_1)
	v_dual_add_nc_u32 v21, 6, v15 :: v_dual_add_nc_u32 v64, v11, v10
                                        ; implicit-def: $vgpr10_vgpr11
	v_cmpx_ne_u32_e32 0, v21
	s_xor_b32 s10, exec_lo, s10
; %bb.922:                              ;   in Loop: Header=BB4_128 Depth=2
	s_delay_alu instid0(VALU_DEP_2) | instskip(SKIP_1) | instid1(VALU_DEP_1)
	v_cmp_lt_u64_e32 vcc_lo, 0xffffff, v[64:65]
	v_add_nc_u32_e32 v10, 7, v15
	v_cndmask_b32_e32 v14, v21, v10, vcc_lo
	v_cndmask_b32_e64 v10, 0, 1, vcc_lo
	s_delay_alu instid0(VALU_DEP_1)
	v_lshrrev_b64 v[10:11], v10, v[64:65]
; %bb.923:                              ;   in Loop: Header=BB4_128 Depth=2
	s_and_not1_saveexec_b32 s10, s10
; %bb.924:                              ;   in Loop: Header=BB4_128 Depth=2
	v_mov_b64_e32 v[10:11], v[64:65]
	v_bfe_u32 v14, v64, 23, 1
; %bb.925:                              ;   in Loop: Header=BB4_128 Depth=2
	s_or_b32 exec_lo, exec_lo, s10
	s_delay_alu instid0(VALU_DEP_2) | instskip(NEXT) | instid1(VALU_DEP_2)
	v_lshrrev_b64 v[10:11], 20, v[10:11]
	v_cmp_gt_i32_e32 vcc_lo, 16, v14
	v_min_i32_e32 v15, 15, v14
	v_cmp_eq_u32_e64 s10, 0, v14
	s_delay_alu instid0(VALU_DEP_4) | instskip(NEXT) | instid1(VALU_DEP_3)
	v_cndmask_b32_e32 v11, 0, v11, vcc_lo
	v_dual_cndmask_b32 v10, 7, v10 :: v_dual_lshlrev_b32 v15, 3, v15
	s_delay_alu instid0(VALU_DEP_1) | instskip(NEXT) | instid1(VALU_DEP_2)
	v_and_b32_e32 v15, 0xf8, v15
	v_cmp_eq_u64_e32 vcc_lo, 0, v[10:11]
	s_delay_alu instid0(VALU_DEP_2)
	v_and_or_b32 v10, v10, 7, v15
	s_and_b32 s10, s10, vcc_lo
	s_delay_alu instid0(VALU_DEP_1) | instid1(SALU_CYCLE_1)
	v_cndmask_b32_e64 v10, v10, 0, s10
	s_delay_alu instid0(VALU_DEP_1)
	v_or_b32_e32 v21, v10, v76
.LBB4_926:                              ;   in Loop: Header=BB4_128 Depth=2
	s_or_b32 exec_lo, exec_lo, s29
                                        ; implicit-def: $vgpr76
.LBB4_927:                              ;   in Loop: Header=BB4_128 Depth=2
	s_and_not1_saveexec_b32 s10, s28
; %bb.928:                              ;   in Loop: Header=BB4_128 Depth=2
	v_or_b32_e32 v21, 0x7e, v76
; %bb.929:                              ;   in Loop: Header=BB4_128 Depth=2
	s_or_b32 exec_lo, exec_lo, s10
                                        ; implicit-def: $vgpr11
.LBB4_930:                              ;   in Loop: Header=BB4_128 Depth=2
	s_and_not1_saveexec_b32 s10, s27
; %bb.931:                              ;   in Loop: Header=BB4_128 Depth=2
	v_or_b32_e32 v21, 0x7f, v11
; %bb.932:                              ;   in Loop: Header=BB4_128 Depth=2
	s_or_b32 exec_lo, exec_lo, s10
	v_dual_lshrrev_b32 v14, 16, v16 :: v_dual_mov_b32 v10, 0
	v_mov_b32_e32 v11, 0
	s_mov_b32 s10, exec_lo
	s_delay_alu instid0(VALU_DEP_2) | instskip(NEXT) | instid1(VALU_DEP_1)
	v_and_b32_e32 v15, 0xff, v14
	v_cmpx_ne_u16_e32 0, v15
	s_cbranch_execz .LBB4_940
; %bb.933:                              ;   in Loop: Header=BB4_128 Depth=2
	v_bfrev_b32_e32 v11, 1
	s_mov_b32 s27, exec_lo
	v_cmpx_ne_u16_e32 0x80, v15
	s_cbranch_execz .LBB4_939
; %bb.934:                              ;   in Loop: Header=BB4_128 Depth=2
	v_bfe_u32 v15, v16, 16, 7
	v_mov_b32_e32 v11, 0x7f800001
	s_mov_b32 s28, exec_lo
	s_delay_alu instid0(VALU_DEP_2)
	v_cmpx_ne_u32_e32 0x7f, v15
	s_cbranch_execz .LBB4_938
; %bb.935:                              ;   in Loop: Header=BB4_128 Depth=2
	v_dual_lshrrev_b32 v11, 3, v15 :: v_dual_bitop2_b32 v64, 7, v14 bitop3:0x40
	s_mov_b32 s29, exec_lo
	v_cmpx_gt_u32_e32 8, v15
; %bb.936:                              ;   in Loop: Header=BB4_128 Depth=2
	s_delay_alu instid0(VALU_DEP_2) | instskip(NEXT) | instid1(VALU_DEP_1)
	v_clz_i32_u32_e32 v11, v64
	v_min_u32_e32 v11, 32, v11
	s_delay_alu instid0(VALU_DEP_1) | instskip(NEXT) | instid1(VALU_DEP_1)
	v_subrev_nc_u32_e32 v15, 28, v11
	v_lshlrev_b64_e32 v[76:77], v15, v[64:65]
	s_delay_alu instid0(VALU_DEP_1)
	v_dual_sub_nc_u32 v11, 29, v11 :: v_dual_bitop2_b32 v64, 7, v76 bitop3:0x40
; %bb.937:                              ;   in Loop: Header=BB4_128 Depth=2
	s_or_b32 exec_lo, exec_lo, s29
	s_delay_alu instid0(VALU_DEP_1) | instskip(NEXT) | instid1(VALU_DEP_2)
	v_dual_lshlrev_b32 v14, 24, v14 :: v_dual_lshlrev_b32 v15, 20, v64
	v_lshl_add_u32 v11, v11, 23, 0x3c000000
	s_delay_alu instid0(VALU_DEP_2) | instskip(NEXT) | instid1(VALU_DEP_1)
	v_and_b32_e32 v14, 0x80000000, v14
	v_or3_b32 v11, v15, v14, v11
.LBB4_938:                              ;   in Loop: Header=BB4_128 Depth=2
	s_or_b32 exec_lo, exec_lo, s28
.LBB4_939:                              ;   in Loop: Header=BB4_128 Depth=2
	s_delay_alu instid0(SALU_CYCLE_1)
	s_or_b32 exec_lo, exec_lo, s27
.LBB4_940:                              ;   in Loop: Header=BB4_128 Depth=2
	s_delay_alu instid0(SALU_CYCLE_1) | instskip(SKIP_2) | instid1(VALU_DEP_1)
	s_or_b32 exec_lo, exec_lo, s10
	v_lshrrev_b32_e32 v14, 16, v12
	s_mov_b32 s10, exec_lo
	v_and_b32_e32 v15, 0xff, v14
	s_delay_alu instid0(VALU_DEP_1)
	v_cmpx_ne_u16_e32 0, v15
	s_cbranch_execz .LBB4_948
; %bb.941:                              ;   in Loop: Header=BB4_128 Depth=2
	v_bfrev_b32_e32 v10, 1
	s_mov_b32 s27, exec_lo
	v_cmpx_ne_u16_e32 0x80, v15
	s_cbranch_execz .LBB4_947
; %bb.942:                              ;   in Loop: Header=BB4_128 Depth=2
	v_bfe_u32 v15, v12, 16, 7
	v_mov_b32_e32 v10, 0x7f800001
	s_mov_b32 s28, exec_lo
	s_delay_alu instid0(VALU_DEP_2)
	v_cmpx_ne_u32_e32 0x7f, v15
	s_cbranch_execz .LBB4_946
; %bb.943:                              ;   in Loop: Header=BB4_128 Depth=2
	v_dual_lshrrev_b32 v10, 3, v15 :: v_dual_bitop2_b32 v64, 7, v14 bitop3:0x40
	s_mov_b32 s29, exec_lo
	v_cmpx_gt_u32_e32 8, v15
; %bb.944:                              ;   in Loop: Header=BB4_128 Depth=2
	s_delay_alu instid0(VALU_DEP_2) | instskip(NEXT) | instid1(VALU_DEP_1)
	v_clz_i32_u32_e32 v10, v64
	v_min_u32_e32 v10, 32, v10
	s_delay_alu instid0(VALU_DEP_1) | instskip(SKIP_1) | instid1(VALU_DEP_2)
	v_subrev_nc_u32_e32 v14, 28, v10
	v_sub_nc_u32_e32 v10, 29, v10
	v_lshlrev_b64_e32 v[14:15], v14, v[64:65]
	s_delay_alu instid0(VALU_DEP_1)
	v_and_b32_e32 v64, 7, v14
; %bb.945:                              ;   in Loop: Header=BB4_128 Depth=2
	s_or_b32 exec_lo, exec_lo, s29
	v_lshlrev_b32_e32 v14, 8, v12
	s_delay_alu instid0(VALU_DEP_2) | instskip(SKIP_1) | instid1(VALU_DEP_3)
	v_lshlrev_b32_e32 v15, 20, v64
	v_lshl_add_u32 v10, v10, 23, 0x3c000000
	v_and_b32_e32 v14, 0x80000000, v14
	s_delay_alu instid0(VALU_DEP_1)
	v_or3_b32 v10, v15, v14, v10
.LBB4_946:                              ;   in Loop: Header=BB4_128 Depth=2
	s_or_b32 exec_lo, exec_lo, s28
.LBB4_947:                              ;   in Loop: Header=BB4_128 Depth=2
	s_delay_alu instid0(SALU_CYCLE_1)
	s_or_b32 exec_lo, exec_lo, s27
.LBB4_948:                              ;   in Loop: Header=BB4_128 Depth=2
	s_delay_alu instid0(SALU_CYCLE_1) | instskip(NEXT) | instid1(VALU_DEP_1)
	s_or_b32 exec_lo, exec_lo, s10
	v_mul_f32_e32 v10, v11, v10
                                        ; implicit-def: $vgpr76
	s_mov_b32 s10, exec_lo
	s_delay_alu instid0(VALU_DEP_1) | instskip(SKIP_1) | instid1(VALU_DEP_2)
	v_and_b32_e32 v64, 0x7f800000, v10
	v_lshrrev_b32_e32 v11, 24, v10
	v_cmpx_ne_u64_e32 0x7f800000, v[64:65]
	s_xor_b32 s27, exec_lo, s10
	s_cbranch_execz .LBB4_962
; %bb.949:                              ;   in Loop: Header=BB4_128 Depth=2
	v_and_b32_e32 v64, 0x7fffffff, v10
	v_and_b32_e32 v77, 0x80, v11
                                        ; implicit-def: $vgpr76
	s_mov_b32 s10, exec_lo
	s_delay_alu instid0(VALU_DEP_2)
	v_cmpx_gt_u64_e32 0x43e00001, v[64:65]
	s_xor_b32 s28, exec_lo, s10
	s_cbranch_execz .LBB4_959
; %bb.950:                              ;   in Loop: Header=BB4_128 Depth=2
	v_mov_b32_e32 v76, 0
	s_mov_b32 s29, exec_lo
	v_cmpx_ne_u32_e32 0, v10
	s_cbranch_execz .LBB4_958
; %bb.951:                              ;   in Loop: Header=BB4_128 Depth=2
	v_bfe_u32 v76, v10, 23, 8
	v_and_b32_e32 v14, 0x7fffff, v10
	s_delay_alu instid0(VALU_DEP_2) | instskip(NEXT) | instid1(VALU_DEP_2)
	v_cmp_gt_u32_e32 vcc_lo, 0x7a, v76
	v_or_b32_e32 v15, 0x800000, v14
	v_sub_nc_u32_e32 v11, 0x79, v76
	s_delay_alu instid0(VALU_DEP_1) | instskip(SKIP_1) | instid1(VALU_DEP_2)
	v_cndmask_b32_e32 v11, 0, v11, vcc_lo
	v_cmp_eq_u32_e32 vcc_lo, 0, v76
	v_cndmask_b32_e64 v78, v11, 0x78, vcc_lo
	v_cndmask_b32_e32 v64, v15, v14, vcc_lo
	s_delay_alu instid0(VALU_DEP_2) | instskip(NEXT) | instid1(VALU_DEP_1)
	v_dual_add_nc_u32 v10, 20, v78 :: v_dual_add_nc_u32 v79, 19, v78
	v_lshlrev_b64_e64 v[10:11], v10, -1
	s_delay_alu instid0(VALU_DEP_2) | instskip(NEXT) | instid1(VALU_DEP_2)
	v_lshlrev_b64_e64 v[14:15], v79, 1
	v_bfi_b32 v89, v11, 0, 0
	s_delay_alu instid0(VALU_DEP_3) | instskip(SKIP_1) | instid1(VALU_DEP_2)
	v_bfi_b32 v88, v10, 0, v64
	v_lshrrev_b64 v[10:11], v78, v[64:65]
	v_cmp_eq_u64_e64 s10, v[88:89], v[14:15]
	s_delay_alu instid0(VALU_DEP_2)
	v_mov_b64_e32 v[14:15], v[10:11]
	s_and_saveexec_b32 s40, s10
; %bb.952:                              ;   in Loop: Header=BB4_128 Depth=2
	v_bfe_u32 v64, v10, 20, 1
	s_delay_alu instid0(VALU_DEP_1) | instskip(NEXT) | instid1(VALU_DEP_1)
	v_add_nc_u64_e32 v[14:15], v[10:11], v[64:65]
	v_add_nc_u64_e32 v[14:15], -1, v[14:15]
; %bb.953:                              ;   in Loop: Header=BB4_128 Depth=2
	s_or_b32 exec_lo, exec_lo, s40
	v_add_nc_u32_e32 v11, 0xffffff81, v76
	v_lshrrev_b32_e32 v15, 23, v10
	s_mov_b32 s10, exec_lo
	s_delay_alu instid0(VALU_DEP_2) | instskip(NEXT) | instid1(VALU_DEP_1)
	v_cndmask_b32_e64 v11, v11, 0xffffff82, vcc_lo
	v_add3_u32 v15, v78, v11, v15
	v_and_b32_e32 v11, 0xfffff, v14
                                        ; implicit-def: $vgpr14
	s_delay_alu instid0(VALU_DEP_1) | instskip(NEXT) | instid1(VALU_DEP_1)
	v_dual_add_nc_u32 v76, 6, v15 :: v_dual_add_nc_u32 v64, v11, v10
                                        ; implicit-def: $vgpr10_vgpr11
	v_cmpx_ne_u32_e32 0, v76
	s_xor_b32 s10, exec_lo, s10
; %bb.954:                              ;   in Loop: Header=BB4_128 Depth=2
	s_delay_alu instid0(VALU_DEP_2) | instskip(SKIP_1) | instid1(VALU_DEP_1)
	v_cmp_lt_u64_e32 vcc_lo, 0xffffff, v[64:65]
	v_add_nc_u32_e32 v10, 7, v15
	v_cndmask_b32_e32 v14, v76, v10, vcc_lo
	v_cndmask_b32_e64 v10, 0, 1, vcc_lo
	s_delay_alu instid0(VALU_DEP_1)
	v_lshrrev_b64 v[10:11], v10, v[64:65]
; %bb.955:                              ;   in Loop: Header=BB4_128 Depth=2
	s_and_not1_saveexec_b32 s10, s10
; %bb.956:                              ;   in Loop: Header=BB4_128 Depth=2
	v_mov_b64_e32 v[10:11], v[64:65]
	v_bfe_u32 v14, v64, 23, 1
; %bb.957:                              ;   in Loop: Header=BB4_128 Depth=2
	s_or_b32 exec_lo, exec_lo, s10
	s_delay_alu instid0(VALU_DEP_2) | instskip(NEXT) | instid1(VALU_DEP_2)
	v_lshrrev_b64 v[10:11], 20, v[10:11]
	v_cmp_gt_i32_e32 vcc_lo, 16, v14
	v_min_i32_e32 v15, 15, v14
	v_cmp_eq_u32_e64 s10, 0, v14
	s_delay_alu instid0(VALU_DEP_4) | instskip(NEXT) | instid1(VALU_DEP_3)
	v_cndmask_b32_e32 v11, 0, v11, vcc_lo
	v_dual_cndmask_b32 v10, 7, v10 :: v_dual_lshlrev_b32 v15, 3, v15
	s_delay_alu instid0(VALU_DEP_1) | instskip(NEXT) | instid1(VALU_DEP_2)
	v_and_b32_e32 v15, 0xf8, v15
	v_cmp_eq_u64_e32 vcc_lo, 0, v[10:11]
	s_delay_alu instid0(VALU_DEP_2)
	v_and_or_b32 v10, v10, 7, v15
	s_and_b32 s10, s10, vcc_lo
	s_delay_alu instid0(VALU_DEP_1) | instid1(SALU_CYCLE_1)
	v_cndmask_b32_e64 v10, v10, 0, s10
	s_delay_alu instid0(VALU_DEP_1)
	v_or_b32_e32 v76, v10, v77
.LBB4_958:                              ;   in Loop: Header=BB4_128 Depth=2
	s_or_b32 exec_lo, exec_lo, s29
                                        ; implicit-def: $vgpr77
.LBB4_959:                              ;   in Loop: Header=BB4_128 Depth=2
	s_and_not1_saveexec_b32 s10, s28
; %bb.960:                              ;   in Loop: Header=BB4_128 Depth=2
	v_or_b32_e32 v76, 0x7e, v77
; %bb.961:                              ;   in Loop: Header=BB4_128 Depth=2
	s_or_b32 exec_lo, exec_lo, s10
                                        ; implicit-def: $vgpr11
.LBB4_962:                              ;   in Loop: Header=BB4_128 Depth=2
	s_and_not1_saveexec_b32 s10, s27
; %bb.963:                              ;   in Loop: Header=BB4_128 Depth=2
	v_or_b32_e32 v76, 0x7f, v11
; %bb.964:                              ;   in Loop: Header=BB4_128 Depth=2
	s_or_b32 exec_lo, exec_lo, s10
	v_dual_mov_b32 v10, 0 :: v_dual_mov_b32 v11, 0
	s_mov_b32 s10, exec_lo
	v_cmpx_lt_u32_e32 0xffffff, v16
	s_cbranch_execz .LBB4_972
; %bb.965:                              ;   in Loop: Header=BB4_128 Depth=2
	v_lshrrev_b32_e32 v14, 24, v16
	v_bfrev_b32_e32 v11, 1
	s_mov_b32 s27, exec_lo
	s_delay_alu instid0(VALU_DEP_2)
	v_cmpx_ne_u32_e32 0x80, v14
	s_cbranch_execz .LBB4_971
; %bb.966:                              ;   in Loop: Header=BB4_128 Depth=2
	v_bfe_u32 v15, v16, 24, 7
	v_mov_b32_e32 v11, 0x7f800001
	s_mov_b32 s28, exec_lo
	s_delay_alu instid0(VALU_DEP_2)
	v_cmpx_ne_u32_e32 0x7f, v15
	s_cbranch_execz .LBB4_970
; %bb.967:                              ;   in Loop: Header=BB4_128 Depth=2
	v_dual_lshrrev_b32 v11, 3, v15 :: v_dual_bitop2_b32 v64, 7, v14 bitop3:0x40
	s_mov_b32 s29, exec_lo
	v_cmpx_gt_u32_e32 8, v15
; %bb.968:                              ;   in Loop: Header=BB4_128 Depth=2
	s_delay_alu instid0(VALU_DEP_2) | instskip(NEXT) | instid1(VALU_DEP_1)
	v_clz_i32_u32_e32 v11, v64
	v_min_u32_e32 v11, 32, v11
	s_delay_alu instid0(VALU_DEP_1) | instskip(NEXT) | instid1(VALU_DEP_1)
	v_subrev_nc_u32_e32 v15, 28, v11
	v_lshlrev_b64_e32 v[78:79], v15, v[64:65]
	s_delay_alu instid0(VALU_DEP_1)
	v_dual_sub_nc_u32 v11, 29, v11 :: v_dual_bitop2_b32 v64, 7, v78 bitop3:0x40
; %bb.969:                              ;   in Loop: Header=BB4_128 Depth=2
	s_or_b32 exec_lo, exec_lo, s29
	s_delay_alu instid0(VALU_DEP_1) | instskip(NEXT) | instid1(VALU_DEP_2)
	v_dual_lshlrev_b32 v14, 24, v14 :: v_dual_lshlrev_b32 v15, 20, v64
	v_lshl_add_u32 v11, v11, 23, 0x3c000000
	s_delay_alu instid0(VALU_DEP_2) | instskip(NEXT) | instid1(VALU_DEP_1)
	v_and_b32_e32 v14, 0x80000000, v14
	v_or3_b32 v11, v15, v14, v11
.LBB4_970:                              ;   in Loop: Header=BB4_128 Depth=2
	s_or_b32 exec_lo, exec_lo, s28
.LBB4_971:                              ;   in Loop: Header=BB4_128 Depth=2
	s_delay_alu instid0(SALU_CYCLE_1)
	s_or_b32 exec_lo, exec_lo, s27
.LBB4_972:                              ;   in Loop: Header=BB4_128 Depth=2
	s_delay_alu instid0(SALU_CYCLE_1) | instskip(NEXT) | instid1(SALU_CYCLE_1)
	s_or_b32 exec_lo, exec_lo, s10
	s_mov_b32 s10, exec_lo
	v_cmpx_lt_u32_e32 0xffffff, v12
	s_cbranch_execz .LBB4_980
; %bb.973:                              ;   in Loop: Header=BB4_128 Depth=2
	v_lshrrev_b32_e32 v14, 24, v12
	v_bfrev_b32_e32 v10, 1
	s_mov_b32 s27, exec_lo
	s_delay_alu instid0(VALU_DEP_2)
	v_cmpx_ne_u32_e32 0x80, v14
	s_cbranch_execz .LBB4_979
; %bb.974:                              ;   in Loop: Header=BB4_128 Depth=2
	v_bfe_u32 v15, v12, 24, 7
	v_mov_b32_e32 v10, 0x7f800001
	s_mov_b32 s28, exec_lo
	s_delay_alu instid0(VALU_DEP_2)
	v_cmpx_ne_u32_e32 0x7f, v15
	s_cbranch_execz .LBB4_978
; %bb.975:                              ;   in Loop: Header=BB4_128 Depth=2
	v_dual_lshrrev_b32 v10, 3, v15 :: v_dual_bitop2_b32 v64, 7, v14 bitop3:0x40
	s_mov_b32 s29, exec_lo
	v_cmpx_gt_u32_e32 8, v15
; %bb.976:                              ;   in Loop: Header=BB4_128 Depth=2
	s_delay_alu instid0(VALU_DEP_2) | instskip(NEXT) | instid1(VALU_DEP_1)
	v_clz_i32_u32_e32 v10, v64
	v_min_u32_e32 v10, 32, v10
	s_delay_alu instid0(VALU_DEP_1) | instskip(SKIP_1) | instid1(VALU_DEP_2)
	v_subrev_nc_u32_e32 v15, 28, v10
	v_sub_nc_u32_e32 v10, 29, v10
	v_lshlrev_b64_e32 v[78:79], v15, v[64:65]
	s_delay_alu instid0(VALU_DEP_1)
	v_and_b32_e32 v64, 7, v78
; %bb.977:                              ;   in Loop: Header=BB4_128 Depth=2
	s_or_b32 exec_lo, exec_lo, s29
	s_delay_alu instid0(VALU_DEP_1) | instskip(SKIP_1) | instid1(VALU_DEP_2)
	v_dual_lshlrev_b32 v14, 24, v14 :: v_dual_lshlrev_b32 v15, 20, v64
	v_lshl_add_u32 v10, v10, 23, 0x3c000000
	v_and_b32_e32 v14, 0x80000000, v14
	s_delay_alu instid0(VALU_DEP_1)
	v_or3_b32 v10, v15, v14, v10
.LBB4_978:                              ;   in Loop: Header=BB4_128 Depth=2
	s_or_b32 exec_lo, exec_lo, s28
.LBB4_979:                              ;   in Loop: Header=BB4_128 Depth=2
	s_delay_alu instid0(SALU_CYCLE_1)
	s_or_b32 exec_lo, exec_lo, s27
.LBB4_980:                              ;   in Loop: Header=BB4_128 Depth=2
	s_delay_alu instid0(SALU_CYCLE_1) | instskip(NEXT) | instid1(VALU_DEP_1)
	s_or_b32 exec_lo, exec_lo, s10
	v_mul_f32_e32 v10, v11, v10
                                        ; implicit-def: $vgpr77
	s_mov_b32 s10, exec_lo
	s_delay_alu instid0(VALU_DEP_1) | instskip(SKIP_1) | instid1(VALU_DEP_2)
	v_and_b32_e32 v64, 0x7f800000, v10
	v_lshrrev_b32_e32 v11, 24, v10
	v_cmpx_ne_u64_e32 0x7f800000, v[64:65]
	s_xor_b32 s27, exec_lo, s10
	s_cbranch_execz .LBB4_994
; %bb.981:                              ;   in Loop: Header=BB4_128 Depth=2
	v_and_b32_e32 v64, 0x7fffffff, v10
	v_and_b32_e32 v78, 0x80, v11
                                        ; implicit-def: $vgpr77
	s_mov_b32 s10, exec_lo
	s_delay_alu instid0(VALU_DEP_2)
	v_cmpx_gt_u64_e32 0x43e00001, v[64:65]
	s_xor_b32 s28, exec_lo, s10
	s_cbranch_execz .LBB4_991
; %bb.982:                              ;   in Loop: Header=BB4_128 Depth=2
	v_mov_b32_e32 v77, 0
	s_mov_b32 s29, exec_lo
	v_cmpx_ne_u32_e32 0, v10
	s_cbranch_execz .LBB4_990
; %bb.983:                              ;   in Loop: Header=BB4_128 Depth=2
	v_bfe_u32 v77, v10, 23, 8
	v_and_b32_e32 v14, 0x7fffff, v10
	s_delay_alu instid0(VALU_DEP_2) | instskip(NEXT) | instid1(VALU_DEP_2)
	v_cmp_gt_u32_e32 vcc_lo, 0x7a, v77
	v_or_b32_e32 v15, 0x800000, v14
	v_sub_nc_u32_e32 v11, 0x79, v77
	s_delay_alu instid0(VALU_DEP_1) | instskip(SKIP_1) | instid1(VALU_DEP_2)
	v_cndmask_b32_e32 v11, 0, v11, vcc_lo
	v_cmp_eq_u32_e32 vcc_lo, 0, v77
	v_cndmask_b32_e64 v79, v11, 0x78, vcc_lo
	s_delay_alu instid0(VALU_DEP_1) | instskip(SKIP_1) | instid1(VALU_DEP_2)
	v_dual_cndmask_b32 v64, v15, v14, vcc_lo :: v_dual_add_nc_u32 v10, 20, v79
	v_add_nc_u32_e32 v88, 19, v79
	v_lshlrev_b64_e64 v[10:11], v10, -1
	s_delay_alu instid0(VALU_DEP_2) | instskip(NEXT) | instid1(VALU_DEP_2)
	v_lshlrev_b64_e64 v[14:15], v88, 1
	v_bfi_b32 v89, v11, 0, 0
	s_delay_alu instid0(VALU_DEP_3) | instskip(SKIP_1) | instid1(VALU_DEP_2)
	v_bfi_b32 v88, v10, 0, v64
	v_lshrrev_b64 v[10:11], v79, v[64:65]
	v_cmp_eq_u64_e64 s10, v[88:89], v[14:15]
	s_delay_alu instid0(VALU_DEP_2)
	v_mov_b64_e32 v[14:15], v[10:11]
	s_and_saveexec_b32 s40, s10
; %bb.984:                              ;   in Loop: Header=BB4_128 Depth=2
	v_bfe_u32 v64, v10, 20, 1
	s_delay_alu instid0(VALU_DEP_1) | instskip(NEXT) | instid1(VALU_DEP_1)
	v_add_nc_u64_e32 v[14:15], v[10:11], v[64:65]
	v_add_nc_u64_e32 v[14:15], -1, v[14:15]
; %bb.985:                              ;   in Loop: Header=BB4_128 Depth=2
	s_or_b32 exec_lo, exec_lo, s40
	v_add_nc_u32_e32 v11, 0xffffff81, v77
	v_lshrrev_b32_e32 v15, 23, v10
	s_mov_b32 s10, exec_lo
	s_delay_alu instid0(VALU_DEP_2) | instskip(NEXT) | instid1(VALU_DEP_1)
	v_cndmask_b32_e64 v11, v11, 0xffffff82, vcc_lo
	v_add3_u32 v15, v79, v11, v15
	v_and_b32_e32 v11, 0xfffff, v14
                                        ; implicit-def: $vgpr14
	s_delay_alu instid0(VALU_DEP_1) | instskip(NEXT) | instid1(VALU_DEP_1)
	v_dual_add_nc_u32 v77, 6, v15 :: v_dual_add_nc_u32 v64, v11, v10
                                        ; implicit-def: $vgpr10_vgpr11
	v_cmpx_ne_u32_e32 0, v77
	s_xor_b32 s10, exec_lo, s10
; %bb.986:                              ;   in Loop: Header=BB4_128 Depth=2
	s_delay_alu instid0(VALU_DEP_2) | instskip(SKIP_1) | instid1(VALU_DEP_1)
	v_cmp_lt_u64_e32 vcc_lo, 0xffffff, v[64:65]
	v_add_nc_u32_e32 v10, 7, v15
	v_cndmask_b32_e32 v14, v77, v10, vcc_lo
	v_cndmask_b32_e64 v10, 0, 1, vcc_lo
	s_delay_alu instid0(VALU_DEP_1)
	v_lshrrev_b64 v[10:11], v10, v[64:65]
; %bb.987:                              ;   in Loop: Header=BB4_128 Depth=2
	s_and_not1_saveexec_b32 s10, s10
; %bb.988:                              ;   in Loop: Header=BB4_128 Depth=2
	v_mov_b64_e32 v[10:11], v[64:65]
	v_bfe_u32 v14, v64, 23, 1
; %bb.989:                              ;   in Loop: Header=BB4_128 Depth=2
	s_or_b32 exec_lo, exec_lo, s10
	s_delay_alu instid0(VALU_DEP_2) | instskip(NEXT) | instid1(VALU_DEP_2)
	v_lshrrev_b64 v[10:11], 20, v[10:11]
	v_cmp_gt_i32_e32 vcc_lo, 16, v14
	v_min_i32_e32 v15, 15, v14
	v_cmp_eq_u32_e64 s10, 0, v14
	s_delay_alu instid0(VALU_DEP_4) | instskip(NEXT) | instid1(VALU_DEP_3)
	v_cndmask_b32_e32 v11, 0, v11, vcc_lo
	v_dual_cndmask_b32 v10, 7, v10 :: v_dual_lshlrev_b32 v15, 3, v15
	s_delay_alu instid0(VALU_DEP_1) | instskip(NEXT) | instid1(VALU_DEP_2)
	v_and_b32_e32 v15, 0xf8, v15
	v_cmp_eq_u64_e32 vcc_lo, 0, v[10:11]
	s_delay_alu instid0(VALU_DEP_2)
	v_and_or_b32 v10, v10, 7, v15
	s_and_b32 s10, s10, vcc_lo
	s_delay_alu instid0(VALU_DEP_1) | instid1(SALU_CYCLE_1)
	v_cndmask_b32_e64 v10, v10, 0, s10
	s_delay_alu instid0(VALU_DEP_1)
	v_or_b32_e32 v77, v10, v78
.LBB4_990:                              ;   in Loop: Header=BB4_128 Depth=2
	s_or_b32 exec_lo, exec_lo, s29
                                        ; implicit-def: $vgpr78
.LBB4_991:                              ;   in Loop: Header=BB4_128 Depth=2
	s_and_not1_saveexec_b32 s10, s28
; %bb.992:                              ;   in Loop: Header=BB4_128 Depth=2
	v_or_b32_e32 v77, 0x7e, v78
; %bb.993:                              ;   in Loop: Header=BB4_128 Depth=2
	s_or_b32 exec_lo, exec_lo, s10
                                        ; implicit-def: $vgpr11
.LBB4_994:                              ;   in Loop: Header=BB4_128 Depth=2
	s_and_not1_saveexec_b32 s10, s27
; %bb.995:                              ;   in Loop: Header=BB4_128 Depth=2
	v_or_b32_e32 v77, 0x7f, v11
; %bb.996:                              ;   in Loop: Header=BB4_128 Depth=2
	s_or_b32 exec_lo, exec_lo, s10
	v_and_b32_e32 v14, 0xff, v17
	v_dual_mov_b32 v64, v17 :: v_dual_mov_b32 v11, 0
	v_mov_b32_e32 v10, 0
	s_mov_b32 s10, exec_lo
	s_delay_alu instid0(VALU_DEP_3)
	v_cmpx_ne_u16_e32 0, v14
	s_cbranch_execz .LBB4_1002
; %bb.997:                              ;   in Loop: Header=BB4_128 Depth=2
	v_bfrev_b32_e32 v10, 1
	s_mov_b32 s27, exec_lo
	v_cmpx_ne_u16_e32 0x80, v14
	s_cbranch_execz .LBB4_1001
; %bb.998:                              ;   in Loop: Header=BB4_128 Depth=2
	v_and_b32_e32 v14, 0x7f, v17
	v_mov_b32_e32 v10, 0x7f800001
	s_mov_b32 s28, exec_lo
	s_delay_alu instid0(VALU_DEP_2)
	v_cmpx_ne_u32_e32 0x7f, v14
	s_cbranch_execz .LBB4_1000
; %bb.999:                              ;   in Loop: Header=BB4_128 Depth=2
	v_dual_lshrrev_b32 v15, 3, v14 :: v_dual_bitop2_b32 v10, 7, v17 bitop3:0x40
	v_cmp_gt_u32_e32 vcc_lo, 8, v14
	s_delay_alu instid0(VALU_DEP_2) | instskip(NEXT) | instid1(VALU_DEP_1)
	v_clz_i32_u32_e32 v10, v10
	v_min_u32_e32 v10, 32, v10
	s_delay_alu instid0(VALU_DEP_1) | instskip(SKIP_1) | instid1(VALU_DEP_2)
	v_subrev_nc_u32_e32 v78, 28, v10
	v_sub_nc_u32_e32 v10, 29, v10
	v_cndmask_b32_e32 v14, 0, v78, vcc_lo
	s_delay_alu instid0(VALU_DEP_2) | instskip(NEXT) | instid1(VALU_DEP_2)
	v_cndmask_b32_e32 v10, v15, v10, vcc_lo
	v_lshlrev_b64_e32 v[14:15], v14, v[64:65]
	v_lshlrev_b32_e32 v15, 24, v64
	s_delay_alu instid0(VALU_DEP_3) | instskip(NEXT) | instid1(VALU_DEP_2)
	v_lshl_add_u32 v10, v10, 23, 0x3c000000
	v_and_b32_e32 v15, 0x80000000, v15
	s_delay_alu instid0(VALU_DEP_4) | instskip(NEXT) | instid1(VALU_DEP_1)
	v_lshlrev_b32_e32 v14, 20, v14
	v_and_b32_e32 v14, 0x700000, v14
	s_delay_alu instid0(VALU_DEP_1)
	v_or3_b32 v10, v14, v15, v10
.LBB4_1000:                             ;   in Loop: Header=BB4_128 Depth=2
	s_or_b32 exec_lo, exec_lo, s28
.LBB4_1001:                             ;   in Loop: Header=BB4_128 Depth=2
	s_delay_alu instid0(SALU_CYCLE_1)
	s_or_b32 exec_lo, exec_lo, s27
.LBB4_1002:                             ;   in Loop: Header=BB4_128 Depth=2
	s_delay_alu instid0(SALU_CYCLE_1) | instskip(SKIP_2) | instid1(VALU_DEP_1)
	s_or_b32 exec_lo, exec_lo, s10
	v_and_b32_e32 v14, 0xff, v13
	s_mov_b32 s10, exec_lo
	v_cmpx_ne_u16_e32 0, v14
	s_cbranch_execz .LBB4_1008
; %bb.1003:                             ;   in Loop: Header=BB4_128 Depth=2
	v_bfrev_b32_e32 v11, 1
	s_mov_b32 s27, exec_lo
	v_cmpx_ne_u16_e32 0x80, v14
	s_cbranch_execz .LBB4_1007
; %bb.1004:                             ;   in Loop: Header=BB4_128 Depth=2
	v_and_b32_e32 v14, 0x7f, v13
	v_mov_b32_e32 v11, 0x7f800001
	s_mov_b32 s28, exec_lo
	s_delay_alu instid0(VALU_DEP_2)
	v_cmpx_ne_u32_e32 0x7f, v14
	s_cbranch_execz .LBB4_1006
; %bb.1005:                             ;   in Loop: Header=BB4_128 Depth=2
	v_dual_lshrrev_b32 v78, 3, v14 :: v_dual_bitop2_b32 v11, 7, v13 bitop3:0x40
	v_cmp_gt_u32_e32 vcc_lo, 8, v14
	v_mov_b32_e32 v14, v13
	s_delay_alu instid0(VALU_DEP_3) | instskip(NEXT) | instid1(VALU_DEP_1)
	v_clz_i32_u32_e32 v11, v11
	v_min_u32_e32 v11, 32, v11
	s_delay_alu instid0(VALU_DEP_1) | instskip(SKIP_1) | instid1(VALU_DEP_2)
	v_sub_nc_u32_e32 v79, 29, v11
	v_subrev_nc_u32_e32 v11, 28, v11
	v_dual_mov_b32 v15, v65 :: v_dual_cndmask_b32 v88, v78, v79
	s_delay_alu instid0(VALU_DEP_2) | instskip(NEXT) | instid1(VALU_DEP_1)
	v_cndmask_b32_e32 v11, 0, v11, vcc_lo
	v_lshlrev_b64_e32 v[78:79], v11, v[14:15]
	v_lshlrev_b32_e32 v11, 24, v14
	s_delay_alu instid0(VALU_DEP_4) | instskip(NEXT) | instid1(VALU_DEP_2)
	v_lshl_add_u32 v15, v88, 23, 0x3c000000
	v_and_b32_e32 v11, 0x80000000, v11
	s_delay_alu instid0(VALU_DEP_4) | instskip(NEXT) | instid1(VALU_DEP_1)
	v_lshlrev_b32_e32 v14, 20, v78
	v_and_b32_e32 v14, 0x700000, v14
	s_delay_alu instid0(VALU_DEP_1)
	v_or3_b32 v11, v14, v11, v15
.LBB4_1006:                             ;   in Loop: Header=BB4_128 Depth=2
	s_or_b32 exec_lo, exec_lo, s28
.LBB4_1007:                             ;   in Loop: Header=BB4_128 Depth=2
	s_delay_alu instid0(SALU_CYCLE_1)
	s_or_b32 exec_lo, exec_lo, s27
.LBB4_1008:                             ;   in Loop: Header=BB4_128 Depth=2
	s_delay_alu instid0(SALU_CYCLE_1) | instskip(NEXT) | instid1(VALU_DEP_1)
	s_or_b32 exec_lo, exec_lo, s10
	v_dual_mul_f32 v10, v10, v11 :: v_dual_mov_b32 v15, v65
                                        ; implicit-def: $vgpr78
	s_mov_b32 s10, exec_lo
	s_delay_alu instid0(VALU_DEP_1) | instskip(SKIP_1) | instid1(VALU_DEP_2)
	v_and_b32_e32 v14, 0x7f800000, v10
	v_lshrrev_b32_e32 v11, 24, v10
	v_cmpx_ne_u64_e32 0x7f800000, v[14:15]
	s_xor_b32 s27, exec_lo, s10
	s_cbranch_execz .LBB4_1022
; %bb.1009:                             ;   in Loop: Header=BB4_128 Depth=2
	v_and_b32_e32 v14, 0x7fffffff, v10
	v_mov_b32_e32 v15, v65
	v_and_b32_e32 v79, 0x80, v11
                                        ; implicit-def: $vgpr78
	s_mov_b32 s10, exec_lo
	s_delay_alu instid0(VALU_DEP_2)
	v_cmpx_gt_u64_e32 0x43e00001, v[14:15]
	s_xor_b32 s28, exec_lo, s10
	s_cbranch_execz .LBB4_1019
; %bb.1010:                             ;   in Loop: Header=BB4_128 Depth=2
	v_mov_b32_e32 v78, 0
	s_mov_b32 s29, exec_lo
	v_cmpx_ne_u32_e32 0, v10
	s_cbranch_execz .LBB4_1018
; %bb.1011:                             ;   in Loop: Header=BB4_128 Depth=2
	v_bfe_u32 v78, v10, 23, 8
	v_and_b32_e32 v14, 0x7fffff, v10
	s_mov_b32 s40, exec_lo
	s_delay_alu instid0(VALU_DEP_2) | instskip(SKIP_1) | instid1(VALU_DEP_3)
	v_sub_nc_u32_e32 v11, 0x79, v78
	v_cmp_gt_u32_e32 vcc_lo, 0x7a, v78
	v_or_b32_e32 v15, 0x800000, v14
	s_delay_alu instid0(VALU_DEP_3) | instskip(SKIP_1) | instid1(VALU_DEP_2)
	v_cndmask_b32_e32 v11, 0, v11, vcc_lo
	v_cmp_eq_u32_e32 vcc_lo, 0, v78
	v_cndmask_b32_e64 v88, v11, 0x78, vcc_lo
	s_delay_alu instid0(VALU_DEP_4) | instskip(NEXT) | instid1(VALU_DEP_2)
	v_dual_cndmask_b32 v14, v15, v14 :: v_dual_mov_b32 v15, v65
	v_dual_add_nc_u32 v10, 20, v88 :: v_dual_add_nc_u32 v89, 19, v88
	s_delay_alu instid0(VALU_DEP_1) | instskip(NEXT) | instid1(VALU_DEP_2)
	v_lshlrev_b64_e64 v[10:11], v10, -1
	v_lshlrev_b64_e64 v[90:91], v89, 1
	s_delay_alu instid0(VALU_DEP_2) | instskip(NEXT) | instid1(VALU_DEP_3)
	v_bfi_b32 v93, v11, 0, 0
	v_bfi_b32 v92, v10, 0, v14
	v_lshrrev_b64 v[10:11], v88, v[14:15]
	s_delay_alu instid0(VALU_DEP_1) | instskip(NEXT) | instid1(VALU_DEP_3)
	v_mov_b64_e32 v[14:15], v[10:11]
	v_cmpx_eq_u64_e64 v[92:93], v[90:91]
; %bb.1012:                             ;   in Loop: Header=BB4_128 Depth=2
	v_bfe_u32 v14, v10, 20, 1
	v_mov_b32_e32 v15, v65
	s_delay_alu instid0(VALU_DEP_1) | instskip(NEXT) | instid1(VALU_DEP_1)
	v_add_nc_u64_e32 v[14:15], v[10:11], v[14:15]
	v_add_nc_u64_e32 v[14:15], -1, v[14:15]
; %bb.1013:                             ;   in Loop: Header=BB4_128 Depth=2
	s_or_b32 exec_lo, exec_lo, s40
	v_add_nc_u32_e32 v11, 0xffffff81, v78
	v_lshrrev_b32_e32 v15, 23, v10
	s_mov_b32 s10, exec_lo
	s_delay_alu instid0(VALU_DEP_2) | instskip(NEXT) | instid1(VALU_DEP_1)
	v_cndmask_b32_e64 v11, v11, 0xffffff82, vcc_lo
	v_add3_u32 v15, v88, v11, v15
	v_and_b32_e32 v11, 0xfffff, v14
                                        ; implicit-def: $vgpr14
	s_delay_alu instid0(VALU_DEP_1) | instskip(SKIP_1) | instid1(VALU_DEP_2)
	v_dual_add_nc_u32 v78, 6, v15 :: v_dual_add_nc_u32 v10, v11, v10
	v_mov_b32_e32 v11, v65
	v_cmpx_ne_u32_e32 0, v78
	s_xor_b32 s10, exec_lo, s10
; %bb.1014:                             ;   in Loop: Header=BB4_128 Depth=2
	s_delay_alu instid0(VALU_DEP_2) | instskip(SKIP_2) | instid1(VALU_DEP_2)
	v_cmp_lt_u64_e32 vcc_lo, 0xffffff, v[10:11]
	v_add_nc_u32_e32 v14, 7, v15
	v_cndmask_b32_e64 v15, 0, 1, vcc_lo
	v_cndmask_b32_e32 v14, v78, v14, vcc_lo
	s_delay_alu instid0(VALU_DEP_2)
	v_lshrrev_b64 v[10:11], v15, v[10:11]
; %bb.1015:                             ;   in Loop: Header=BB4_128 Depth=2
	s_and_not1_saveexec_b32 s10, s10
; %bb.1016:                             ;   in Loop: Header=BB4_128 Depth=2
	s_delay_alu instid0(VALU_DEP_1)
	v_bfe_u32 v14, v10, 23, 1
; %bb.1017:                             ;   in Loop: Header=BB4_128 Depth=2
	s_or_b32 exec_lo, exec_lo, s10
	s_delay_alu instid0(VALU_DEP_2) | instskip(NEXT) | instid1(VALU_DEP_2)
	v_lshrrev_b64 v[10:11], 20, v[10:11]
	v_cmp_gt_i32_e32 vcc_lo, 16, v14
	v_min_i32_e32 v15, 15, v14
	v_cmp_eq_u32_e64 s10, 0, v14
	s_delay_alu instid0(VALU_DEP_4) | instskip(NEXT) | instid1(VALU_DEP_3)
	v_cndmask_b32_e32 v11, 0, v11, vcc_lo
	v_dual_cndmask_b32 v10, 7, v10 :: v_dual_lshlrev_b32 v15, 3, v15
	s_delay_alu instid0(VALU_DEP_1) | instskip(NEXT) | instid1(VALU_DEP_2)
	v_and_b32_e32 v15, 0xf8, v15
	v_cmp_eq_u64_e32 vcc_lo, 0, v[10:11]
	s_delay_alu instid0(VALU_DEP_2)
	v_and_or_b32 v10, v10, 7, v15
	s_and_b32 s10, s10, vcc_lo
	s_delay_alu instid0(VALU_DEP_1) | instid1(SALU_CYCLE_1)
	v_cndmask_b32_e64 v10, v10, 0, s10
	s_delay_alu instid0(VALU_DEP_1)
	v_or_b32_e32 v78, v10, v79
.LBB4_1018:                             ;   in Loop: Header=BB4_128 Depth=2
	s_or_b32 exec_lo, exec_lo, s29
                                        ; implicit-def: $vgpr79
.LBB4_1019:                             ;   in Loop: Header=BB4_128 Depth=2
	s_and_not1_saveexec_b32 s10, s28
; %bb.1020:                             ;   in Loop: Header=BB4_128 Depth=2
	v_or_b32_e32 v78, 0x7e, v79
; %bb.1021:                             ;   in Loop: Header=BB4_128 Depth=2
	s_or_b32 exec_lo, exec_lo, s10
                                        ; implicit-def: $vgpr11
.LBB4_1022:                             ;   in Loop: Header=BB4_128 Depth=2
	s_and_not1_saveexec_b32 s10, s27
; %bb.1023:                             ;   in Loop: Header=BB4_128 Depth=2
	v_or_b32_e32 v78, 0x7f, v11
; %bb.1024:                             ;   in Loop: Header=BB4_128 Depth=2
	s_or_b32 exec_lo, exec_lo, s10
	v_lshrrev_b16 v11, 8, v64
	v_dual_mov_b32 v14, 0 :: v_dual_mov_b32 v10, 0
	s_mov_b32 s10, exec_lo
	s_delay_alu instid0(VALU_DEP_2)
	v_cmpx_ne_u16_e32 0, v11
	s_cbranch_execz .LBB4_1032
; %bb.1025:                             ;   in Loop: Header=BB4_128 Depth=2
	v_bfrev_b32_e32 v10, 1
	s_mov_b32 s27, exec_lo
	v_cmpx_ne_u16_e32 0x80, v11
	s_cbranch_execz .LBB4_1031
; %bb.1026:                             ;   in Loop: Header=BB4_128 Depth=2
	v_and_b32_e32 v11, 0xffff, v11
	v_mov_b32_e32 v10, 0x7f800001
	s_mov_b32 s28, exec_lo
	s_delay_alu instid0(VALU_DEP_2) | instskip(NEXT) | instid1(VALU_DEP_1)
	v_and_b32_e32 v79, 0x7f, v11
	v_cmpx_ne_u32_e32 0x7f, v79
	s_cbranch_execz .LBB4_1030
; %bb.1027:                             ;   in Loop: Header=BB4_128 Depth=2
	v_dual_mov_b32 v11, v65 :: v_dual_bitop2_b32 v10, 7, v11 bitop3:0x40
	v_lshrrev_b32_e32 v15, 3, v79
	s_mov_b32 s29, exec_lo
	v_cmpx_gt_u32_e32 8, v79
; %bb.1028:                             ;   in Loop: Header=BB4_128 Depth=2
	s_delay_alu instid0(VALU_DEP_3) | instskip(NEXT) | instid1(VALU_DEP_1)
	v_clz_i32_u32_e32 v15, v10
	v_min_u32_e32 v15, 32, v15
	s_delay_alu instid0(VALU_DEP_1) | instskip(NEXT) | instid1(VALU_DEP_1)
	v_subrev_nc_u32_e32 v79, 28, v15
	v_lshlrev_b64_e32 v[10:11], v79, v[10:11]
	s_delay_alu instid0(VALU_DEP_1)
	v_dual_sub_nc_u32 v15, 29, v15 :: v_dual_bitop2_b32 v10, 7, v10 bitop3:0x40
; %bb.1029:                             ;   in Loop: Header=BB4_128 Depth=2
	s_or_b32 exec_lo, exec_lo, s29
	s_delay_alu instid0(VALU_DEP_1) | instskip(NEXT) | instid1(VALU_DEP_2)
	v_dual_lshlrev_b32 v11, 16, v64 :: v_dual_lshlrev_b32 v10, 20, v10
	v_lshl_add_u32 v15, v15, 23, 0x3c000000
	s_delay_alu instid0(VALU_DEP_2) | instskip(NEXT) | instid1(VALU_DEP_1)
	v_and_b32_e32 v11, 0x80000000, v11
	v_or3_b32 v10, v10, v11, v15
.LBB4_1030:                             ;   in Loop: Header=BB4_128 Depth=2
	s_or_b32 exec_lo, exec_lo, s28
.LBB4_1031:                             ;   in Loop: Header=BB4_128 Depth=2
	s_delay_alu instid0(SALU_CYCLE_1)
	s_or_b32 exec_lo, exec_lo, s27
.LBB4_1032:                             ;   in Loop: Header=BB4_128 Depth=2
	s_delay_alu instid0(SALU_CYCLE_1) | instskip(SKIP_2) | instid1(VALU_DEP_1)
	s_or_b32 exec_lo, exec_lo, s10
	v_lshrrev_b16 v11, 8, v13
	s_mov_b32 s10, exec_lo
	v_cmpx_ne_u16_e32 0, v11
	s_cbranch_execz .LBB4_1040
; %bb.1033:                             ;   in Loop: Header=BB4_128 Depth=2
	v_bfrev_b32_e32 v14, 1
	s_mov_b32 s27, exec_lo
	v_cmpx_ne_u16_e32 0x80, v11
	s_cbranch_execz .LBB4_1039
; %bb.1034:                             ;   in Loop: Header=BB4_128 Depth=2
	v_and_b32_e32 v11, 0xffff, v11
	v_mov_b32_e32 v14, 0x7f800001
	s_mov_b32 s28, exec_lo
	s_delay_alu instid0(VALU_DEP_2) | instskip(NEXT) | instid1(VALU_DEP_1)
	v_and_b32_e32 v15, 0x7f, v11
	v_cmpx_ne_u32_e32 0x7f, v15
	s_cbranch_execz .LBB4_1038
; %bb.1035:                             ;   in Loop: Header=BB4_128 Depth=2
	v_and_b32_e32 v64, 7, v11
	v_lshrrev_b32_e32 v11, 3, v15
	s_mov_b32 s29, exec_lo
	v_cmpx_gt_u32_e32 8, v15
; %bb.1036:                             ;   in Loop: Header=BB4_128 Depth=2
	s_delay_alu instid0(VALU_DEP_3) | instskip(NEXT) | instid1(VALU_DEP_1)
	v_clz_i32_u32_e32 v11, v64
	v_min_u32_e32 v11, 32, v11
	s_delay_alu instid0(VALU_DEP_1) | instskip(NEXT) | instid1(VALU_DEP_1)
	v_subrev_nc_u32_e32 v14, 28, v11
	v_lshlrev_b64_e32 v[14:15], v14, v[64:65]
	s_delay_alu instid0(VALU_DEP_1)
	v_dual_sub_nc_u32 v11, 29, v11 :: v_dual_bitop2_b32 v64, 7, v14 bitop3:0x40
; %bb.1037:                             ;   in Loop: Header=BB4_128 Depth=2
	s_or_b32 exec_lo, exec_lo, s29
	s_delay_alu instid0(VALU_DEP_1) | instskip(NEXT) | instid1(VALU_DEP_2)
	v_dual_lshlrev_b32 v14, 16, v13 :: v_dual_lshlrev_b32 v15, 20, v64
	v_lshl_add_u32 v11, v11, 23, 0x3c000000
	s_delay_alu instid0(VALU_DEP_2) | instskip(NEXT) | instid1(VALU_DEP_1)
	v_and_b32_e32 v14, 0x80000000, v14
	v_or3_b32 v14, v15, v14, v11
.LBB4_1038:                             ;   in Loop: Header=BB4_128 Depth=2
	s_or_b32 exec_lo, exec_lo, s28
.LBB4_1039:                             ;   in Loop: Header=BB4_128 Depth=2
	s_delay_alu instid0(SALU_CYCLE_1)
	s_or_b32 exec_lo, exec_lo, s27
.LBB4_1040:                             ;   in Loop: Header=BB4_128 Depth=2
	s_delay_alu instid0(SALU_CYCLE_1) | instskip(NEXT) | instid1(VALU_DEP_1)
	s_or_b32 exec_lo, exec_lo, s10
	v_mul_f32_e32 v10, v10, v14
                                        ; implicit-def: $vgpr79
	s_mov_b32 s10, exec_lo
	s_delay_alu instid0(VALU_DEP_1) | instskip(SKIP_1) | instid1(VALU_DEP_2)
	v_and_b32_e32 v64, 0x7f800000, v10
	v_lshrrev_b32_e32 v11, 24, v10
	v_cmpx_ne_u64_e32 0x7f800000, v[64:65]
	s_xor_b32 s27, exec_lo, s10
	s_cbranch_execz .LBB4_1054
; %bb.1041:                             ;   in Loop: Header=BB4_128 Depth=2
	v_and_b32_e32 v64, 0x7fffffff, v10
	v_and_b32_e32 v88, 0x80, v11
                                        ; implicit-def: $vgpr79
	s_mov_b32 s10, exec_lo
	s_delay_alu instid0(VALU_DEP_2)
	v_cmpx_gt_u64_e32 0x43e00001, v[64:65]
	s_xor_b32 s28, exec_lo, s10
	s_cbranch_execz .LBB4_1051
; %bb.1042:                             ;   in Loop: Header=BB4_128 Depth=2
	v_mov_b32_e32 v79, 0
	s_mov_b32 s29, exec_lo
	v_cmpx_ne_u32_e32 0, v10
	s_cbranch_execz .LBB4_1050
; %bb.1043:                             ;   in Loop: Header=BB4_128 Depth=2
	v_bfe_u32 v79, v10, 23, 8
	v_and_b32_e32 v14, 0x7fffff, v10
	s_delay_alu instid0(VALU_DEP_2) | instskip(NEXT) | instid1(VALU_DEP_2)
	v_cmp_gt_u32_e32 vcc_lo, 0x7a, v79
	v_or_b32_e32 v15, 0x800000, v14
	v_sub_nc_u32_e32 v11, 0x79, v79
	s_delay_alu instid0(VALU_DEP_1) | instskip(SKIP_1) | instid1(VALU_DEP_2)
	v_cndmask_b32_e32 v11, 0, v11, vcc_lo
	v_cmp_eq_u32_e32 vcc_lo, 0, v79
	v_cndmask_b32_e64 v89, v11, 0x78, vcc_lo
	s_delay_alu instid0(VALU_DEP_1) | instskip(SKIP_1) | instid1(VALU_DEP_2)
	v_dual_cndmask_b32 v64, v15, v14, vcc_lo :: v_dual_add_nc_u32 v10, 20, v89
	v_add_nc_u32_e32 v90, 19, v89
	v_lshlrev_b64_e64 v[10:11], v10, -1
	s_delay_alu instid0(VALU_DEP_2) | instskip(NEXT) | instid1(VALU_DEP_2)
	v_lshlrev_b64_e64 v[14:15], v90, 1
	v_bfi_b32 v91, v11, 0, 0
	s_delay_alu instid0(VALU_DEP_3) | instskip(SKIP_1) | instid1(VALU_DEP_2)
	v_bfi_b32 v90, v10, 0, v64
	v_lshrrev_b64 v[10:11], v89, v[64:65]
	v_cmp_eq_u64_e64 s10, v[90:91], v[14:15]
	s_delay_alu instid0(VALU_DEP_2)
	v_mov_b64_e32 v[14:15], v[10:11]
	s_and_saveexec_b32 s40, s10
; %bb.1044:                             ;   in Loop: Header=BB4_128 Depth=2
	v_bfe_u32 v64, v10, 20, 1
	s_delay_alu instid0(VALU_DEP_1) | instskip(NEXT) | instid1(VALU_DEP_1)
	v_add_nc_u64_e32 v[14:15], v[10:11], v[64:65]
	v_add_nc_u64_e32 v[14:15], -1, v[14:15]
; %bb.1045:                             ;   in Loop: Header=BB4_128 Depth=2
	s_or_b32 exec_lo, exec_lo, s40
	v_add_nc_u32_e32 v11, 0xffffff81, v79
	v_lshrrev_b32_e32 v15, 23, v10
	s_mov_b32 s10, exec_lo
	s_delay_alu instid0(VALU_DEP_2) | instskip(NEXT) | instid1(VALU_DEP_1)
	v_cndmask_b32_e64 v11, v11, 0xffffff82, vcc_lo
	v_add3_u32 v15, v89, v11, v15
	v_and_b32_e32 v11, 0xfffff, v14
                                        ; implicit-def: $vgpr14
	s_delay_alu instid0(VALU_DEP_1) | instskip(NEXT) | instid1(VALU_DEP_1)
	v_dual_add_nc_u32 v79, 6, v15 :: v_dual_add_nc_u32 v64, v11, v10
                                        ; implicit-def: $vgpr10_vgpr11
	v_cmpx_ne_u32_e32 0, v79
	s_xor_b32 s10, exec_lo, s10
; %bb.1046:                             ;   in Loop: Header=BB4_128 Depth=2
	s_delay_alu instid0(VALU_DEP_2) | instskip(SKIP_1) | instid1(VALU_DEP_1)
	v_cmp_lt_u64_e32 vcc_lo, 0xffffff, v[64:65]
	v_add_nc_u32_e32 v10, 7, v15
	v_cndmask_b32_e32 v14, v79, v10, vcc_lo
	v_cndmask_b32_e64 v10, 0, 1, vcc_lo
	s_delay_alu instid0(VALU_DEP_1)
	v_lshrrev_b64 v[10:11], v10, v[64:65]
; %bb.1047:                             ;   in Loop: Header=BB4_128 Depth=2
	s_and_not1_saveexec_b32 s10, s10
; %bb.1048:                             ;   in Loop: Header=BB4_128 Depth=2
	v_mov_b64_e32 v[10:11], v[64:65]
	v_bfe_u32 v14, v64, 23, 1
; %bb.1049:                             ;   in Loop: Header=BB4_128 Depth=2
	s_or_b32 exec_lo, exec_lo, s10
	s_delay_alu instid0(VALU_DEP_2) | instskip(NEXT) | instid1(VALU_DEP_2)
	v_lshrrev_b64 v[10:11], 20, v[10:11]
	v_cmp_gt_i32_e32 vcc_lo, 16, v14
	v_min_i32_e32 v15, 15, v14
	v_cmp_eq_u32_e64 s10, 0, v14
	s_delay_alu instid0(VALU_DEP_4) | instskip(NEXT) | instid1(VALU_DEP_3)
	v_cndmask_b32_e32 v11, 0, v11, vcc_lo
	v_dual_cndmask_b32 v10, 7, v10 :: v_dual_lshlrev_b32 v15, 3, v15
	s_delay_alu instid0(VALU_DEP_1) | instskip(NEXT) | instid1(VALU_DEP_2)
	v_and_b32_e32 v15, 0xf8, v15
	v_cmp_eq_u64_e32 vcc_lo, 0, v[10:11]
	s_delay_alu instid0(VALU_DEP_2)
	v_and_or_b32 v10, v10, 7, v15
	s_and_b32 s10, s10, vcc_lo
	s_delay_alu instid0(VALU_DEP_1) | instid1(SALU_CYCLE_1)
	v_cndmask_b32_e64 v10, v10, 0, s10
	s_delay_alu instid0(VALU_DEP_1)
	v_or_b32_e32 v79, v10, v88
.LBB4_1050:                             ;   in Loop: Header=BB4_128 Depth=2
	s_or_b32 exec_lo, exec_lo, s29
                                        ; implicit-def: $vgpr88
.LBB4_1051:                             ;   in Loop: Header=BB4_128 Depth=2
	s_and_not1_saveexec_b32 s10, s28
; %bb.1052:                             ;   in Loop: Header=BB4_128 Depth=2
	v_or_b32_e32 v79, 0x7e, v88
; %bb.1053:                             ;   in Loop: Header=BB4_128 Depth=2
	s_or_b32 exec_lo, exec_lo, s10
                                        ; implicit-def: $vgpr11
.LBB4_1054:                             ;   in Loop: Header=BB4_128 Depth=2
	s_and_not1_saveexec_b32 s10, s27
; %bb.1055:                             ;   in Loop: Header=BB4_128 Depth=2
	v_or_b32_e32 v79, 0x7f, v11
; %bb.1056:                             ;   in Loop: Header=BB4_128 Depth=2
	s_or_b32 exec_lo, exec_lo, s10
	v_dual_lshrrev_b32 v14, 16, v17 :: v_dual_mov_b32 v10, 0
	v_mov_b32_e32 v11, 0
	s_mov_b32 s10, exec_lo
	s_delay_alu instid0(VALU_DEP_2) | instskip(NEXT) | instid1(VALU_DEP_1)
	v_and_b32_e32 v15, 0xff, v14
	v_cmpx_ne_u16_e32 0, v15
	s_cbranch_execz .LBB4_1064
; %bb.1057:                             ;   in Loop: Header=BB4_128 Depth=2
	v_bfrev_b32_e32 v11, 1
	s_mov_b32 s27, exec_lo
	v_cmpx_ne_u16_e32 0x80, v15
	s_cbranch_execz .LBB4_1063
; %bb.1058:                             ;   in Loop: Header=BB4_128 Depth=2
	v_bfe_u32 v15, v17, 16, 7
	v_mov_b32_e32 v11, 0x7f800001
	s_mov_b32 s28, exec_lo
	s_delay_alu instid0(VALU_DEP_2)
	v_cmpx_ne_u32_e32 0x7f, v15
	s_cbranch_execz .LBB4_1062
; %bb.1059:                             ;   in Loop: Header=BB4_128 Depth=2
	v_dual_lshrrev_b32 v11, 3, v15 :: v_dual_bitop2_b32 v64, 7, v14 bitop3:0x40
	s_mov_b32 s29, exec_lo
	v_cmpx_gt_u32_e32 8, v15
; %bb.1060:                             ;   in Loop: Header=BB4_128 Depth=2
	s_delay_alu instid0(VALU_DEP_2) | instskip(NEXT) | instid1(VALU_DEP_1)
	v_clz_i32_u32_e32 v11, v64
	v_min_u32_e32 v11, 32, v11
	s_delay_alu instid0(VALU_DEP_1) | instskip(NEXT) | instid1(VALU_DEP_1)
	v_subrev_nc_u32_e32 v15, 28, v11
	v_lshlrev_b64_e32 v[88:89], v15, v[64:65]
	s_delay_alu instid0(VALU_DEP_1)
	v_dual_sub_nc_u32 v11, 29, v11 :: v_dual_bitop2_b32 v64, 7, v88 bitop3:0x40
; %bb.1061:                             ;   in Loop: Header=BB4_128 Depth=2
	s_or_b32 exec_lo, exec_lo, s29
	s_delay_alu instid0(VALU_DEP_1) | instskip(NEXT) | instid1(VALU_DEP_2)
	v_dual_lshlrev_b32 v14, 24, v14 :: v_dual_lshlrev_b32 v15, 20, v64
	v_lshl_add_u32 v11, v11, 23, 0x3c000000
	s_delay_alu instid0(VALU_DEP_2) | instskip(NEXT) | instid1(VALU_DEP_1)
	v_and_b32_e32 v14, 0x80000000, v14
	v_or3_b32 v11, v15, v14, v11
.LBB4_1062:                             ;   in Loop: Header=BB4_128 Depth=2
	s_or_b32 exec_lo, exec_lo, s28
.LBB4_1063:                             ;   in Loop: Header=BB4_128 Depth=2
	s_delay_alu instid0(SALU_CYCLE_1)
	s_or_b32 exec_lo, exec_lo, s27
.LBB4_1064:                             ;   in Loop: Header=BB4_128 Depth=2
	s_delay_alu instid0(SALU_CYCLE_1) | instskip(SKIP_2) | instid1(VALU_DEP_1)
	s_or_b32 exec_lo, exec_lo, s10
	v_lshrrev_b32_e32 v14, 16, v13
	s_mov_b32 s10, exec_lo
	v_and_b32_e32 v15, 0xff, v14
	s_delay_alu instid0(VALU_DEP_1)
	v_cmpx_ne_u16_e32 0, v15
	s_cbranch_execz .LBB4_1072
; %bb.1065:                             ;   in Loop: Header=BB4_128 Depth=2
	v_bfrev_b32_e32 v10, 1
	s_mov_b32 s27, exec_lo
	v_cmpx_ne_u16_e32 0x80, v15
	s_cbranch_execz .LBB4_1071
; %bb.1066:                             ;   in Loop: Header=BB4_128 Depth=2
	v_bfe_u32 v15, v13, 16, 7
	v_mov_b32_e32 v10, 0x7f800001
	s_mov_b32 s28, exec_lo
	s_delay_alu instid0(VALU_DEP_2)
	v_cmpx_ne_u32_e32 0x7f, v15
	s_cbranch_execz .LBB4_1070
; %bb.1067:                             ;   in Loop: Header=BB4_128 Depth=2
	v_dual_lshrrev_b32 v10, 3, v15 :: v_dual_bitop2_b32 v64, 7, v14 bitop3:0x40
	s_mov_b32 s29, exec_lo
	v_cmpx_gt_u32_e32 8, v15
; %bb.1068:                             ;   in Loop: Header=BB4_128 Depth=2
	s_delay_alu instid0(VALU_DEP_2) | instskip(NEXT) | instid1(VALU_DEP_1)
	v_clz_i32_u32_e32 v10, v64
	v_min_u32_e32 v10, 32, v10
	s_delay_alu instid0(VALU_DEP_1) | instskip(SKIP_1) | instid1(VALU_DEP_2)
	v_subrev_nc_u32_e32 v14, 28, v10
	v_sub_nc_u32_e32 v10, 29, v10
	v_lshlrev_b64_e32 v[14:15], v14, v[64:65]
	s_delay_alu instid0(VALU_DEP_1)
	v_and_b32_e32 v64, 7, v14
; %bb.1069:                             ;   in Loop: Header=BB4_128 Depth=2
	s_or_b32 exec_lo, exec_lo, s29
	s_delay_alu instid0(VALU_DEP_1) | instskip(SKIP_1) | instid1(VALU_DEP_2)
	v_dual_lshlrev_b32 v14, 8, v13 :: v_dual_lshlrev_b32 v15, 20, v64
	v_lshl_add_u32 v10, v10, 23, 0x3c000000
	v_and_b32_e32 v14, 0x80000000, v14
	s_delay_alu instid0(VALU_DEP_1)
	v_or3_b32 v10, v15, v14, v10
.LBB4_1070:                             ;   in Loop: Header=BB4_128 Depth=2
	s_or_b32 exec_lo, exec_lo, s28
.LBB4_1071:                             ;   in Loop: Header=BB4_128 Depth=2
	s_delay_alu instid0(SALU_CYCLE_1)
	s_or_b32 exec_lo, exec_lo, s27
.LBB4_1072:                             ;   in Loop: Header=BB4_128 Depth=2
	s_delay_alu instid0(SALU_CYCLE_1) | instskip(NEXT) | instid1(VALU_DEP_1)
	s_or_b32 exec_lo, exec_lo, s10
	v_mul_f32_e32 v10, v11, v10
                                        ; implicit-def: $vgpr14
	s_mov_b32 s10, exec_lo
	s_delay_alu instid0(VALU_DEP_1) | instskip(SKIP_1) | instid1(VALU_DEP_2)
	v_and_b32_e32 v64, 0x7f800000, v10
	v_lshrrev_b32_e32 v11, 24, v10
	v_cmpx_ne_u64_e32 0x7f800000, v[64:65]
	s_xor_b32 s27, exec_lo, s10
	s_cbranch_execz .LBB4_1086
; %bb.1073:                             ;   in Loop: Header=BB4_128 Depth=2
	v_and_b32_e32 v64, 0x7fffffff, v10
	v_and_b32_e32 v88, 0x80, v11
                                        ; implicit-def: $vgpr14
	s_mov_b32 s10, exec_lo
	s_delay_alu instid0(VALU_DEP_2)
	v_cmpx_gt_u64_e32 0x43e00001, v[64:65]
	s_xor_b32 s28, exec_lo, s10
	s_cbranch_execz .LBB4_1083
; %bb.1074:                             ;   in Loop: Header=BB4_128 Depth=2
	v_mov_b32_e32 v14, 0
	s_mov_b32 s29, exec_lo
	v_cmpx_ne_u32_e32 0, v10
	s_cbranch_execz .LBB4_1082
; %bb.1075:                             ;   in Loop: Header=BB4_128 Depth=2
	v_bfe_u32 v89, v10, 23, 8
	v_and_b32_e32 v14, 0x7fffff, v10
	s_delay_alu instid0(VALU_DEP_2) | instskip(NEXT) | instid1(VALU_DEP_2)
	v_cmp_gt_u32_e32 vcc_lo, 0x7a, v89
	v_or_b32_e32 v15, 0x800000, v14
	v_sub_nc_u32_e32 v11, 0x79, v89
	s_delay_alu instid0(VALU_DEP_1) | instskip(SKIP_1) | instid1(VALU_DEP_2)
	v_cndmask_b32_e32 v11, 0, v11, vcc_lo
	v_cmp_eq_u32_e32 vcc_lo, 0, v89
	v_cndmask_b32_e64 v90, v11, 0x78, vcc_lo
	v_cndmask_b32_e32 v64, v15, v14, vcc_lo
	s_delay_alu instid0(VALU_DEP_2) | instskip(NEXT) | instid1(VALU_DEP_1)
	v_dual_add_nc_u32 v10, 20, v90 :: v_dual_add_nc_u32 v91, 19, v90
	v_lshlrev_b64_e64 v[10:11], v10, -1
	s_delay_alu instid0(VALU_DEP_2) | instskip(NEXT) | instid1(VALU_DEP_2)
	v_lshlrev_b64_e64 v[14:15], v91, 1
	v_bfi_b32 v93, v11, 0, 0
	s_delay_alu instid0(VALU_DEP_3) | instskip(SKIP_1) | instid1(VALU_DEP_2)
	v_bfi_b32 v92, v10, 0, v64
	v_lshrrev_b64 v[10:11], v90, v[64:65]
	v_cmp_eq_u64_e64 s10, v[92:93], v[14:15]
	s_delay_alu instid0(VALU_DEP_2)
	v_mov_b64_e32 v[14:15], v[10:11]
	s_and_saveexec_b32 s40, s10
; %bb.1076:                             ;   in Loop: Header=BB4_128 Depth=2
	v_bfe_u32 v64, v10, 20, 1
	s_delay_alu instid0(VALU_DEP_1) | instskip(NEXT) | instid1(VALU_DEP_1)
	v_add_nc_u64_e32 v[14:15], v[10:11], v[64:65]
	v_add_nc_u64_e32 v[14:15], -1, v[14:15]
; %bb.1077:                             ;   in Loop: Header=BB4_128 Depth=2
	s_or_b32 exec_lo, exec_lo, s40
	v_add_nc_u32_e32 v11, 0xffffff81, v89
	v_lshrrev_b32_e32 v15, 23, v10
	s_mov_b32 s10, exec_lo
	s_delay_alu instid0(VALU_DEP_2) | instskip(NEXT) | instid1(VALU_DEP_1)
	v_cndmask_b32_e64 v11, v11, 0xffffff82, vcc_lo
	v_add3_u32 v15, v90, v11, v15
	v_and_b32_e32 v11, 0xfffff, v14
                                        ; implicit-def: $vgpr14
	s_delay_alu instid0(VALU_DEP_1) | instskip(NEXT) | instid1(VALU_DEP_1)
	v_dual_add_nc_u32 v89, 6, v15 :: v_dual_add_nc_u32 v64, v11, v10
                                        ; implicit-def: $vgpr10_vgpr11
	v_cmpx_ne_u32_e32 0, v89
	s_xor_b32 s10, exec_lo, s10
; %bb.1078:                             ;   in Loop: Header=BB4_128 Depth=2
	s_delay_alu instid0(VALU_DEP_2) | instskip(SKIP_1) | instid1(VALU_DEP_1)
	v_cmp_lt_u64_e32 vcc_lo, 0xffffff, v[64:65]
	v_add_nc_u32_e32 v10, 7, v15
	v_cndmask_b32_e32 v14, v89, v10, vcc_lo
	v_cndmask_b32_e64 v10, 0, 1, vcc_lo
	s_delay_alu instid0(VALU_DEP_1)
	v_lshrrev_b64 v[10:11], v10, v[64:65]
; %bb.1079:                             ;   in Loop: Header=BB4_128 Depth=2
	s_and_not1_saveexec_b32 s10, s10
; %bb.1080:                             ;   in Loop: Header=BB4_128 Depth=2
	v_mov_b64_e32 v[10:11], v[64:65]
	v_bfe_u32 v14, v64, 23, 1
; %bb.1081:                             ;   in Loop: Header=BB4_128 Depth=2
	s_or_b32 exec_lo, exec_lo, s10
	s_delay_alu instid0(VALU_DEP_2) | instskip(NEXT) | instid1(VALU_DEP_2)
	v_lshrrev_b64 v[10:11], 20, v[10:11]
	v_cmp_gt_i32_e32 vcc_lo, 16, v14
	v_min_i32_e32 v15, 15, v14
	v_cmp_eq_u32_e64 s10, 0, v14
	s_delay_alu instid0(VALU_DEP_4) | instskip(NEXT) | instid1(VALU_DEP_3)
	v_cndmask_b32_e32 v11, 0, v11, vcc_lo
	v_dual_cndmask_b32 v10, 7, v10 :: v_dual_lshlrev_b32 v15, 3, v15
	s_delay_alu instid0(VALU_DEP_1) | instskip(NEXT) | instid1(VALU_DEP_2)
	v_and_b32_e32 v15, 0xf8, v15
	v_cmp_eq_u64_e32 vcc_lo, 0, v[10:11]
	s_delay_alu instid0(VALU_DEP_2)
	v_and_or_b32 v10, v10, 7, v15
	s_and_b32 s10, s10, vcc_lo
	s_delay_alu instid0(VALU_DEP_1) | instid1(SALU_CYCLE_1)
	v_cndmask_b32_e64 v10, v10, 0, s10
	s_delay_alu instid0(VALU_DEP_1)
	v_or_b32_e32 v14, v10, v88
.LBB4_1082:                             ;   in Loop: Header=BB4_128 Depth=2
	s_or_b32 exec_lo, exec_lo, s29
                                        ; implicit-def: $vgpr88
.LBB4_1083:                             ;   in Loop: Header=BB4_128 Depth=2
	s_and_not1_saveexec_b32 s10, s28
; %bb.1084:                             ;   in Loop: Header=BB4_128 Depth=2
	v_or_b32_e32 v14, 0x7e, v88
; %bb.1085:                             ;   in Loop: Header=BB4_128 Depth=2
	s_or_b32 exec_lo, exec_lo, s10
                                        ; implicit-def: $vgpr11
.LBB4_1086:                             ;   in Loop: Header=BB4_128 Depth=2
	s_and_not1_saveexec_b32 s10, s27
; %bb.1087:                             ;   in Loop: Header=BB4_128 Depth=2
	v_or_b32_e32 v14, 0x7f, v11
; %bb.1088:                             ;   in Loop: Header=BB4_128 Depth=2
	s_or_b32 exec_lo, exec_lo, s10
	v_dual_mov_b32 v10, 0 :: v_dual_mov_b32 v11, 0
	s_mov_b32 s10, exec_lo
	v_cmpx_lt_u64_e64 s[14:15], v[16:17]
	s_cbranch_execz .LBB4_1096
; %bb.1089:                             ;   in Loop: Header=BB4_128 Depth=2
	v_lshrrev_b32_e32 v15, 24, v17
	v_bfrev_b32_e32 v11, 1
	s_mov_b32 s27, exec_lo
	s_delay_alu instid0(VALU_DEP_2)
	v_cmpx_ne_u32_e32 0x80, v15
	s_cbranch_execz .LBB4_1095
; %bb.1090:                             ;   in Loop: Header=BB4_128 Depth=2
	v_bfe_u32 v16, v17, 24, 7
	v_mov_b32_e32 v11, 0x7f800001
	s_mov_b32 s28, exec_lo
	s_delay_alu instid0(VALU_DEP_2)
	v_cmpx_ne_u32_e32 0x7f, v16
	s_cbranch_execz .LBB4_1094
; %bb.1091:                             ;   in Loop: Header=BB4_128 Depth=2
	v_dual_lshrrev_b32 v11, 3, v16 :: v_dual_bitop2_b32 v64, 7, v15 bitop3:0x40
	s_mov_b32 s29, exec_lo
	v_cmpx_gt_u32_e32 8, v16
; %bb.1092:                             ;   in Loop: Header=BB4_128 Depth=2
	s_delay_alu instid0(VALU_DEP_2) | instskip(NEXT) | instid1(VALU_DEP_1)
	v_clz_i32_u32_e32 v11, v64
	v_min_u32_e32 v11, 32, v11
	s_delay_alu instid0(VALU_DEP_1) | instskip(NEXT) | instid1(VALU_DEP_1)
	v_subrev_nc_u32_e32 v16, 28, v11
	v_lshlrev_b64_e32 v[16:17], v16, v[64:65]
	s_delay_alu instid0(VALU_DEP_1)
	v_dual_sub_nc_u32 v11, 29, v11 :: v_dual_bitop2_b32 v64, 7, v16 bitop3:0x40
; %bb.1093:                             ;   in Loop: Header=BB4_128 Depth=2
	s_or_b32 exec_lo, exec_lo, s29
	s_delay_alu instid0(VALU_DEP_1) | instskip(NEXT) | instid1(VALU_DEP_2)
	v_dual_lshlrev_b32 v15, 24, v15 :: v_dual_lshlrev_b32 v16, 20, v64
	v_lshl_add_u32 v11, v11, 23, 0x3c000000
	s_delay_alu instid0(VALU_DEP_2) | instskip(NEXT) | instid1(VALU_DEP_1)
	v_and_b32_e32 v15, 0x80000000, v15
	v_or3_b32 v11, v16, v15, v11
.LBB4_1094:                             ;   in Loop: Header=BB4_128 Depth=2
	s_or_b32 exec_lo, exec_lo, s28
.LBB4_1095:                             ;   in Loop: Header=BB4_128 Depth=2
	s_delay_alu instid0(SALU_CYCLE_1)
	s_or_b32 exec_lo, exec_lo, s27
.LBB4_1096:                             ;   in Loop: Header=BB4_128 Depth=2
	s_delay_alu instid0(SALU_CYCLE_1) | instskip(NEXT) | instid1(SALU_CYCLE_1)
	s_or_b32 exec_lo, exec_lo, s10
	s_mov_b32 s10, exec_lo
	v_cmpx_lt_u64_e64 s[14:15], v[12:13]
	s_cbranch_execz .LBB4_1104
; %bb.1097:                             ;   in Loop: Header=BB4_128 Depth=2
	v_lshrrev_b32_e32 v12, 24, v13
	v_bfrev_b32_e32 v10, 1
	s_mov_b32 s27, exec_lo
	s_delay_alu instid0(VALU_DEP_2)
	v_cmpx_ne_u32_e32 0x80, v12
	s_cbranch_execz .LBB4_1103
; %bb.1098:                             ;   in Loop: Header=BB4_128 Depth=2
	v_bfe_u32 v13, v13, 24, 7
	v_mov_b32_e32 v10, 0x7f800001
	s_mov_b32 s28, exec_lo
	s_delay_alu instid0(VALU_DEP_2)
	v_cmpx_ne_u32_e32 0x7f, v13
	s_cbranch_execz .LBB4_1102
; %bb.1099:                             ;   in Loop: Header=BB4_128 Depth=2
	v_dual_lshrrev_b32 v10, 3, v13 :: v_dual_bitop2_b32 v64, 7, v12 bitop3:0x40
	s_mov_b32 s29, exec_lo
	v_cmpx_gt_u32_e32 8, v13
; %bb.1100:                             ;   in Loop: Header=BB4_128 Depth=2
	s_delay_alu instid0(VALU_DEP_2) | instskip(NEXT) | instid1(VALU_DEP_1)
	v_clz_i32_u32_e32 v10, v64
	v_min_u32_e32 v10, 32, v10
	s_delay_alu instid0(VALU_DEP_1) | instskip(NEXT) | instid1(VALU_DEP_1)
	v_subrev_nc_u32_e32 v13, 28, v10
	v_lshlrev_b64_e32 v[16:17], v13, v[64:65]
	s_delay_alu instid0(VALU_DEP_1)
	v_dual_sub_nc_u32 v10, 29, v10 :: v_dual_bitop2_b32 v64, 7, v16 bitop3:0x40
; %bb.1101:                             ;   in Loop: Header=BB4_128 Depth=2
	s_or_b32 exec_lo, exec_lo, s29
	v_lshlrev_b32_e32 v12, 24, v12
	s_delay_alu instid0(VALU_DEP_2) | instskip(NEXT) | instid1(VALU_DEP_3)
	v_lshlrev_b32_e32 v13, 20, v64
	v_lshl_add_u32 v10, v10, 23, 0x3c000000
	s_delay_alu instid0(VALU_DEP_3) | instskip(NEXT) | instid1(VALU_DEP_1)
	v_and_b32_e32 v12, 0x80000000, v12
	v_or3_b32 v10, v13, v12, v10
.LBB4_1102:                             ;   in Loop: Header=BB4_128 Depth=2
	s_or_b32 exec_lo, exec_lo, s28
.LBB4_1103:                             ;   in Loop: Header=BB4_128 Depth=2
	s_delay_alu instid0(SALU_CYCLE_1)
	s_or_b32 exec_lo, exec_lo, s27
.LBB4_1104:                             ;   in Loop: Header=BB4_128 Depth=2
	s_delay_alu instid0(SALU_CYCLE_1) | instskip(NEXT) | instid1(VALU_DEP_1)
	s_or_b32 exec_lo, exec_lo, s10
	v_mul_f32_e32 v11, v11, v10
                                        ; implicit-def: $vgpr10
	s_mov_b32 s10, exec_lo
	s_delay_alu instid0(VALU_DEP_1) | instskip(SKIP_1) | instid1(VALU_DEP_2)
	v_and_b32_e32 v64, 0x7f800000, v11
	v_lshrrev_b32_e32 v12, 24, v11
	v_cmpx_ne_u64_e32 0x7f800000, v[64:65]
	s_xor_b32 s27, exec_lo, s10
	s_cbranch_execz .LBB4_1118
; %bb.1105:                             ;   in Loop: Header=BB4_128 Depth=2
	v_and_b32_e32 v64, 0x7fffffff, v11
	v_and_b32_e32 v15, 0x80, v12
                                        ; implicit-def: $vgpr10
	s_mov_b32 s10, exec_lo
	s_delay_alu instid0(VALU_DEP_2)
	v_cmpx_gt_u64_e32 0x43e00001, v[64:65]
	s_xor_b32 s28, exec_lo, s10
	s_cbranch_execz .LBB4_1115
; %bb.1106:                             ;   in Loop: Header=BB4_128 Depth=2
	v_mov_b32_e32 v10, 0
	s_mov_b32 s29, exec_lo
	v_cmpx_ne_u32_e32 0, v11
	s_cbranch_execz .LBB4_1114
; %bb.1107:                             ;   in Loop: Header=BB4_128 Depth=2
	v_bfe_u32 v16, v11, 23, 8
	v_and_b32_e32 v12, 0x7fffff, v11
	s_delay_alu instid0(VALU_DEP_2) | instskip(SKIP_1) | instid1(VALU_DEP_3)
	v_sub_nc_u32_e32 v10, 0x79, v16
	v_cmp_gt_u32_e32 vcc_lo, 0x7a, v16
	v_or_b32_e32 v13, 0x800000, v12
	s_delay_alu instid0(VALU_DEP_3) | instskip(SKIP_1) | instid1(VALU_DEP_2)
	v_cndmask_b32_e32 v10, 0, v10, vcc_lo
	v_cmp_eq_u32_e32 vcc_lo, 0, v16
	v_cndmask_b32_e64 v17, v10, 0x78, vcc_lo
	s_delay_alu instid0(VALU_DEP_1) | instskip(SKIP_1) | instid1(VALU_DEP_2)
	v_dual_cndmask_b32 v64, v13, v12, vcc_lo :: v_dual_add_nc_u32 v10, 20, v17
	v_add_nc_u32_e32 v88, 19, v17
	v_lshlrev_b64_e64 v[10:11], v10, -1
	s_delay_alu instid0(VALU_DEP_2) | instskip(NEXT) | instid1(VALU_DEP_2)
	v_lshlrev_b64_e64 v[12:13], v88, 1
	v_bfi_b32 v89, v11, 0, 0
	s_delay_alu instid0(VALU_DEP_3) | instskip(SKIP_1) | instid1(VALU_DEP_2)
	v_bfi_b32 v88, v10, 0, v64
	v_lshrrev_b64 v[10:11], v17, v[64:65]
	v_cmp_eq_u64_e64 s10, v[88:89], v[12:13]
	s_delay_alu instid0(VALU_DEP_2)
	v_mov_b64_e32 v[12:13], v[10:11]
	s_and_saveexec_b32 s40, s10
; %bb.1108:                             ;   in Loop: Header=BB4_128 Depth=2
	v_bfe_u32 v64, v10, 20, 1
	s_delay_alu instid0(VALU_DEP_1) | instskip(NEXT) | instid1(VALU_DEP_1)
	v_add_nc_u64_e32 v[12:13], v[10:11], v[64:65]
	v_add_nc_u64_e32 v[12:13], -1, v[12:13]
; %bb.1109:                             ;   in Loop: Header=BB4_128 Depth=2
	s_or_b32 exec_lo, exec_lo, s40
	v_add_nc_u32_e32 v11, 0xffffff81, v16
	v_lshrrev_b32_e32 v13, 23, v10
	s_mov_b32 s10, exec_lo
	s_delay_alu instid0(VALU_DEP_2) | instskip(NEXT) | instid1(VALU_DEP_1)
	v_cndmask_b32_e64 v11, v11, 0xffffff82, vcc_lo
	v_add3_u32 v13, v17, v11, v13
	v_and_b32_e32 v11, 0xfffff, v12
                                        ; implicit-def: $vgpr12
	s_delay_alu instid0(VALU_DEP_1) | instskip(NEXT) | instid1(VALU_DEP_1)
	v_dual_add_nc_u32 v16, 6, v13 :: v_dual_add_nc_u32 v64, v11, v10
                                        ; implicit-def: $vgpr10_vgpr11
	v_cmpx_ne_u32_e32 0, v16
	s_xor_b32 s10, exec_lo, s10
; %bb.1110:                             ;   in Loop: Header=BB4_128 Depth=2
	s_delay_alu instid0(VALU_DEP_2) | instskip(SKIP_1) | instid1(VALU_DEP_1)
	v_cmp_lt_u64_e32 vcc_lo, 0xffffff, v[64:65]
	v_add_nc_u32_e32 v10, 7, v13
	v_cndmask_b32_e32 v12, v16, v10, vcc_lo
	v_cndmask_b32_e64 v10, 0, 1, vcc_lo
	s_delay_alu instid0(VALU_DEP_1)
	v_lshrrev_b64 v[10:11], v10, v[64:65]
; %bb.1111:                             ;   in Loop: Header=BB4_128 Depth=2
	s_and_not1_saveexec_b32 s10, s10
; %bb.1112:                             ;   in Loop: Header=BB4_128 Depth=2
	v_mov_b64_e32 v[10:11], v[64:65]
	v_bfe_u32 v12, v64, 23, 1
; %bb.1113:                             ;   in Loop: Header=BB4_128 Depth=2
	s_or_b32 exec_lo, exec_lo, s10
	s_delay_alu instid0(VALU_DEP_2) | instskip(NEXT) | instid1(VALU_DEP_2)
	v_lshrrev_b64 v[10:11], 20, v[10:11]
	v_cmp_gt_i32_e32 vcc_lo, 16, v12
	v_min_i32_e32 v13, 15, v12
	v_cmp_eq_u32_e64 s10, 0, v12
	s_delay_alu instid0(VALU_DEP_2) | instskip(SKIP_1) | instid1(VALU_DEP_2)
	v_dual_cndmask_b32 v11, 0, v11, vcc_lo :: v_dual_lshlrev_b32 v13, 3, v13
	v_cndmask_b32_e32 v10, 7, v10, vcc_lo
	v_and_b32_e32 v13, 0xf8, v13
	s_delay_alu instid0(VALU_DEP_2) | instskip(NEXT) | instid1(VALU_DEP_2)
	v_cmp_eq_u64_e32 vcc_lo, 0, v[10:11]
	v_and_or_b32 v10, v10, 7, v13
	s_and_b32 s10, s10, vcc_lo
	s_delay_alu instid0(VALU_DEP_1) | instid1(SALU_CYCLE_1)
	v_cndmask_b32_e64 v10, v10, 0, s10
	s_delay_alu instid0(VALU_DEP_1)
	v_or_b32_e32 v10, v10, v15
.LBB4_1114:                             ;   in Loop: Header=BB4_128 Depth=2
	s_or_b32 exec_lo, exec_lo, s29
                                        ; implicit-def: $vgpr15
.LBB4_1115:                             ;   in Loop: Header=BB4_128 Depth=2
	s_and_not1_saveexec_b32 s10, s28
; %bb.1116:                             ;   in Loop: Header=BB4_128 Depth=2
	v_or_b32_e32 v10, 0x7e, v15
; %bb.1117:                             ;   in Loop: Header=BB4_128 Depth=2
	s_or_b32 exec_lo, exec_lo, s10
                                        ; implicit-def: $vgpr12
.LBB4_1118:                             ;   in Loop: Header=BB4_128 Depth=2
	s_and_not1_saveexec_b32 s10, s27
	s_cbranch_execz .LBB4_127
; %bb.1119:                             ;   in Loop: Header=BB4_128 Depth=2
	v_or_b32_e32 v10, 0x7f, v12
	s_branch .LBB4_127
.LBB4_1120:                             ;   in Loop: Header=BB4_49 Depth=1
	s_or_b32 exec_lo, exec_lo, s12
.LBB4_1121:                             ;   in Loop: Header=BB4_49 Depth=1
	s_delay_alu instid0(SALU_CYCLE_1) | instskip(SKIP_4) | instid1(VALU_DEP_2)
	s_or_b32 exec_lo, exec_lo, s11
	v_and_b32_e32 v11, 0x3ffffc00, v87
	v_mov_b32_e32 v20, 0
	s_mov_b32 s10, 0
	s_mov_b32 s27, exec_lo
                                        ; implicit-def: $vgpr21
                                        ; implicit-def: $vgpr22
                                        ; implicit-def: $vgpr10
	v_cmpx_ne_u32_e64 v87, v11
	s_cbranch_execz .LBB4_1625
; %bb.1122:                             ;   in Loop: Header=BB4_49 Depth=1
	v_lshlrev_b32_e32 v10, 5, v97
	v_and_b32_e32 v115, 0x1ff, v87
	v_bfe_u32 v14, v87, 9, 1
	s_mov_b32 s28, exec_lo
	s_delay_alu instid0(VALU_DEP_3) | instskip(NEXT) | instid1(VALU_DEP_3)
	v_sub_nc_u32_e32 v10, v42, v10
	v_cmp_lt_u32_e32 vcc_lo, 15, v115
	s_delay_alu instid0(VALU_DEP_2) | instskip(SKIP_1) | instid1(VALU_DEP_2)
	v_ashrrev_i32_e32 v12, 31, v10
	v_add_co_ci_u32_e64 v14, null, 0, v14, vcc_lo
	v_lshrrev_b32_e32 v12, 27, v12
	s_delay_alu instid0(VALU_DEP_1) | instskip(NEXT) | instid1(VALU_DEP_1)
	v_add_nc_u32_e32 v12, v10, v12
	v_and_b32_e32 v13, 0xffffffe0, v12
	s_delay_alu instid0(VALU_DEP_1) | instskip(SKIP_1) | instid1(VALU_DEP_2)
	v_dual_ashrrev_i32 v12, 5, v12 :: v_dual_sub_nc_u32 v97, v10, v13
	v_and_b32_e32 v13, 0x3ff, v87
	v_dual_sub_nc_u32 v114, v14, v12 :: v_dual_lshlrev_b32 v10, 4, v97
	s_delay_alu instid0(VALU_DEP_1) | instskip(NEXT) | instid1(VALU_DEP_1)
	v_lshl_add_u32 v10, v12, 9, v10
	v_sub_nc_u32_e32 v116, v13, v10
	s_delay_alu instid0(VALU_DEP_1)
	v_cmpx_lt_i32_e32 15, v116
	s_cbranch_execz .LBB4_1622
; %bb.1123:                             ;   in Loop: Header=BB4_49 Depth=1
	s_trap 2
	ds_load_b64 v[12:13], v0
	v_add_nc_u32_e32 v10, v10, v11
	s_mov_b32 s29, 0
	s_delay_alu instid0(VALU_DEP_1) | instskip(NEXT) | instid1(VALU_DEP_1)
	v_ashrrev_i32_e32 v11, 31, v10
	v_add_nc_u64_e32 v[18:19], v[10:11], v[98:99]
	v_add_nc_u64_e32 v[22:23], v[10:11], v[100:101]
	s_wait_dscnt 0x0
	v_add_nc_u64_e32 v[20:21], v[12:13], v[10:11]
	s_branch .LBB4_1125
.LBB4_1124:                             ;   in Loop: Header=BB4_1125 Depth=2
	s_or_b32 exec_lo, exec_lo, s10
	v_lshl_or_b32 v11, v113, 8, v112
	v_dual_lshlrev_b32 v12, 16, v102 :: v_dual_lshlrev_b32 v13, 24, v103
	v_lshl_or_b32 v15, v118, 8, v117
	v_dual_lshlrev_b32 v16, 16, v119 :: v_dual_lshlrev_b32 v17, 24, v46
	;; [unrolled: 2-line block ×3, first 2 shown]
	v_dual_lshlrev_b32 v112, 24, v10 :: v_dual_sub_nc_u32 v116, v116, v80
	v_lshlrev_b32_e32 v14, 16, v14
	v_lshl_or_b32 v24, v25, 8, v24
	v_or3_b32 v11, v11, v12, v13
	v_or3_b32 v10, v15, v16, v17
	;; [unrolled: 1-line block ×3, first 2 shown]
	v_add_nc_u64_e32 v[18:19], v[18:19], v[80:81]
	v_or3_b32 v13, v24, v14, v112
	v_add_nc_u64_e32 v[20:21], v[20:21], v[80:81]
	v_cmp_gt_i32_e64 s10, 16, v116
	v_sub_nc_u32_e32 v114, v114, v54
	global_store_b128 v[22:23], v[10:13], off th:TH_STORE_NT
	s_wait_xcnt 0x0
	v_add_nc_u64_e32 v[22:23], v[22:23], v[80:81]
	s_or_b32 s29, s10, s29
	s_delay_alu instid0(SALU_CYCLE_1)
	s_and_not1_b32 exec_lo, exec_lo, s29
	s_cbranch_execz .LBB4_1621
.LBB4_1125:                             ;   Parent Loop BB4_49 Depth=1
                                        ; =>  This Inner Loop Header: Depth=2
	global_load_b128 v[14:17], v[18:19], off th:TH_LOAD_NT
	global_load_b128 v[10:13], v[20:21], off th:TH_LOAD_NT
	v_mov_b32_e32 v24, 0
	s_mov_b32 s11, exec_lo
	s_wait_loadcnt 0x1
	v_and_b32_e32 v25, 0xff, v14
	s_wait_xcnt 0x0
	s_delay_alu instid0(VALU_DEP_1)
	v_cmpx_ne_u16_e32 0, v25
	s_cbranch_execz .LBB4_1131
; %bb.1126:                             ;   in Loop: Header=BB4_1125 Depth=2
	v_bfrev_b32_e32 v24, 1
	s_mov_b32 s12, exec_lo
	v_cmpx_ne_u16_e32 0x80, v25
	s_cbranch_execz .LBB4_1130
; %bb.1127:                             ;   in Loop: Header=BB4_1125 Depth=2
	v_and_b32_e32 v25, 0x7f, v14
	v_mov_b32_e32 v24, 0x7f800001
	s_mov_b32 s40, exec_lo
	s_delay_alu instid0(VALU_DEP_2)
	v_cmpx_ne_u32_e32 0x7f, v25
	s_cbranch_execz .LBB4_1129
; %bb.1128:                             ;   in Loop: Header=BB4_1125 Depth=2
	v_dual_lshrrev_b32 v64, 3, v25 :: v_dual_bitop2_b32 v24, 7, v14 bitop3:0x40
	v_cmp_gt_u32_e64 s10, 8, v25
	s_delay_alu instid0(VALU_DEP_2) | instskip(NEXT) | instid1(VALU_DEP_1)
	v_clz_i32_u32_e32 v24, v24
	v_min_u32_e32 v24, 32, v24
	s_delay_alu instid0(VALU_DEP_1) | instskip(SKIP_1) | instid1(VALU_DEP_1)
	v_subrev_nc_u32_e32 v102, 28, v24
	v_sub_nc_u32_e32 v24, 29, v24
	v_dual_cndmask_b32 v64, v64, v24, s10 :: v_dual_cndmask_b32 v24, 0, v102, s10
	s_delay_alu instid0(VALU_DEP_1) | instskip(NEXT) | instid1(VALU_DEP_2)
	v_lshl_add_u32 v64, v64, 23, 0x3c000000
	v_lshlrev_b64_e32 v[24:25], v24, v[14:15]
	v_lshlrev_b32_e32 v25, 24, v14
	s_delay_alu instid0(VALU_DEP_1) | instskip(NEXT) | instid1(VALU_DEP_3)
	v_and_b32_e32 v25, 0x80000000, v25
	v_lshlrev_b32_e32 v24, 20, v24
	s_delay_alu instid0(VALU_DEP_1) | instskip(NEXT) | instid1(VALU_DEP_1)
	v_and_b32_e32 v24, 0x700000, v24
	v_or3_b32 v24, v24, v25, v64
.LBB4_1129:                             ;   in Loop: Header=BB4_1125 Depth=2
	s_or_b32 exec_lo, exec_lo, s40
.LBB4_1130:                             ;   in Loop: Header=BB4_1125 Depth=2
	s_delay_alu instid0(SALU_CYCLE_1)
	s_or_b32 exec_lo, exec_lo, s12
.LBB4_1131:                             ;   in Loop: Header=BB4_1125 Depth=2
	s_delay_alu instid0(SALU_CYCLE_1) | instskip(SKIP_4) | instid1(VALU_DEP_1)
	s_or_b32 exec_lo, exec_lo, s11
	s_wait_loadcnt 0x0
	v_and_b32_e32 v64, 0xff, v10
	s_mov_b32 s11, 0
	s_mov_b32 s12, exec_lo
	v_cmpx_lt_i16_e32 0x7f, v64
	s_xor_b32 s12, exec_lo, s12
	s_cbranch_execz .LBB4_1166
; %bb.1132:                             ;   in Loop: Header=BB4_1125 Depth=2
	s_mov_b32 s11, -1
	s_mov_b32 s40, exec_lo
	v_cmpx_eq_u16_e32 0x80, v64
; %bb.1133:                             ;   in Loop: Header=BB4_1125 Depth=2
	s_xor_b32 s11, exec_lo, -1
; %bb.1134:                             ;   in Loop: Header=BB4_1125 Depth=2
	s_or_b32 exec_lo, exec_lo, s40
	s_delay_alu instid0(SALU_CYCLE_1)
	s_and_b32 s11, s11, exec_lo
                                        ; implicit-def: $vgpr64
	s_or_saveexec_b32 s12, s12
	v_bfrev_b32_e32 v25, 1
	s_xor_b32 exec_lo, exec_lo, s12
	s_cbranch_execnz .LBB4_1167
.LBB4_1135:                             ;   in Loop: Header=BB4_1125 Depth=2
	s_or_b32 exec_lo, exec_lo, s12
	s_and_saveexec_b32 s12, s11
	s_cbranch_execz .LBB4_1137
.LBB4_1136:                             ;   in Loop: Header=BB4_1125 Depth=2
	v_and_b32_e32 v64, 0x7f, v10
	v_bfe_u32 v102, v10, 3, 4
	s_delay_alu instid0(VALU_DEP_2) | instskip(SKIP_1) | instid1(VALU_DEP_1)
	v_cmp_gt_u32_e64 s10, 8, v64
	v_and_b32_e32 v25, 7, v10
	v_clz_i32_u32_e32 v25, v25
	s_delay_alu instid0(VALU_DEP_1) | instskip(NEXT) | instid1(VALU_DEP_1)
	v_min_u32_e32 v25, 32, v25
	v_subrev_nc_u32_e32 v103, 28, v25
	v_sub_nc_u32_e32 v25, 29, v25
	s_delay_alu instid0(VALU_DEP_1) | instskip(SKIP_1) | instid1(VALU_DEP_2)
	v_dual_cndmask_b32 v25, v102, v25, s10 :: v_dual_cndmask_b32 v102, 0, v103, s10
	v_cmp_ne_u32_e64 s10, 0x7f, v64
	v_lshlrev_b64_e32 v[102:103], v102, v[10:11]
	v_lshlrev_b32_e32 v103, 24, v10
	s_delay_alu instid0(VALU_DEP_1) | instskip(NEXT) | instid1(VALU_DEP_3)
	v_and_b32_e32 v103, 0x80000000, v103
	v_lshlrev_b32_e32 v102, 20, v102
	v_lshl_add_u32 v25, v25, 23, 0x3c000000
	s_delay_alu instid0(VALU_DEP_2) | instskip(NEXT) | instid1(VALU_DEP_1)
	v_and_b32_e32 v102, 0x700000, v102
	v_or3_b32 v25, v102, v103, v25
	s_delay_alu instid0(VALU_DEP_1)
	v_cndmask_b32_e64 v25, 0x7f800001, v25, s10
.LBB4_1137:                             ;   in Loop: Header=BB4_1125 Depth=2
	s_or_b32 exec_lo, exec_lo, s12
	s_delay_alu instid0(VALU_DEP_1) | instskip(SKIP_1) | instid1(VALU_DEP_1)
	v_mul_f32_e32 v24, v24, v25
                                        ; implicit-def: $vgpr117
	s_mov_b32 s11, exec_lo
	v_and_b32_e32 v64, 0x7f800000, v24
	v_lshrrev_b32_e32 v25, 24, v24
	s_delay_alu instid0(VALU_DEP_2)
	v_cmpx_ne_u64_e32 0x7f800000, v[64:65]
	s_xor_b32 s12, exec_lo, s11
	s_cbranch_execz .LBB4_1151
; %bb.1138:                             ;   in Loop: Header=BB4_1125 Depth=2
	v_and_b32_e32 v64, 0x7fffffff, v24
	v_and_b32_e32 v112, 0x80, v25
                                        ; implicit-def: $vgpr117
	s_mov_b32 s11, exec_lo
	s_delay_alu instid0(VALU_DEP_2)
	v_cmpx_gt_u64_e32 0x43e00001, v[64:65]
	s_xor_b32 s40, exec_lo, s11
	s_cbranch_execz .LBB4_1148
; %bb.1139:                             ;   in Loop: Header=BB4_1125 Depth=2
	v_mov_b32_e32 v117, 0
	s_mov_b32 s41, exec_lo
	v_cmpx_ne_u32_e32 0, v24
	s_cbranch_execz .LBB4_1147
; %bb.1140:                             ;   in Loop: Header=BB4_1125 Depth=2
	v_bfe_u32 v113, v24, 23, 8
	v_and_b32_e32 v64, 0x7fffff, v24
	s_delay_alu instid0(VALU_DEP_2) | instskip(SKIP_1) | instid1(VALU_DEP_3)
	v_sub_nc_u32_e32 v25, 0x79, v113
	v_cmp_gt_u32_e64 s10, 0x7a, v113
	v_or_b32_e32 v102, 0x800000, v64
	s_delay_alu instid0(VALU_DEP_2) | instskip(SKIP_1) | instid1(VALU_DEP_1)
	v_cndmask_b32_e64 v25, 0, v25, s10
	v_cmp_eq_u32_e64 s10, 0, v113
	v_cndmask_b32_e64 v64, v102, v64, s10
	s_delay_alu instid0(VALU_DEP_3) | instskip(NEXT) | instid1(VALU_DEP_1)
	v_cndmask_b32_e64 v117, v25, 0x78, s10
	v_dual_add_nc_u32 v24, 20, v117 :: v_dual_add_nc_u32 v103, 19, v117
	s_delay_alu instid0(VALU_DEP_1) | instskip(NEXT) | instid1(VALU_DEP_2)
	v_lshlrev_b64_e64 v[24:25], v24, -1
	v_lshlrev_b64_e64 v[102:103], v103, 1
	s_delay_alu instid0(VALU_DEP_2) | instskip(NEXT) | instid1(VALU_DEP_3)
	v_bfi_b32 v119, v25, 0, 0
	v_bfi_b32 v118, v24, 0, v64
	v_lshrrev_b64 v[24:25], v117, v[64:65]
	s_delay_alu instid0(VALU_DEP_2) | instskip(NEXT) | instid1(VALU_DEP_2)
	v_cmp_eq_u64_e64 s11, v[118:119], v[102:103]
	v_mov_b64_e32 v[102:103], v[24:25]
	s_and_saveexec_b32 s42, s11
; %bb.1141:                             ;   in Loop: Header=BB4_1125 Depth=2
	v_bfe_u32 v64, v24, 20, 1
	s_delay_alu instid0(VALU_DEP_1) | instskip(NEXT) | instid1(VALU_DEP_1)
	v_add_nc_u64_e32 v[102:103], v[24:25], v[64:65]
	v_add_nc_u64_e32 v[102:103], -1, v[102:103]
; %bb.1142:                             ;   in Loop: Header=BB4_1125 Depth=2
	s_or_b32 exec_lo, exec_lo, s42
	v_add_nc_u32_e32 v25, 0xffffff81, v113
	v_lshrrev_b32_e32 v64, 23, v24
	s_mov_b32 s11, exec_lo
	s_delay_alu instid0(VALU_DEP_2) | instskip(NEXT) | instid1(VALU_DEP_1)
	v_cndmask_b32_e64 v25, v25, 0xffffff82, s10
	v_add3_u32 v103, v117, v25, v64
	v_and_b32_e32 v25, 0xfffff, v102
                                        ; implicit-def: $vgpr102
	s_delay_alu instid0(VALU_DEP_1) | instskip(NEXT) | instid1(VALU_DEP_1)
	v_dual_add_nc_u32 v113, 6, v103 :: v_dual_add_nc_u32 v64, v25, v24
                                        ; implicit-def: $vgpr24_vgpr25
	v_cmpx_ne_u32_e32 0, v113
	s_xor_b32 s11, exec_lo, s11
; %bb.1143:                             ;   in Loop: Header=BB4_1125 Depth=2
	s_delay_alu instid0(VALU_DEP_2) | instskip(SKIP_1) | instid1(VALU_DEP_1)
	v_cmp_lt_u64_e64 s10, 0xffffff, v[64:65]
	v_add_nc_u32_e32 v24, 7, v103
	v_cndmask_b32_e64 v102, v113, v24, s10
	v_cndmask_b32_e64 v24, 0, 1, s10
	s_delay_alu instid0(VALU_DEP_1)
	v_lshrrev_b64 v[24:25], v24, v[64:65]
; %bb.1144:                             ;   in Loop: Header=BB4_1125 Depth=2
	s_and_not1_saveexec_b32 s10, s11
; %bb.1145:                             ;   in Loop: Header=BB4_1125 Depth=2
	v_mov_b64_e32 v[24:25], v[64:65]
	v_bfe_u32 v102, v64, 23, 1
; %bb.1146:                             ;   in Loop: Header=BB4_1125 Depth=2
	s_or_b32 exec_lo, exec_lo, s10
	s_delay_alu instid0(VALU_DEP_2) | instskip(NEXT) | instid1(VALU_DEP_2)
	v_lshrrev_b64 v[24:25], 20, v[24:25]
	v_cmp_gt_i32_e64 s10, 16, v102
	v_min_i32_e32 v64, 15, v102
	v_cmp_eq_u32_e64 s11, 0, v102
	s_delay_alu instid0(VALU_DEP_2) | instskip(SKIP_1) | instid1(VALU_DEP_2)
	v_dual_cndmask_b32 v25, 0, v25, s10 :: v_dual_lshlrev_b32 v64, 3, v64
	v_cndmask_b32_e64 v24, 7, v24, s10
	v_and_b32_e32 v64, 0xf8, v64
	s_delay_alu instid0(VALU_DEP_2) | instskip(NEXT) | instid1(VALU_DEP_2)
	v_cmp_eq_u64_e64 s10, 0, v[24:25]
	v_and_or_b32 v24, v24, 7, v64
	s_and_b32 s10, s11, s10
	s_delay_alu instid0(VALU_DEP_1) | instid1(SALU_CYCLE_1)
	v_cndmask_b32_e64 v24, v24, 0, s10
	s_delay_alu instid0(VALU_DEP_1)
	v_or_b32_e32 v117, v24, v112
.LBB4_1147:                             ;   in Loop: Header=BB4_1125 Depth=2
	s_or_b32 exec_lo, exec_lo, s41
                                        ; implicit-def: $vgpr112
.LBB4_1148:                             ;   in Loop: Header=BB4_1125 Depth=2
	s_and_not1_saveexec_b32 s10, s40
; %bb.1149:                             ;   in Loop: Header=BB4_1125 Depth=2
	v_or_b32_e32 v117, 0x7e, v112
; %bb.1150:                             ;   in Loop: Header=BB4_1125 Depth=2
	s_or_b32 exec_lo, exec_lo, s10
                                        ; implicit-def: $vgpr25
.LBB4_1151:                             ;   in Loop: Header=BB4_1125 Depth=2
	s_and_not1_saveexec_b32 s10, s12
; %bb.1152:                             ;   in Loop: Header=BB4_1125 Depth=2
	v_or_b32_e32 v117, 0x7f, v25
; %bb.1153:                             ;   in Loop: Header=BB4_1125 Depth=2
	s_or_b32 exec_lo, exec_lo, s10
	v_lshrrev_b16 v24, 8, v14
	v_mov_b32_e32 v25, 0
	s_mov_b32 s11, exec_lo
	s_delay_alu instid0(VALU_DEP_2)
	v_cmpx_ne_u16_e32 0, v24
	s_cbranch_execz .LBB4_1161
; %bb.1154:                             ;   in Loop: Header=BB4_1125 Depth=2
	v_bfrev_b32_e32 v25, 1
	s_mov_b32 s12, exec_lo
	v_cmpx_ne_u16_e32 0x80, v24
	s_cbranch_execz .LBB4_1160
; %bb.1155:                             ;   in Loop: Header=BB4_1125 Depth=2
	v_and_b32_e32 v24, 0xffff, v24
	v_mov_b32_e32 v25, 0x7f800001
	s_mov_b32 s40, exec_lo
	s_delay_alu instid0(VALU_DEP_2) | instskip(NEXT) | instid1(VALU_DEP_1)
	v_and_b32_e32 v102, 0x7f, v24
	v_cmpx_ne_u32_e32 0x7f, v102
	s_cbranch_execz .LBB4_1159
; %bb.1156:                             ;   in Loop: Header=BB4_1125 Depth=2
	v_dual_lshrrev_b32 v24, 3, v102 :: v_dual_bitop2_b32 v64, 7, v24 bitop3:0x40
	s_mov_b32 s41, exec_lo
	v_cmpx_gt_u32_e32 8, v102
; %bb.1157:                             ;   in Loop: Header=BB4_1125 Depth=2
	s_delay_alu instid0(VALU_DEP_2) | instskip(NEXT) | instid1(VALU_DEP_1)
	v_clz_i32_u32_e32 v24, v64
	v_min_u32_e32 v24, 32, v24
	s_delay_alu instid0(VALU_DEP_1) | instskip(NEXT) | instid1(VALU_DEP_1)
	v_subrev_nc_u32_e32 v25, 28, v24
	v_lshlrev_b64_e32 v[102:103], v25, v[64:65]
	s_delay_alu instid0(VALU_DEP_1)
	v_dual_sub_nc_u32 v24, 29, v24 :: v_dual_bitop2_b32 v64, 7, v102 bitop3:0x40
; %bb.1158:                             ;   in Loop: Header=BB4_1125 Depth=2
	s_or_b32 exec_lo, exec_lo, s41
	s_delay_alu instid0(VALU_DEP_1) | instskip(NEXT) | instid1(VALU_DEP_2)
	v_dual_lshlrev_b32 v25, 16, v14 :: v_dual_lshlrev_b32 v64, 20, v64
	v_lshl_add_u32 v24, v24, 23, 0x3c000000
	s_delay_alu instid0(VALU_DEP_2) | instskip(NEXT) | instid1(VALU_DEP_1)
	v_and_b32_e32 v25, 0x80000000, v25
	v_or3_b32 v25, v64, v25, v24
.LBB4_1159:                             ;   in Loop: Header=BB4_1125 Depth=2
	s_or_b32 exec_lo, exec_lo, s40
.LBB4_1160:                             ;   in Loop: Header=BB4_1125 Depth=2
	s_delay_alu instid0(SALU_CYCLE_1)
	s_or_b32 exec_lo, exec_lo, s12
.LBB4_1161:                             ;   in Loop: Header=BB4_1125 Depth=2
	s_delay_alu instid0(SALU_CYCLE_1) | instskip(SKIP_3) | instid1(VALU_DEP_1)
	s_or_b32 exec_lo, exec_lo, s11
	v_lshrrev_b16 v64, 8, v10
	s_mov_b32 s12, 0
	s_mov_b32 s11, exec_lo
	v_cmpx_lt_i16_e32 0x7f, v64
	s_xor_b32 s11, exec_lo, s11
	s_cbranch_execz .LBB4_1168
; %bb.1162:                             ;   in Loop: Header=BB4_1125 Depth=2
	s_mov_b32 s12, -1
	s_mov_b32 s40, exec_lo
	v_cmpx_eq_u16_e32 0x80, v64
; %bb.1163:                             ;   in Loop: Header=BB4_1125 Depth=2
	s_xor_b32 s12, exec_lo, -1
; %bb.1164:                             ;   in Loop: Header=BB4_1125 Depth=2
	s_or_b32 exec_lo, exec_lo, s40
	s_delay_alu instid0(SALU_CYCLE_1)
	s_and_b32 s12, s12, exec_lo
	s_or_saveexec_b32 s11, s11
	v_bfrev_b32_e32 v102, 1
	s_xor_b32 exec_lo, exec_lo, s11
	s_cbranch_execnz .LBB4_1169
.LBB4_1165:                             ;   in Loop: Header=BB4_1125 Depth=2
	s_or_b32 exec_lo, exec_lo, s11
	s_and_saveexec_b32 s11, s12
	s_cbranch_execnz .LBB4_1170
	s_branch .LBB4_1173
.LBB4_1166:                             ;   in Loop: Header=BB4_1125 Depth=2
	s_or_saveexec_b32 s12, s12
	v_bfrev_b32_e32 v25, 1
	s_xor_b32 exec_lo, exec_lo, s12
	s_cbranch_execz .LBB4_1135
.LBB4_1167:                             ;   in Loop: Header=BB4_1125 Depth=2
	v_cmp_ne_u16_e64 s10, 0, v64
	v_mov_b32_e32 v25, 0
	s_and_not1_b32 s11, s11, exec_lo
	s_and_b32 s10, s10, exec_lo
	s_delay_alu instid0(SALU_CYCLE_1)
	s_or_b32 s11, s11, s10
	s_or_b32 exec_lo, exec_lo, s12
	s_and_saveexec_b32 s12, s11
	s_cbranch_execnz .LBB4_1136
	s_branch .LBB4_1137
.LBB4_1168:                             ;   in Loop: Header=BB4_1125 Depth=2
	s_or_saveexec_b32 s11, s11
	v_bfrev_b32_e32 v102, 1
	s_xor_b32 exec_lo, exec_lo, s11
	s_cbranch_execz .LBB4_1165
.LBB4_1169:                             ;   in Loop: Header=BB4_1125 Depth=2
	v_cmp_ne_u16_e64 s10, 0, v64
	v_mov_b32_e32 v102, 0
	s_and_not1_b32 s12, s12, exec_lo
	s_and_b32 s10, s10, exec_lo
	s_delay_alu instid0(SALU_CYCLE_1)
	s_or_b32 s12, s12, s10
	s_or_b32 exec_lo, exec_lo, s11
	s_and_saveexec_b32 s11, s12
	s_cbranch_execz .LBB4_1173
.LBB4_1170:                             ;   in Loop: Header=BB4_1125 Depth=2
	v_and_b32_e32 v24, 0xffff, v64
	v_mov_b32_e32 v102, 0x7f800001
	s_mov_b32 s12, exec_lo
	s_delay_alu instid0(VALU_DEP_2) | instskip(NEXT) | instid1(VALU_DEP_1)
	v_and_b32_e32 v103, 0x7f, v24
	v_cmpx_ne_u32_e32 0x7f, v103
	s_cbranch_execz .LBB4_1172
; %bb.1171:                             ;   in Loop: Header=BB4_1125 Depth=2
	v_and_b32_e32 v102, 7, v24
	v_cmp_gt_u32_e64 s10, 8, v103
	s_delay_alu instid0(VALU_DEP_2) | instskip(NEXT) | instid1(VALU_DEP_1)
	v_clz_i32_u32_e32 v112, v102
	v_min_u32_e32 v118, 32, v112
	s_delay_alu instid0(VALU_DEP_1) | instskip(NEXT) | instid1(VALU_DEP_1)
	v_subrev_nc_u32_e32 v112, 28, v118
	v_lshlrev_b64_e32 v[112:113], v112, v[24:25]
	v_dual_lshrrev_b32 v24, 3, v103 :: v_dual_sub_nc_u32 v113, 29, v118
	s_delay_alu instid0(VALU_DEP_2) | instskip(NEXT) | instid1(VALU_DEP_2)
	v_and_b32_e32 v103, 7, v112
	v_dual_lshlrev_b32 v64, 24, v64 :: v_dual_cndmask_b32 v24, v24, v113, s10
	s_delay_alu instid0(VALU_DEP_2) | instskip(NEXT) | instid1(VALU_DEP_2)
	v_cndmask_b32_e64 v102, v102, v103, s10
	v_and_b32_e32 v64, 0x80000000, v64
	s_delay_alu instid0(VALU_DEP_3) | instskip(NEXT) | instid1(VALU_DEP_3)
	v_lshl_add_u32 v24, v24, 23, 0x3c000000
	v_lshlrev_b32_e32 v102, 20, v102
	s_delay_alu instid0(VALU_DEP_1)
	v_or3_b32 v102, v102, v64, v24
.LBB4_1172:                             ;   in Loop: Header=BB4_1125 Depth=2
	s_or_b32 exec_lo, exec_lo, s12
.LBB4_1173:                             ;   in Loop: Header=BB4_1125 Depth=2
	s_delay_alu instid0(SALU_CYCLE_1) | instskip(NEXT) | instid1(VALU_DEP_1)
	s_or_b32 exec_lo, exec_lo, s11
	v_mul_f32_e32 v24, v25, v102
                                        ; implicit-def: $vgpr118
	s_mov_b32 s11, exec_lo
	s_delay_alu instid0(VALU_DEP_1) | instskip(SKIP_1) | instid1(VALU_DEP_2)
	v_and_b32_e32 v64, 0x7f800000, v24
	v_lshrrev_b32_e32 v25, 24, v24
	v_cmpx_ne_u64_e32 0x7f800000, v[64:65]
	s_xor_b32 s12, exec_lo, s11
	s_cbranch_execz .LBB4_1187
; %bb.1174:                             ;   in Loop: Header=BB4_1125 Depth=2
	v_and_b32_e32 v64, 0x7fffffff, v24
	v_and_b32_e32 v112, 0x80, v25
                                        ; implicit-def: $vgpr118
	s_mov_b32 s11, exec_lo
	s_delay_alu instid0(VALU_DEP_2)
	v_cmpx_gt_u64_e32 0x43e00001, v[64:65]
	s_xor_b32 s40, exec_lo, s11
	s_cbranch_execz .LBB4_1184
; %bb.1175:                             ;   in Loop: Header=BB4_1125 Depth=2
	v_mov_b32_e32 v118, 0
	s_mov_b32 s41, exec_lo
	v_cmpx_ne_u32_e32 0, v24
	s_cbranch_execz .LBB4_1183
; %bb.1176:                             ;   in Loop: Header=BB4_1125 Depth=2
	v_bfe_u32 v113, v24, 23, 8
	v_and_b32_e32 v64, 0x7fffff, v24
	s_delay_alu instid0(VALU_DEP_2) | instskip(SKIP_1) | instid1(VALU_DEP_3)
	v_sub_nc_u32_e32 v25, 0x79, v113
	v_cmp_gt_u32_e64 s10, 0x7a, v113
	v_or_b32_e32 v102, 0x800000, v64
	s_delay_alu instid0(VALU_DEP_2) | instskip(SKIP_1) | instid1(VALU_DEP_1)
	v_cndmask_b32_e64 v25, 0, v25, s10
	v_cmp_eq_u32_e64 s10, 0, v113
	v_cndmask_b32_e64 v118, v25, 0x78, s10
	s_delay_alu instid0(VALU_DEP_1) | instskip(SKIP_1) | instid1(VALU_DEP_2)
	v_dual_cndmask_b32 v64, v102, v64, s10 :: v_dual_add_nc_u32 v103, 19, v118
	v_add_nc_u32_e32 v24, 20, v118
	v_lshlrev_b64_e64 v[102:103], v103, 1
	s_delay_alu instid0(VALU_DEP_2) | instskip(NEXT) | instid1(VALU_DEP_1)
	v_lshlrev_b64_e64 v[24:25], v24, -1
	v_bfi_b32 v47, v25, 0, 0
	s_delay_alu instid0(VALU_DEP_2) | instskip(SKIP_1) | instid1(VALU_DEP_2)
	v_bfi_b32 v46, v24, 0, v64
	v_lshrrev_b64 v[24:25], v118, v[64:65]
	v_cmp_eq_u64_e64 s11, v[46:47], v[102:103]
	s_delay_alu instid0(VALU_DEP_2)
	v_mov_b64_e32 v[102:103], v[24:25]
	s_and_saveexec_b32 s42, s11
; %bb.1177:                             ;   in Loop: Header=BB4_1125 Depth=2
	v_bfe_u32 v64, v24, 20, 1
	s_delay_alu instid0(VALU_DEP_1) | instskip(NEXT) | instid1(VALU_DEP_1)
	v_add_nc_u64_e32 v[102:103], v[24:25], v[64:65]
	v_add_nc_u64_e32 v[102:103], -1, v[102:103]
; %bb.1178:                             ;   in Loop: Header=BB4_1125 Depth=2
	s_or_b32 exec_lo, exec_lo, s42
	v_add_nc_u32_e32 v25, 0xffffff81, v113
	v_lshrrev_b32_e32 v64, 23, v24
	s_mov_b32 s11, exec_lo
	s_delay_alu instid0(VALU_DEP_2) | instskip(NEXT) | instid1(VALU_DEP_1)
	v_cndmask_b32_e64 v25, v25, 0xffffff82, s10
	v_add3_u32 v103, v118, v25, v64
	v_and_b32_e32 v25, 0xfffff, v102
                                        ; implicit-def: $vgpr102
	s_delay_alu instid0(VALU_DEP_1) | instskip(NEXT) | instid1(VALU_DEP_1)
	v_dual_add_nc_u32 v113, 6, v103 :: v_dual_add_nc_u32 v64, v25, v24
                                        ; implicit-def: $vgpr24_vgpr25
	v_cmpx_ne_u32_e32 0, v113
	s_xor_b32 s11, exec_lo, s11
; %bb.1179:                             ;   in Loop: Header=BB4_1125 Depth=2
	s_delay_alu instid0(VALU_DEP_2) | instskip(SKIP_1) | instid1(VALU_DEP_1)
	v_cmp_lt_u64_e64 s10, 0xffffff, v[64:65]
	v_add_nc_u32_e32 v24, 7, v103
	v_cndmask_b32_e64 v102, v113, v24, s10
	v_cndmask_b32_e64 v24, 0, 1, s10
	s_delay_alu instid0(VALU_DEP_1)
	v_lshrrev_b64 v[24:25], v24, v[64:65]
; %bb.1180:                             ;   in Loop: Header=BB4_1125 Depth=2
	s_and_not1_saveexec_b32 s10, s11
; %bb.1181:                             ;   in Loop: Header=BB4_1125 Depth=2
	v_mov_b64_e32 v[24:25], v[64:65]
	v_bfe_u32 v102, v64, 23, 1
; %bb.1182:                             ;   in Loop: Header=BB4_1125 Depth=2
	s_or_b32 exec_lo, exec_lo, s10
	s_delay_alu instid0(VALU_DEP_2) | instskip(NEXT) | instid1(VALU_DEP_2)
	v_lshrrev_b64 v[24:25], 20, v[24:25]
	v_cmp_gt_i32_e64 s10, 16, v102
	v_min_i32_e32 v64, 15, v102
	v_cmp_eq_u32_e64 s11, 0, v102
	s_delay_alu instid0(VALU_DEP_2) | instskip(SKIP_1) | instid1(VALU_DEP_2)
	v_dual_cndmask_b32 v25, 0, v25, s10 :: v_dual_lshlrev_b32 v64, 3, v64
	v_cndmask_b32_e64 v24, 7, v24, s10
	v_and_b32_e32 v64, 0xf8, v64
	s_delay_alu instid0(VALU_DEP_2) | instskip(NEXT) | instid1(VALU_DEP_2)
	v_cmp_eq_u64_e64 s10, 0, v[24:25]
	v_and_or_b32 v24, v24, 7, v64
	s_and_b32 s10, s11, s10
	s_delay_alu instid0(VALU_DEP_1) | instid1(SALU_CYCLE_1)
	v_cndmask_b32_e64 v24, v24, 0, s10
	s_delay_alu instid0(VALU_DEP_1)
	v_or_b32_e32 v118, v24, v112
.LBB4_1183:                             ;   in Loop: Header=BB4_1125 Depth=2
	s_or_b32 exec_lo, exec_lo, s41
                                        ; implicit-def: $vgpr112
.LBB4_1184:                             ;   in Loop: Header=BB4_1125 Depth=2
	s_and_not1_saveexec_b32 s10, s40
; %bb.1185:                             ;   in Loop: Header=BB4_1125 Depth=2
	v_or_b32_e32 v118, 0x7e, v112
; %bb.1186:                             ;   in Loop: Header=BB4_1125 Depth=2
	s_or_b32 exec_lo, exec_lo, s10
                                        ; implicit-def: $vgpr25
.LBB4_1187:                             ;   in Loop: Header=BB4_1125 Depth=2
	s_and_not1_saveexec_b32 s10, s12
; %bb.1188:                             ;   in Loop: Header=BB4_1125 Depth=2
	v_or_b32_e32 v118, 0x7f, v25
; %bb.1189:                             ;   in Loop: Header=BB4_1125 Depth=2
	s_or_b32 exec_lo, exec_lo, s10
	v_dual_mov_b32 v25, 0 :: v_dual_lshrrev_b32 v24, 16, v14
	s_mov_b32 s11, exec_lo
	s_delay_alu instid0(VALU_DEP_1) | instskip(NEXT) | instid1(VALU_DEP_1)
	v_and_b32_e32 v64, 0xff, v24
	v_cmpx_ne_u16_e32 0, v64
	s_cbranch_execz .LBB4_1197
; %bb.1190:                             ;   in Loop: Header=BB4_1125 Depth=2
	v_bfrev_b32_e32 v25, 1
	s_mov_b32 s12, exec_lo
	v_cmpx_ne_u16_e32 0x80, v64
	s_cbranch_execz .LBB4_1196
; %bb.1191:                             ;   in Loop: Header=BB4_1125 Depth=2
	v_bfe_u32 v102, v14, 16, 7
	v_mov_b32_e32 v25, 0x7f800001
	s_mov_b32 s40, exec_lo
	s_delay_alu instid0(VALU_DEP_2)
	v_cmpx_ne_u32_e32 0x7f, v102
	s_cbranch_execz .LBB4_1195
; %bb.1192:                             ;   in Loop: Header=BB4_1125 Depth=2
	v_dual_lshrrev_b32 v25, 3, v102 :: v_dual_bitop2_b32 v64, 7, v24 bitop3:0x40
	s_mov_b32 s41, exec_lo
	v_cmpx_gt_u32_e32 8, v102
; %bb.1193:                             ;   in Loop: Header=BB4_1125 Depth=2
	s_delay_alu instid0(VALU_DEP_2) | instskip(NEXT) | instid1(VALU_DEP_1)
	v_clz_i32_u32_e32 v25, v64
	v_min_u32_e32 v25, 32, v25
	s_delay_alu instid0(VALU_DEP_1) | instskip(NEXT) | instid1(VALU_DEP_1)
	v_subrev_nc_u32_e32 v102, 28, v25
	v_lshlrev_b64_e32 v[102:103], v102, v[64:65]
	s_delay_alu instid0(VALU_DEP_1)
	v_dual_sub_nc_u32 v25, 29, v25 :: v_dual_bitop2_b32 v64, 7, v102 bitop3:0x40
; %bb.1194:                             ;   in Loop: Header=BB4_1125 Depth=2
	s_or_b32 exec_lo, exec_lo, s41
	v_lshlrev_b32_e32 v24, 24, v24
	s_delay_alu instid0(VALU_DEP_2) | instskip(NEXT) | instid1(VALU_DEP_3)
	v_lshlrev_b32_e32 v64, 20, v64
	v_lshl_add_u32 v25, v25, 23, 0x3c000000
	s_delay_alu instid0(VALU_DEP_3) | instskip(NEXT) | instid1(VALU_DEP_1)
	v_and_b32_e32 v24, 0x80000000, v24
	v_or3_b32 v25, v64, v24, v25
.LBB4_1195:                             ;   in Loop: Header=BB4_1125 Depth=2
	s_or_b32 exec_lo, exec_lo, s40
.LBB4_1196:                             ;   in Loop: Header=BB4_1125 Depth=2
	s_delay_alu instid0(SALU_CYCLE_1)
	s_or_b32 exec_lo, exec_lo, s12
.LBB4_1197:                             ;   in Loop: Header=BB4_1125 Depth=2
	s_delay_alu instid0(SALU_CYCLE_1) | instskip(SKIP_3) | instid1(VALU_DEP_1)
	s_or_b32 exec_lo, exec_lo, s11
	v_lshrrev_b32_e32 v24, 16, v10
	s_mov_b32 s12, 0
	s_mov_b32 s11, exec_lo
	v_and_b32_e32 v102, 0xff, v24
	s_delay_alu instid0(VALU_DEP_1)
	v_cmpx_lt_i16_e32 0x7f, v102
	s_xor_b32 s11, exec_lo, s11
	s_cbranch_execz .LBB4_1202
; %bb.1198:                             ;   in Loop: Header=BB4_1125 Depth=2
	s_mov_b32 s12, -1
	s_mov_b32 s40, exec_lo
	v_cmpx_eq_u16_e32 0x80, v102
; %bb.1199:                             ;   in Loop: Header=BB4_1125 Depth=2
	s_xor_b32 s12, exec_lo, -1
; %bb.1200:                             ;   in Loop: Header=BB4_1125 Depth=2
	s_or_b32 exec_lo, exec_lo, s40
	s_delay_alu instid0(SALU_CYCLE_1)
	s_and_b32 s12, s12, exec_lo
                                        ; implicit-def: $vgpr102
	s_or_saveexec_b32 s11, s11
	v_bfrev_b32_e32 v64, 1
	s_xor_b32 exec_lo, exec_lo, s11
	s_cbranch_execnz .LBB4_1203
.LBB4_1201:                             ;   in Loop: Header=BB4_1125 Depth=2
	s_or_b32 exec_lo, exec_lo, s11
	s_and_saveexec_b32 s11, s12
	s_cbranch_execnz .LBB4_1204
	s_branch .LBB4_1207
.LBB4_1202:                             ;   in Loop: Header=BB4_1125 Depth=2
	s_or_saveexec_b32 s11, s11
	v_bfrev_b32_e32 v64, 1
	s_xor_b32 exec_lo, exec_lo, s11
	s_cbranch_execz .LBB4_1201
.LBB4_1203:                             ;   in Loop: Header=BB4_1125 Depth=2
	v_cmp_ne_u16_e64 s10, 0, v102
	v_mov_b32_e32 v64, 0
	s_and_not1_b32 s12, s12, exec_lo
	s_and_b32 s10, s10, exec_lo
	s_delay_alu instid0(SALU_CYCLE_1)
	s_or_b32 s12, s12, s10
	s_or_b32 exec_lo, exec_lo, s11
	s_and_saveexec_b32 s11, s12
	s_cbranch_execz .LBB4_1207
.LBB4_1204:                             ;   in Loop: Header=BB4_1125 Depth=2
	v_and_b32_e32 v102, 0x7f, v24
	v_mov_b32_e32 v64, 0x7f800001
	s_mov_b32 s12, exec_lo
	s_delay_alu instid0(VALU_DEP_2)
	v_cmpx_ne_u32_e32 0x7f, v102
	s_cbranch_execz .LBB4_1206
; %bb.1205:                             ;   in Loop: Header=BB4_1125 Depth=2
	v_and_b32_e32 v64, 7, v24
	v_cmp_gt_u32_e64 s10, 8, v102
	s_delay_alu instid0(VALU_DEP_2) | instskip(NEXT) | instid1(VALU_DEP_1)
	v_clz_i32_u32_e32 v103, v64
	v_min_u32_e32 v103, 32, v103
	s_delay_alu instid0(VALU_DEP_1) | instskip(NEXT) | instid1(VALU_DEP_1)
	v_subrev_nc_u32_e32 v112, 28, v103
	v_lshlrev_b64_e32 v[112:113], v112, v[24:25]
	v_dual_lshrrev_b32 v113, 3, v102 :: v_dual_sub_nc_u32 v103, 29, v103
	s_delay_alu instid0(VALU_DEP_2) | instskip(NEXT) | instid1(VALU_DEP_2)
	v_and_b32_e32 v102, 7, v112
	v_dual_lshlrev_b32 v24, 24, v24 :: v_dual_cndmask_b32 v103, v113, v103, s10
	s_delay_alu instid0(VALU_DEP_2) | instskip(NEXT) | instid1(VALU_DEP_2)
	v_cndmask_b32_e64 v64, v64, v102, s10
	v_and_b32_e32 v24, 0x80000000, v24
	s_delay_alu instid0(VALU_DEP_3) | instskip(NEXT) | instid1(VALU_DEP_3)
	v_lshl_add_u32 v102, v103, 23, 0x3c000000
	v_lshlrev_b32_e32 v64, 20, v64
	s_delay_alu instid0(VALU_DEP_1)
	v_or3_b32 v64, v64, v24, v102
.LBB4_1206:                             ;   in Loop: Header=BB4_1125 Depth=2
	s_or_b32 exec_lo, exec_lo, s12
.LBB4_1207:                             ;   in Loop: Header=BB4_1125 Depth=2
	s_delay_alu instid0(SALU_CYCLE_1) | instskip(NEXT) | instid1(VALU_DEP_1)
	s_or_b32 exec_lo, exec_lo, s11
	v_mul_f32_e32 v24, v25, v64
                                        ; implicit-def: $vgpr119
	s_mov_b32 s11, exec_lo
	s_delay_alu instid0(VALU_DEP_1) | instskip(SKIP_1) | instid1(VALU_DEP_2)
	v_and_b32_e32 v64, 0x7f800000, v24
	v_lshrrev_b32_e32 v25, 24, v24
	v_cmpx_ne_u64_e32 0x7f800000, v[64:65]
	s_xor_b32 s12, exec_lo, s11
	s_cbranch_execz .LBB4_1221
; %bb.1208:                             ;   in Loop: Header=BB4_1125 Depth=2
	v_and_b32_e32 v64, 0x7fffffff, v24
	v_and_b32_e32 v112, 0x80, v25
                                        ; implicit-def: $vgpr119
	s_mov_b32 s11, exec_lo
	s_delay_alu instid0(VALU_DEP_2)
	v_cmpx_gt_u64_e32 0x43e00001, v[64:65]
	s_xor_b32 s40, exec_lo, s11
	s_cbranch_execz .LBB4_1218
; %bb.1209:                             ;   in Loop: Header=BB4_1125 Depth=2
	v_mov_b32_e32 v119, 0
	s_mov_b32 s41, exec_lo
	v_cmpx_ne_u32_e32 0, v24
	s_cbranch_execz .LBB4_1217
; %bb.1210:                             ;   in Loop: Header=BB4_1125 Depth=2
	v_bfe_u32 v113, v24, 23, 8
	v_and_b32_e32 v64, 0x7fffff, v24
	s_delay_alu instid0(VALU_DEP_2) | instskip(SKIP_1) | instid1(VALU_DEP_3)
	v_sub_nc_u32_e32 v25, 0x79, v113
	v_cmp_gt_u32_e64 s10, 0x7a, v113
	v_or_b32_e32 v102, 0x800000, v64
	s_delay_alu instid0(VALU_DEP_2) | instskip(SKIP_1) | instid1(VALU_DEP_1)
	v_cndmask_b32_e64 v25, 0, v25, s10
	v_cmp_eq_u32_e64 s10, 0, v113
	v_cndmask_b32_e64 v119, v25, 0x78, s10
	s_delay_alu instid0(VALU_DEP_1) | instskip(SKIP_1) | instid1(VALU_DEP_2)
	v_dual_cndmask_b32 v64, v102, v64, s10 :: v_dual_add_nc_u32 v103, 19, v119
	v_add_nc_u32_e32 v24, 20, v119
	v_lshlrev_b64_e64 v[102:103], v103, 1
	s_delay_alu instid0(VALU_DEP_2) | instskip(NEXT) | instid1(VALU_DEP_1)
	v_lshlrev_b64_e64 v[24:25], v24, -1
	v_bfi_b32 v47, v25, 0, 0
	s_delay_alu instid0(VALU_DEP_2) | instskip(SKIP_1) | instid1(VALU_DEP_2)
	v_bfi_b32 v46, v24, 0, v64
	v_lshrrev_b64 v[24:25], v119, v[64:65]
	v_cmp_eq_u64_e64 s11, v[46:47], v[102:103]
	s_delay_alu instid0(VALU_DEP_2)
	v_mov_b64_e32 v[102:103], v[24:25]
	s_and_saveexec_b32 s42, s11
; %bb.1211:                             ;   in Loop: Header=BB4_1125 Depth=2
	v_bfe_u32 v64, v24, 20, 1
	s_delay_alu instid0(VALU_DEP_1) | instskip(NEXT) | instid1(VALU_DEP_1)
	v_add_nc_u64_e32 v[102:103], v[24:25], v[64:65]
	v_add_nc_u64_e32 v[102:103], -1, v[102:103]
; %bb.1212:                             ;   in Loop: Header=BB4_1125 Depth=2
	s_or_b32 exec_lo, exec_lo, s42
	v_add_nc_u32_e32 v25, 0xffffff81, v113
	v_lshrrev_b32_e32 v64, 23, v24
	s_mov_b32 s11, exec_lo
	s_delay_alu instid0(VALU_DEP_2) | instskip(NEXT) | instid1(VALU_DEP_1)
	v_cndmask_b32_e64 v25, v25, 0xffffff82, s10
	v_add3_u32 v103, v119, v25, v64
	v_and_b32_e32 v25, 0xfffff, v102
                                        ; implicit-def: $vgpr102
	s_delay_alu instid0(VALU_DEP_1) | instskip(NEXT) | instid1(VALU_DEP_1)
	v_dual_add_nc_u32 v113, 6, v103 :: v_dual_add_nc_u32 v64, v25, v24
                                        ; implicit-def: $vgpr24_vgpr25
	v_cmpx_ne_u32_e32 0, v113
	s_xor_b32 s11, exec_lo, s11
; %bb.1213:                             ;   in Loop: Header=BB4_1125 Depth=2
	s_delay_alu instid0(VALU_DEP_2) | instskip(SKIP_1) | instid1(VALU_DEP_1)
	v_cmp_lt_u64_e64 s10, 0xffffff, v[64:65]
	v_add_nc_u32_e32 v24, 7, v103
	v_cndmask_b32_e64 v102, v113, v24, s10
	v_cndmask_b32_e64 v24, 0, 1, s10
	s_delay_alu instid0(VALU_DEP_1)
	v_lshrrev_b64 v[24:25], v24, v[64:65]
; %bb.1214:                             ;   in Loop: Header=BB4_1125 Depth=2
	s_and_not1_saveexec_b32 s10, s11
; %bb.1215:                             ;   in Loop: Header=BB4_1125 Depth=2
	v_mov_b64_e32 v[24:25], v[64:65]
	v_bfe_u32 v102, v64, 23, 1
; %bb.1216:                             ;   in Loop: Header=BB4_1125 Depth=2
	s_or_b32 exec_lo, exec_lo, s10
	s_delay_alu instid0(VALU_DEP_2) | instskip(NEXT) | instid1(VALU_DEP_2)
	v_lshrrev_b64 v[24:25], 20, v[24:25]
	v_cmp_gt_i32_e64 s10, 16, v102
	v_min_i32_e32 v64, 15, v102
	v_cmp_eq_u32_e64 s11, 0, v102
	s_delay_alu instid0(VALU_DEP_2) | instskip(SKIP_1) | instid1(VALU_DEP_2)
	v_dual_cndmask_b32 v25, 0, v25, s10 :: v_dual_lshlrev_b32 v64, 3, v64
	v_cndmask_b32_e64 v24, 7, v24, s10
	v_and_b32_e32 v64, 0xf8, v64
	s_delay_alu instid0(VALU_DEP_2) | instskip(NEXT) | instid1(VALU_DEP_2)
	v_cmp_eq_u64_e64 s10, 0, v[24:25]
	v_and_or_b32 v24, v24, 7, v64
	s_and_b32 s10, s11, s10
	s_delay_alu instid0(VALU_DEP_1) | instid1(SALU_CYCLE_1)
	v_cndmask_b32_e64 v24, v24, 0, s10
	s_delay_alu instid0(VALU_DEP_1)
	v_or_b32_e32 v119, v24, v112
.LBB4_1217:                             ;   in Loop: Header=BB4_1125 Depth=2
	s_or_b32 exec_lo, exec_lo, s41
                                        ; implicit-def: $vgpr112
.LBB4_1218:                             ;   in Loop: Header=BB4_1125 Depth=2
	s_and_not1_saveexec_b32 s10, s40
; %bb.1219:                             ;   in Loop: Header=BB4_1125 Depth=2
	v_or_b32_e32 v119, 0x7e, v112
; %bb.1220:                             ;   in Loop: Header=BB4_1125 Depth=2
	s_or_b32 exec_lo, exec_lo, s10
                                        ; implicit-def: $vgpr25
.LBB4_1221:                             ;   in Loop: Header=BB4_1125 Depth=2
	s_and_not1_saveexec_b32 s10, s12
; %bb.1222:                             ;   in Loop: Header=BB4_1125 Depth=2
	v_or_b32_e32 v119, 0x7f, v25
; %bb.1223:                             ;   in Loop: Header=BB4_1125 Depth=2
	s_or_b32 exec_lo, exec_lo, s10
	v_mov_b32_e32 v25, 0
	s_mov_b32 s11, exec_lo
	v_cmpx_lt_u32_e32 0xffffff, v14
	s_cbranch_execz .LBB4_1231
; %bb.1224:                             ;   in Loop: Header=BB4_1125 Depth=2
	v_lshrrev_b32_e32 v24, 24, v14
	v_bfrev_b32_e32 v25, 1
	s_mov_b32 s12, exec_lo
	s_delay_alu instid0(VALU_DEP_2)
	v_cmpx_ne_u32_e32 0x80, v24
	s_cbranch_execz .LBB4_1230
; %bb.1225:                             ;   in Loop: Header=BB4_1125 Depth=2
	v_bfe_u32 v102, v14, 24, 7
	v_mov_b32_e32 v25, 0x7f800001
	s_mov_b32 s40, exec_lo
	s_delay_alu instid0(VALU_DEP_2)
	v_cmpx_ne_u32_e32 0x7f, v102
	s_cbranch_execz .LBB4_1229
; %bb.1226:                             ;   in Loop: Header=BB4_1125 Depth=2
	v_dual_lshrrev_b32 v25, 3, v102 :: v_dual_bitop2_b32 v64, 7, v24 bitop3:0x40
	s_mov_b32 s41, exec_lo
	v_cmpx_gt_u32_e32 8, v102
; %bb.1227:                             ;   in Loop: Header=BB4_1125 Depth=2
	s_delay_alu instid0(VALU_DEP_2) | instskip(NEXT) | instid1(VALU_DEP_1)
	v_clz_i32_u32_e32 v25, v64
	v_min_u32_e32 v25, 32, v25
	s_delay_alu instid0(VALU_DEP_1) | instskip(NEXT) | instid1(VALU_DEP_1)
	v_subrev_nc_u32_e32 v102, 28, v25
	v_lshlrev_b64_e32 v[102:103], v102, v[64:65]
	s_delay_alu instid0(VALU_DEP_1)
	v_dual_sub_nc_u32 v25, 29, v25 :: v_dual_bitop2_b32 v64, 7, v102 bitop3:0x40
; %bb.1228:                             ;   in Loop: Header=BB4_1125 Depth=2
	s_or_b32 exec_lo, exec_lo, s41
	v_lshlrev_b32_e32 v24, 24, v24
	s_delay_alu instid0(VALU_DEP_2) | instskip(NEXT) | instid1(VALU_DEP_3)
	v_lshlrev_b32_e32 v64, 20, v64
	v_lshl_add_u32 v25, v25, 23, 0x3c000000
	s_delay_alu instid0(VALU_DEP_3) | instskip(NEXT) | instid1(VALU_DEP_1)
	v_and_b32_e32 v24, 0x80000000, v24
	v_or3_b32 v25, v64, v24, v25
.LBB4_1229:                             ;   in Loop: Header=BB4_1125 Depth=2
	s_or_b32 exec_lo, exec_lo, s40
.LBB4_1230:                             ;   in Loop: Header=BB4_1125 Depth=2
	s_delay_alu instid0(SALU_CYCLE_1)
	s_or_b32 exec_lo, exec_lo, s12
.LBB4_1231:                             ;   in Loop: Header=BB4_1125 Depth=2
	s_delay_alu instid0(SALU_CYCLE_1) | instskip(SKIP_3) | instid1(VALU_DEP_3)
	s_or_b32 exec_lo, exec_lo, s11
	v_lshrrev_b32_e32 v24, 24, v10
	v_bfe_u32 v64, v10, 24, 7
	v_cmp_gt_u32_e64 s12, 0x1000000, v10
	v_cmp_eq_u32_e64 s10, 0x80, v24
	s_delay_alu instid0(VALU_DEP_3) | instskip(NEXT) | instid1(VALU_DEP_2)
	v_cmp_eq_u32_e64 s11, 0x7f, v64
	v_cndmask_b32_e64 v102, 0x7f800001, v45, s10
	s_or_b32 s10, s10, s11
	s_delay_alu instid0(SALU_CYCLE_1) | instskip(NEXT) | instid1(VALU_DEP_1)
	s_nor_b32 s10, s12, s10
	v_cndmask_b32_e64 v102, v102, 0, s12
	s_and_saveexec_b32 s11, s10
	s_cbranch_execz .LBB4_1233
; %bb.1232:                             ;   in Loop: Header=BB4_1125 Depth=2
	v_and_b32_e32 v112, 7, v24
	v_cmp_gt_u32_e64 s10, 8, v64
	s_delay_alu instid0(VALU_DEP_2) | instskip(NEXT) | instid1(VALU_DEP_1)
	v_clz_i32_u32_e32 v102, v112
	v_min_u32_e32 v113, 32, v102
	s_delay_alu instid0(VALU_DEP_1) | instskip(SKIP_1) | instid1(VALU_DEP_2)
	v_subrev_nc_u32_e32 v102, 28, v113
	v_sub_nc_u32_e32 v113, 29, v113
	v_lshlrev_b64_e32 v[102:103], v102, v[24:25]
	v_lshrrev_b32_e32 v103, 3, v64
	s_delay_alu instid0(VALU_DEP_2) | instskip(NEXT) | instid1(VALU_DEP_2)
	v_dual_lshlrev_b32 v24, 24, v24 :: v_dual_bitop2_b32 v64, 7, v102 bitop3:0x40
	v_cndmask_b32_e64 v102, v103, v113, s10
	s_delay_alu instid0(VALU_DEP_2) | instskip(NEXT) | instid1(VALU_DEP_3)
	v_and_b32_e32 v24, 0x80000000, v24
	v_cndmask_b32_e64 v64, v112, v64, s10
	s_delay_alu instid0(VALU_DEP_3) | instskip(NEXT) | instid1(VALU_DEP_2)
	v_lshl_add_u32 v102, v102, 23, 0x3c000000
	v_lshlrev_b32_e32 v64, 20, v64
	s_delay_alu instid0(VALU_DEP_1)
	v_or3_b32 v102, v64, v24, v102
.LBB4_1233:                             ;   in Loop: Header=BB4_1125 Depth=2
	s_or_b32 exec_lo, exec_lo, s11
	s_delay_alu instid0(VALU_DEP_1) | instskip(SKIP_1) | instid1(VALU_DEP_1)
	v_mul_f32_e32 v24, v25, v102
                                        ; implicit-def: $vgpr46
	s_mov_b32 s11, exec_lo
	v_and_b32_e32 v64, 0x7f800000, v24
	v_lshrrev_b32_e32 v25, 24, v24
	s_delay_alu instid0(VALU_DEP_2)
	v_cmpx_ne_u64_e32 0x7f800000, v[64:65]
	s_xor_b32 s12, exec_lo, s11
	s_cbranch_execz .LBB4_1247
; %bb.1234:                             ;   in Loop: Header=BB4_1125 Depth=2
	v_and_b32_e32 v64, 0x7fffffff, v24
	v_and_b32_e32 v112, 0x80, v25
                                        ; implicit-def: $vgpr46
	s_mov_b32 s11, exec_lo
	s_delay_alu instid0(VALU_DEP_2)
	v_cmpx_gt_u64_e32 0x43e00001, v[64:65]
	s_xor_b32 s40, exec_lo, s11
	s_cbranch_execz .LBB4_1244
; %bb.1235:                             ;   in Loop: Header=BB4_1125 Depth=2
	v_mov_b32_e32 v46, 0
	s_mov_b32 s41, exec_lo
	v_cmpx_ne_u32_e32 0, v24
	s_cbranch_execz .LBB4_1243
; %bb.1236:                             ;   in Loop: Header=BB4_1125 Depth=2
	v_bfe_u32 v113, v24, 23, 8
	v_and_b32_e32 v64, 0x7fffff, v24
	s_delay_alu instid0(VALU_DEP_2) | instskip(SKIP_1) | instid1(VALU_DEP_3)
	v_sub_nc_u32_e32 v25, 0x79, v113
	v_cmp_gt_u32_e64 s10, 0x7a, v113
	v_or_b32_e32 v102, 0x800000, v64
	s_delay_alu instid0(VALU_DEP_2) | instskip(SKIP_1) | instid1(VALU_DEP_1)
	v_cndmask_b32_e64 v25, 0, v25, s10
	v_cmp_eq_u32_e64 s10, 0, v113
	v_cndmask_b32_e64 v46, v25, 0x78, s10
	s_delay_alu instid0(VALU_DEP_1) | instskip(SKIP_1) | instid1(VALU_DEP_2)
	v_dual_cndmask_b32 v64, v102, v64, s10 :: v_dual_add_nc_u32 v103, 19, v46
	v_add_nc_u32_e32 v24, 20, v46
	v_lshlrev_b64_e64 v[102:103], v103, 1
	s_delay_alu instid0(VALU_DEP_2) | instskip(NEXT) | instid1(VALU_DEP_1)
	v_lshlrev_b64_e64 v[24:25], v24, -1
	v_bfi_b32 v57, v25, 0, 0
	s_delay_alu instid0(VALU_DEP_2) | instskip(SKIP_1) | instid1(VALU_DEP_2)
	v_bfi_b32 v56, v24, 0, v64
	v_lshrrev_b64 v[24:25], v46, v[64:65]
	v_cmp_eq_u64_e64 s11, v[56:57], v[102:103]
	s_delay_alu instid0(VALU_DEP_2)
	v_mov_b64_e32 v[102:103], v[24:25]
	s_and_saveexec_b32 s42, s11
; %bb.1237:                             ;   in Loop: Header=BB4_1125 Depth=2
	v_bfe_u32 v64, v24, 20, 1
	s_delay_alu instid0(VALU_DEP_1) | instskip(NEXT) | instid1(VALU_DEP_1)
	v_add_nc_u64_e32 v[102:103], v[24:25], v[64:65]
	v_add_nc_u64_e32 v[102:103], -1, v[102:103]
; %bb.1238:                             ;   in Loop: Header=BB4_1125 Depth=2
	s_or_b32 exec_lo, exec_lo, s42
	v_add_nc_u32_e32 v25, 0xffffff81, v113
	v_lshrrev_b32_e32 v64, 23, v24
	s_mov_b32 s11, exec_lo
	s_delay_alu instid0(VALU_DEP_2) | instskip(NEXT) | instid1(VALU_DEP_1)
	v_cndmask_b32_e64 v25, v25, 0xffffff82, s10
	v_add3_u32 v103, v46, v25, v64
	v_and_b32_e32 v25, 0xfffff, v102
                                        ; implicit-def: $vgpr102
	s_delay_alu instid0(VALU_DEP_1) | instskip(NEXT) | instid1(VALU_DEP_1)
	v_dual_add_nc_u32 v113, 6, v103 :: v_dual_add_nc_u32 v64, v25, v24
                                        ; implicit-def: $vgpr24_vgpr25
	v_cmpx_ne_u32_e32 0, v113
	s_xor_b32 s11, exec_lo, s11
; %bb.1239:                             ;   in Loop: Header=BB4_1125 Depth=2
	s_delay_alu instid0(VALU_DEP_2) | instskip(SKIP_1) | instid1(VALU_DEP_1)
	v_cmp_lt_u64_e64 s10, 0xffffff, v[64:65]
	v_add_nc_u32_e32 v24, 7, v103
	v_cndmask_b32_e64 v102, v113, v24, s10
	v_cndmask_b32_e64 v24, 0, 1, s10
	s_delay_alu instid0(VALU_DEP_1)
	v_lshrrev_b64 v[24:25], v24, v[64:65]
; %bb.1240:                             ;   in Loop: Header=BB4_1125 Depth=2
	s_and_not1_saveexec_b32 s10, s11
; %bb.1241:                             ;   in Loop: Header=BB4_1125 Depth=2
	v_mov_b64_e32 v[24:25], v[64:65]
	v_bfe_u32 v102, v64, 23, 1
; %bb.1242:                             ;   in Loop: Header=BB4_1125 Depth=2
	s_or_b32 exec_lo, exec_lo, s10
	s_delay_alu instid0(VALU_DEP_2) | instskip(NEXT) | instid1(VALU_DEP_2)
	v_lshrrev_b64 v[24:25], 20, v[24:25]
	v_cmp_gt_i32_e64 s10, 16, v102
	v_min_i32_e32 v64, 15, v102
	v_cmp_eq_u32_e64 s11, 0, v102
	s_delay_alu instid0(VALU_DEP_2) | instskip(SKIP_1) | instid1(VALU_DEP_2)
	v_dual_cndmask_b32 v25, 0, v25, s10 :: v_dual_lshlrev_b32 v64, 3, v64
	v_cndmask_b32_e64 v24, 7, v24, s10
	v_and_b32_e32 v64, 0xf8, v64
	s_delay_alu instid0(VALU_DEP_2) | instskip(NEXT) | instid1(VALU_DEP_2)
	v_cmp_eq_u64_e64 s10, 0, v[24:25]
	v_and_or_b32 v24, v24, 7, v64
	s_and_b32 s10, s11, s10
	s_delay_alu instid0(VALU_DEP_1) | instid1(SALU_CYCLE_1)
	v_cndmask_b32_e64 v24, v24, 0, s10
	s_delay_alu instid0(VALU_DEP_1)
	v_or_b32_e32 v46, v24, v112
.LBB4_1243:                             ;   in Loop: Header=BB4_1125 Depth=2
	s_or_b32 exec_lo, exec_lo, s41
                                        ; implicit-def: $vgpr112
.LBB4_1244:                             ;   in Loop: Header=BB4_1125 Depth=2
	s_and_not1_saveexec_b32 s10, s40
; %bb.1245:                             ;   in Loop: Header=BB4_1125 Depth=2
	v_or_b32_e32 v46, 0x7e, v112
; %bb.1246:                             ;   in Loop: Header=BB4_1125 Depth=2
	s_or_b32 exec_lo, exec_lo, s10
                                        ; implicit-def: $vgpr25
.LBB4_1247:                             ;   in Loop: Header=BB4_1125 Depth=2
	s_and_not1_saveexec_b32 s10, s12
; %bb.1248:                             ;   in Loop: Header=BB4_1125 Depth=2
	v_or_b32_e32 v46, 0x7f, v25
; %bb.1249:                             ;   in Loop: Header=BB4_1125 Depth=2
	s_or_b32 exec_lo, exec_lo, s10
	v_and_b32_e32 v24, 0xff, v15
	v_dual_mov_b32 v64, v15 :: v_dual_mov_b32 v102, 0
	s_mov_b32 s11, exec_lo
	s_delay_alu instid0(VALU_DEP_2)
	v_cmpx_ne_u16_e32 0, v24
	s_cbranch_execz .LBB4_1255
; %bb.1250:                             ;   in Loop: Header=BB4_1125 Depth=2
	v_bfrev_b32_e32 v102, 1
	s_mov_b32 s12, exec_lo
	v_cmpx_ne_u16_e32 0x80, v24
	s_cbranch_execz .LBB4_1254
; %bb.1251:                             ;   in Loop: Header=BB4_1125 Depth=2
	v_and_b32_e32 v24, 0x7f, v15
	v_mov_b32_e32 v102, 0x7f800001
	s_mov_b32 s40, exec_lo
	s_delay_alu instid0(VALU_DEP_2)
	v_cmpx_ne_u32_e32 0x7f, v24
	s_cbranch_execz .LBB4_1253
; %bb.1252:                             ;   in Loop: Header=BB4_1125 Depth=2
	v_dual_lshrrev_b32 v102, 3, v24 :: v_dual_bitop2_b32 v25, 7, v15 bitop3:0x40
	v_cmp_gt_u32_e64 s10, 8, v24
	s_delay_alu instid0(VALU_DEP_2) | instskip(NEXT) | instid1(VALU_DEP_1)
	v_clz_i32_u32_e32 v25, v25
	v_min_u32_e32 v25, 32, v25
	s_delay_alu instid0(VALU_DEP_1) | instskip(NEXT) | instid1(VALU_DEP_1)
	v_subrev_nc_u32_e32 v103, 28, v25
	v_dual_sub_nc_u32 v25, 29, v25 :: v_dual_cndmask_b32 v24, 0, v103, s10
	s_delay_alu instid0(VALU_DEP_1) | instskip(NEXT) | instid1(VALU_DEP_2)
	v_cndmask_b32_e64 v102, v102, v25, s10
	v_lshlrev_b64_e32 v[24:25], v24, v[64:65]
	v_lshlrev_b32_e32 v25, 24, v64
	s_delay_alu instid0(VALU_DEP_3) | instskip(NEXT) | instid1(VALU_DEP_2)
	v_lshl_add_u32 v102, v102, 23, 0x3c000000
	v_and_b32_e32 v25, 0x80000000, v25
	s_delay_alu instid0(VALU_DEP_4) | instskip(NEXT) | instid1(VALU_DEP_1)
	v_lshlrev_b32_e32 v24, 20, v24
	v_and_b32_e32 v24, 0x700000, v24
	s_delay_alu instid0(VALU_DEP_1)
	v_or3_b32 v102, v24, v25, v102
.LBB4_1253:                             ;   in Loop: Header=BB4_1125 Depth=2
	s_or_b32 exec_lo, exec_lo, s40
.LBB4_1254:                             ;   in Loop: Header=BB4_1125 Depth=2
	s_delay_alu instid0(SALU_CYCLE_1)
	s_or_b32 exec_lo, exec_lo, s12
.LBB4_1255:                             ;   in Loop: Header=BB4_1125 Depth=2
	s_delay_alu instid0(SALU_CYCLE_1) | instskip(SKIP_4) | instid1(VALU_DEP_2)
	s_or_b32 exec_lo, exec_lo, s11
	v_and_b32_e32 v25, 0xff, v11
	v_mov_b32_e32 v24, v11
	s_mov_b32 s11, 0
	s_mov_b32 s12, exec_lo
	v_cmpx_lt_i16_e32 0x7f, v25
	s_xor_b32 s12, exec_lo, s12
	s_cbranch_execz .LBB4_1290
; %bb.1256:                             ;   in Loop: Header=BB4_1125 Depth=2
	s_mov_b32 s11, -1
	s_mov_b32 s40, exec_lo
	v_cmpx_eq_u16_e32 0x80, v25
; %bb.1257:                             ;   in Loop: Header=BB4_1125 Depth=2
	s_xor_b32 s11, exec_lo, -1
; %bb.1258:                             ;   in Loop: Header=BB4_1125 Depth=2
	s_or_b32 exec_lo, exec_lo, s40
	s_delay_alu instid0(SALU_CYCLE_1)
	s_and_b32 s11, s11, exec_lo
                                        ; implicit-def: $vgpr25
	s_or_saveexec_b32 s12, s12
	v_bfrev_b32_e32 v103, 1
	s_xor_b32 exec_lo, exec_lo, s12
	s_cbranch_execnz .LBB4_1291
.LBB4_1259:                             ;   in Loop: Header=BB4_1125 Depth=2
	s_or_b32 exec_lo, exec_lo, s12
	v_mov_b32_e32 v25, v65
	s_and_saveexec_b32 s12, s11
	s_cbranch_execz .LBB4_1261
.LBB4_1260:                             ;   in Loop: Header=BB4_1125 Depth=2
	v_and_b32_e32 v47, 0x7f, v11
	v_bfe_u32 v112, v11, 3, 4
	s_delay_alu instid0(VALU_DEP_2) | instskip(SKIP_1) | instid1(VALU_DEP_1)
	v_cmp_gt_u32_e64 s10, 8, v47
	v_and_b32_e32 v103, 7, v11
	v_clz_i32_u32_e32 v103, v103
	s_delay_alu instid0(VALU_DEP_1) | instskip(NEXT) | instid1(VALU_DEP_1)
	v_min_u32_e32 v103, 32, v103
	v_subrev_nc_u32_e32 v113, 28, v103
	v_sub_nc_u32_e32 v103, 29, v103
	s_delay_alu instid0(VALU_DEP_1) | instskip(SKIP_1) | instid1(VALU_DEP_2)
	v_dual_cndmask_b32 v103, v112, v103, s10 :: v_dual_cndmask_b32 v112, 0, v113, s10
	v_cmp_ne_u32_e64 s10, 0x7f, v47
	v_lshlrev_b64_e32 v[112:113], v112, v[24:25]
	v_lshlrev_b32_e32 v25, 24, v24
	s_delay_alu instid0(VALU_DEP_1) | instskip(NEXT) | instid1(VALU_DEP_3)
	v_and_b32_e32 v25, 0x80000000, v25
	v_lshlrev_b32_e32 v112, 20, v112
	v_lshl_add_u32 v103, v103, 23, 0x3c000000
	s_delay_alu instid0(VALU_DEP_2) | instskip(NEXT) | instid1(VALU_DEP_1)
	v_and_b32_e32 v112, 0x700000, v112
	v_or3_b32 v25, v112, v25, v103
	s_delay_alu instid0(VALU_DEP_1)
	v_cndmask_b32_e64 v103, 0x7f800001, v25, s10
.LBB4_1261:                             ;   in Loop: Header=BB4_1125 Depth=2
	s_or_b32 exec_lo, exec_lo, s12
	s_delay_alu instid0(VALU_DEP_1) | instskip(NEXT) | instid1(VALU_DEP_1)
	v_dual_mul_f32 v102, v102, v103 :: v_dual_mov_b32 v113, v65
	v_and_b32_e32 v112, 0x7f800000, v102
	v_lshrrev_b32_e32 v25, 24, v102
	s_delay_alu instid0(VALU_DEP_2) | instskip(SKIP_1) | instid1(SALU_CYCLE_1)
	v_cmp_ne_u64_e64 s10, 0x7f800000, v[112:113]
                                        ; implicit-def: $vgpr112
	s_and_saveexec_b32 s11, s10
	s_xor_b32 s12, exec_lo, s11
	s_cbranch_execz .LBB4_1275
; %bb.1262:                             ;   in Loop: Header=BB4_1125 Depth=2
	v_and_b32_e32 v112, 0x7fffffff, v102
	v_mov_b32_e32 v113, v65
	v_and_b32_e32 v25, 0x80, v25
	s_delay_alu instid0(VALU_DEP_2) | instskip(SKIP_1) | instid1(SALU_CYCLE_1)
	v_cmp_gt_u64_e64 s10, 0x43e00001, v[112:113]
                                        ; implicit-def: $vgpr112
	s_and_saveexec_b32 s11, s10
	s_xor_b32 s40, exec_lo, s11
	s_cbranch_execz .LBB4_1272
; %bb.1263:                             ;   in Loop: Header=BB4_1125 Depth=2
	v_mov_b32_e32 v112, 0
	s_mov_b32 s41, exec_lo
	v_cmpx_ne_u32_e32 0, v102
	s_cbranch_execz .LBB4_1271
; %bb.1264:                             ;   in Loop: Header=BB4_1125 Depth=2
	v_bfe_u32 v47, v102, 23, 8
	v_and_b32_e32 v112, 0x7fffff, v102
	s_mov_b32 s42, exec_lo
	s_delay_alu instid0(VALU_DEP_2) | instskip(SKIP_1) | instid1(VALU_DEP_3)
	v_sub_nc_u32_e32 v103, 0x79, v47
	v_cmp_gt_u32_e64 s10, 0x7a, v47
	v_or_b32_e32 v113, 0x800000, v112
	s_delay_alu instid0(VALU_DEP_2) | instskip(SKIP_1) | instid1(VALU_DEP_1)
	v_cndmask_b32_e64 v103, 0, v103, s10
	v_cmp_eq_u32_e64 s10, 0, v47
	v_cndmask_b32_e64 v56, v103, 0x78, s10
	s_delay_alu instid0(VALU_DEP_4) | instskip(NEXT) | instid1(VALU_DEP_2)
	v_cndmask_b32_e64 v112, v113, v112, s10
	v_dual_mov_b32 v113, v65 :: v_dual_add_nc_u32 v57, 19, v56
	v_add_nc_u32_e32 v102, 20, v56
	s_delay_alu instid0(VALU_DEP_2) | instskip(NEXT) | instid1(VALU_DEP_2)
	v_lshlrev_b64_e64 v[58:59], v57, 1
	v_lshlrev_b64_e64 v[102:103], v102, -1
	s_delay_alu instid0(VALU_DEP_1) | instskip(NEXT) | instid1(VALU_DEP_2)
	v_bfi_b32 v61, v103, 0, 0
	v_bfi_b32 v60, v102, 0, v112
	v_lshrrev_b64 v[102:103], v56, v[112:113]
	s_delay_alu instid0(VALU_DEP_1) | instskip(NEXT) | instid1(VALU_DEP_3)
	v_mov_b64_e32 v[112:113], v[102:103]
	v_cmpx_eq_u64_e64 v[60:61], v[58:59]
; %bb.1265:                             ;   in Loop: Header=BB4_1125 Depth=2
	v_bfe_u32 v112, v102, 20, 1
	v_mov_b32_e32 v113, v65
	s_delay_alu instid0(VALU_DEP_1) | instskip(NEXT) | instid1(VALU_DEP_1)
	v_add_nc_u64_e32 v[112:113], v[102:103], v[112:113]
	v_add_nc_u64_e32 v[112:113], -1, v[112:113]
; %bb.1266:                             ;   in Loop: Header=BB4_1125 Depth=2
	s_or_b32 exec_lo, exec_lo, s42
	v_add_nc_u32_e32 v103, 0xffffff81, v47
	v_lshrrev_b32_e32 v113, 23, v102
	s_mov_b32 s11, exec_lo
	s_delay_alu instid0(VALU_DEP_2) | instskip(NEXT) | instid1(VALU_DEP_1)
	v_cndmask_b32_e64 v103, v103, 0xffffff82, s10
	v_add3_u32 v113, v56, v103, v113
	v_and_b32_e32 v103, 0xfffff, v112
                                        ; implicit-def: $vgpr112
	s_delay_alu instid0(VALU_DEP_1) | instskip(SKIP_1) | instid1(VALU_DEP_2)
	v_dual_add_nc_u32 v47, 6, v113 :: v_dual_add_nc_u32 v102, v103, v102
	v_mov_b32_e32 v103, v65
	v_cmpx_ne_u32_e32 0, v47
	s_xor_b32 s11, exec_lo, s11
; %bb.1267:                             ;   in Loop: Header=BB4_1125 Depth=2
	s_delay_alu instid0(VALU_DEP_2) | instskip(SKIP_1) | instid1(VALU_DEP_2)
	v_cmp_lt_u64_e64 s10, 0xffffff, v[102:103]
	v_add_nc_u32_e32 v112, 7, v113
	v_cndmask_b32_e64 v113, 0, 1, s10
	s_delay_alu instid0(VALU_DEP_2) | instskip(NEXT) | instid1(VALU_DEP_2)
	v_cndmask_b32_e64 v112, v47, v112, s10
	v_lshrrev_b64 v[102:103], v113, v[102:103]
; %bb.1268:                             ;   in Loop: Header=BB4_1125 Depth=2
	s_and_not1_saveexec_b32 s10, s11
; %bb.1269:                             ;   in Loop: Header=BB4_1125 Depth=2
	s_delay_alu instid0(VALU_DEP_1)
	v_bfe_u32 v112, v102, 23, 1
; %bb.1270:                             ;   in Loop: Header=BB4_1125 Depth=2
	s_or_b32 exec_lo, exec_lo, s10
	s_delay_alu instid0(VALU_DEP_2) | instskip(NEXT) | instid1(VALU_DEP_2)
	v_lshrrev_b64 v[102:103], 20, v[102:103]
	v_cmp_gt_i32_e64 s10, 16, v112
	v_min_i32_e32 v113, 15, v112
	v_cmp_eq_u32_e64 s11, 0, v112
	s_delay_alu instid0(VALU_DEP_2) | instskip(SKIP_1) | instid1(VALU_DEP_2)
	v_dual_cndmask_b32 v103, 0, v103, s10 :: v_dual_lshlrev_b32 v113, 3, v113
	v_cndmask_b32_e64 v102, 7, v102, s10
	v_and_b32_e32 v113, 0xf8, v113
	s_delay_alu instid0(VALU_DEP_2) | instskip(NEXT) | instid1(VALU_DEP_2)
	v_cmp_eq_u64_e64 s10, 0, v[102:103]
	v_and_or_b32 v102, v102, 7, v113
	s_and_b32 s10, s11, s10
	s_delay_alu instid0(VALU_DEP_1) | instid1(SALU_CYCLE_1)
	v_cndmask_b32_e64 v102, v102, 0, s10
	s_delay_alu instid0(VALU_DEP_1)
	v_or_b32_e32 v112, v102, v25
.LBB4_1271:                             ;   in Loop: Header=BB4_1125 Depth=2
	s_or_b32 exec_lo, exec_lo, s41
                                        ; implicit-def: $vgpr25
.LBB4_1272:                             ;   in Loop: Header=BB4_1125 Depth=2
	s_and_not1_saveexec_b32 s10, s40
; %bb.1273:                             ;   in Loop: Header=BB4_1125 Depth=2
	v_or_b32_e32 v112, 0x7e, v25
; %bb.1274:                             ;   in Loop: Header=BB4_1125 Depth=2
	s_or_b32 exec_lo, exec_lo, s10
                                        ; implicit-def: $vgpr25
.LBB4_1275:                             ;   in Loop: Header=BB4_1125 Depth=2
	s_and_not1_saveexec_b32 s10, s12
; %bb.1276:                             ;   in Loop: Header=BB4_1125 Depth=2
	v_or_b32_e32 v112, 0x7f, v25
; %bb.1277:                             ;   in Loop: Header=BB4_1125 Depth=2
	s_or_b32 exec_lo, exec_lo, s10
	v_lshrrev_b16 v102, 8, v64
	v_mov_b32_e32 v25, 0
	s_mov_b32 s11, exec_lo
	s_delay_alu instid0(VALU_DEP_2)
	v_cmpx_ne_u16_e32 0, v102
	s_cbranch_execz .LBB4_1285
; %bb.1278:                             ;   in Loop: Header=BB4_1125 Depth=2
	v_bfrev_b32_e32 v25, 1
	s_mov_b32 s12, exec_lo
	v_cmpx_ne_u16_e32 0x80, v102
	s_cbranch_execz .LBB4_1284
; %bb.1279:                             ;   in Loop: Header=BB4_1125 Depth=2
	v_and_b32_e32 v102, 0xffff, v102
	v_mov_b32_e32 v25, 0x7f800001
	s_mov_b32 s40, exec_lo
	s_delay_alu instid0(VALU_DEP_2) | instskip(NEXT) | instid1(VALU_DEP_1)
	v_and_b32_e32 v113, 0x7f, v102
	v_cmpx_ne_u32_e32 0x7f, v113
	s_cbranch_execz .LBB4_1283
; %bb.1280:                             ;   in Loop: Header=BB4_1125 Depth=2
	v_dual_mov_b32 v103, v65 :: v_dual_bitop2_b32 v102, 7, v102 bitop3:0x40
	v_lshrrev_b32_e32 v25, 3, v113
	s_mov_b32 s41, exec_lo
	v_cmpx_gt_u32_e32 8, v113
; %bb.1281:                             ;   in Loop: Header=BB4_1125 Depth=2
	s_delay_alu instid0(VALU_DEP_3) | instskip(NEXT) | instid1(VALU_DEP_1)
	v_clz_i32_u32_e32 v25, v102
	v_min_u32_e32 v25, 32, v25
	s_delay_alu instid0(VALU_DEP_1) | instskip(NEXT) | instid1(VALU_DEP_1)
	v_subrev_nc_u32_e32 v113, 28, v25
	v_lshlrev_b64_e32 v[102:103], v113, v[102:103]
	s_delay_alu instid0(VALU_DEP_1)
	v_dual_sub_nc_u32 v25, 29, v25 :: v_dual_bitop2_b32 v102, 7, v102 bitop3:0x40
; %bb.1282:                             ;   in Loop: Header=BB4_1125 Depth=2
	s_or_b32 exec_lo, exec_lo, s41
	s_delay_alu instid0(VALU_DEP_1) | instskip(NEXT) | instid1(VALU_DEP_2)
	v_dual_lshlrev_b32 v64, 16, v64 :: v_dual_lshlrev_b32 v102, 20, v102
	v_lshl_add_u32 v25, v25, 23, 0x3c000000
	s_delay_alu instid0(VALU_DEP_2) | instskip(NEXT) | instid1(VALU_DEP_1)
	v_and_b32_e32 v64, 0x80000000, v64
	v_or3_b32 v25, v102, v64, v25
.LBB4_1283:                             ;   in Loop: Header=BB4_1125 Depth=2
	s_or_b32 exec_lo, exec_lo, s40
.LBB4_1284:                             ;   in Loop: Header=BB4_1125 Depth=2
	s_delay_alu instid0(SALU_CYCLE_1)
	s_or_b32 exec_lo, exec_lo, s12
.LBB4_1285:                             ;   in Loop: Header=BB4_1125 Depth=2
	s_delay_alu instid0(SALU_CYCLE_1) | instskip(SKIP_3) | instid1(VALU_DEP_1)
	s_or_b32 exec_lo, exec_lo, s11
	v_lshrrev_b16 v64, 8, v24
	s_mov_b32 s12, 0
	s_mov_b32 s11, exec_lo
	v_cmpx_lt_i16_e32 0x7f, v64
	s_xor_b32 s11, exec_lo, s11
	s_cbranch_execz .LBB4_1292
; %bb.1286:                             ;   in Loop: Header=BB4_1125 Depth=2
	s_mov_b32 s12, -1
	s_mov_b32 s40, exec_lo
	v_cmpx_eq_u16_e32 0x80, v64
; %bb.1287:                             ;   in Loop: Header=BB4_1125 Depth=2
	s_xor_b32 s12, exec_lo, -1
; %bb.1288:                             ;   in Loop: Header=BB4_1125 Depth=2
	s_or_b32 exec_lo, exec_lo, s40
	s_delay_alu instid0(SALU_CYCLE_1)
	s_and_b32 s12, s12, exec_lo
	s_or_saveexec_b32 s11, s11
	v_bfrev_b32_e32 v102, 1
	s_xor_b32 exec_lo, exec_lo, s11
	s_cbranch_execnz .LBB4_1293
.LBB4_1289:                             ;   in Loop: Header=BB4_1125 Depth=2
	s_or_b32 exec_lo, exec_lo, s11
	s_and_saveexec_b32 s11, s12
	s_cbranch_execnz .LBB4_1294
	s_branch .LBB4_1297
.LBB4_1290:                             ;   in Loop: Header=BB4_1125 Depth=2
	s_or_saveexec_b32 s12, s12
	v_bfrev_b32_e32 v103, 1
	s_xor_b32 exec_lo, exec_lo, s12
	s_cbranch_execz .LBB4_1259
.LBB4_1291:                             ;   in Loop: Header=BB4_1125 Depth=2
	v_cmp_ne_u16_e64 s10, 0, v25
	v_mov_b32_e32 v103, 0
	s_and_not1_b32 s11, s11, exec_lo
	s_and_b32 s10, s10, exec_lo
	s_delay_alu instid0(SALU_CYCLE_1)
	s_or_b32 s11, s11, s10
	s_or_b32 exec_lo, exec_lo, s12
	v_mov_b32_e32 v25, v65
	s_and_saveexec_b32 s12, s11
	s_cbranch_execnz .LBB4_1260
	s_branch .LBB4_1261
.LBB4_1292:                             ;   in Loop: Header=BB4_1125 Depth=2
	s_or_saveexec_b32 s11, s11
	v_bfrev_b32_e32 v102, 1
	s_xor_b32 exec_lo, exec_lo, s11
	s_cbranch_execz .LBB4_1289
.LBB4_1293:                             ;   in Loop: Header=BB4_1125 Depth=2
	v_cmp_ne_u16_e64 s10, 0, v64
	v_mov_b32_e32 v102, 0
	s_and_not1_b32 s12, s12, exec_lo
	s_and_b32 s10, s10, exec_lo
	s_delay_alu instid0(SALU_CYCLE_1)
	s_or_b32 s12, s12, s10
	s_or_b32 exec_lo, exec_lo, s11
	s_and_saveexec_b32 s11, s12
	s_cbranch_execz .LBB4_1297
.LBB4_1294:                             ;   in Loop: Header=BB4_1125 Depth=2
	v_and_b32_e32 v24, 0xffff, v64
	v_mov_b32_e32 v102, 0x7f800001
	s_mov_b32 s12, exec_lo
	s_delay_alu instid0(VALU_DEP_2) | instskip(NEXT) | instid1(VALU_DEP_1)
	v_and_b32_e32 v103, 0x7f, v24
	v_cmpx_ne_u32_e32 0x7f, v103
	s_cbranch_execz .LBB4_1296
; %bb.1295:                             ;   in Loop: Header=BB4_1125 Depth=2
	v_and_b32_e32 v102, 7, v24
	v_cmp_gt_u32_e64 s10, 8, v103
	s_delay_alu instid0(VALU_DEP_2) | instskip(NEXT) | instid1(VALU_DEP_1)
	v_clz_i32_u32_e32 v113, v102
	v_min_u32_e32 v113, 32, v113
	s_delay_alu instid0(VALU_DEP_1) | instskip(NEXT) | instid1(VALU_DEP_1)
	v_subrev_nc_u32_e32 v47, 28, v113
	v_lshlrev_b64_e32 v[56:57], v47, v[24:25]
	v_dual_lshrrev_b32 v24, 3, v103 :: v_dual_sub_nc_u32 v113, 29, v113
	s_delay_alu instid0(VALU_DEP_2) | instskip(NEXT) | instid1(VALU_DEP_2)
	v_and_b32_e32 v103, 7, v56
	v_dual_lshlrev_b32 v64, 24, v64 :: v_dual_cndmask_b32 v24, v24, v113, s10
	s_delay_alu instid0(VALU_DEP_2) | instskip(NEXT) | instid1(VALU_DEP_2)
	v_cndmask_b32_e64 v102, v102, v103, s10
	v_and_b32_e32 v64, 0x80000000, v64
	s_delay_alu instid0(VALU_DEP_3) | instskip(NEXT) | instid1(VALU_DEP_3)
	v_lshl_add_u32 v24, v24, 23, 0x3c000000
	v_lshlrev_b32_e32 v102, 20, v102
	s_delay_alu instid0(VALU_DEP_1)
	v_or3_b32 v102, v102, v64, v24
.LBB4_1296:                             ;   in Loop: Header=BB4_1125 Depth=2
	s_or_b32 exec_lo, exec_lo, s12
.LBB4_1297:                             ;   in Loop: Header=BB4_1125 Depth=2
	s_delay_alu instid0(SALU_CYCLE_1) | instskip(NEXT) | instid1(VALU_DEP_1)
	s_or_b32 exec_lo, exec_lo, s11
	v_mul_f32_e32 v24, v25, v102
                                        ; implicit-def: $vgpr113
	s_mov_b32 s11, exec_lo
	s_delay_alu instid0(VALU_DEP_1) | instskip(SKIP_1) | instid1(VALU_DEP_2)
	v_and_b32_e32 v64, 0x7f800000, v24
	v_lshrrev_b32_e32 v25, 24, v24
	v_cmpx_ne_u64_e32 0x7f800000, v[64:65]
	s_xor_b32 s12, exec_lo, s11
	s_cbranch_execz .LBB4_1311
; %bb.1298:                             ;   in Loop: Header=BB4_1125 Depth=2
	v_and_b32_e32 v64, 0x7fffffff, v24
	v_and_b32_e32 v47, 0x80, v25
                                        ; implicit-def: $vgpr113
	s_mov_b32 s11, exec_lo
	s_delay_alu instid0(VALU_DEP_2)
	v_cmpx_gt_u64_e32 0x43e00001, v[64:65]
	s_xor_b32 s40, exec_lo, s11
	s_cbranch_execz .LBB4_1308
; %bb.1299:                             ;   in Loop: Header=BB4_1125 Depth=2
	v_mov_b32_e32 v113, 0
	s_mov_b32 s41, exec_lo
	v_cmpx_ne_u32_e32 0, v24
	s_cbranch_execz .LBB4_1307
; %bb.1300:                             ;   in Loop: Header=BB4_1125 Depth=2
	v_bfe_u32 v113, v24, 23, 8
	v_and_b32_e32 v64, 0x7fffff, v24
	s_delay_alu instid0(VALU_DEP_2) | instskip(SKIP_1) | instid1(VALU_DEP_3)
	v_sub_nc_u32_e32 v25, 0x79, v113
	v_cmp_gt_u32_e64 s10, 0x7a, v113
	v_or_b32_e32 v102, 0x800000, v64
	s_delay_alu instid0(VALU_DEP_2) | instskip(SKIP_1) | instid1(VALU_DEP_1)
	v_cndmask_b32_e64 v25, 0, v25, s10
	v_cmp_eq_u32_e64 s10, 0, v113
	v_cndmask_b32_e64 v56, v25, 0x78, s10
	s_delay_alu instid0(VALU_DEP_4) | instskip(NEXT) | instid1(VALU_DEP_2)
	v_cndmask_b32_e64 v64, v102, v64, s10
	v_dual_add_nc_u32 v24, 20, v56 :: v_dual_add_nc_u32 v103, 19, v56
	s_delay_alu instid0(VALU_DEP_1) | instskip(NEXT) | instid1(VALU_DEP_2)
	v_lshlrev_b64_e64 v[24:25], v24, -1
	v_lshlrev_b64_e64 v[102:103], v103, 1
	s_delay_alu instid0(VALU_DEP_2) | instskip(NEXT) | instid1(VALU_DEP_3)
	v_bfi_b32 v59, v25, 0, 0
	v_bfi_b32 v58, v24, 0, v64
	v_lshrrev_b64 v[24:25], v56, v[64:65]
	s_delay_alu instid0(VALU_DEP_2) | instskip(NEXT) | instid1(VALU_DEP_2)
	v_cmp_eq_u64_e64 s11, v[58:59], v[102:103]
	v_mov_b64_e32 v[102:103], v[24:25]
	s_and_saveexec_b32 s42, s11
; %bb.1301:                             ;   in Loop: Header=BB4_1125 Depth=2
	v_bfe_u32 v64, v24, 20, 1
	s_delay_alu instid0(VALU_DEP_1) | instskip(NEXT) | instid1(VALU_DEP_1)
	v_add_nc_u64_e32 v[102:103], v[24:25], v[64:65]
	v_add_nc_u64_e32 v[102:103], -1, v[102:103]
; %bb.1302:                             ;   in Loop: Header=BB4_1125 Depth=2
	s_or_b32 exec_lo, exec_lo, s42
	v_add_nc_u32_e32 v25, 0xffffff81, v113
	v_lshrrev_b32_e32 v64, 23, v24
	s_mov_b32 s11, exec_lo
	s_delay_alu instid0(VALU_DEP_2) | instskip(NEXT) | instid1(VALU_DEP_1)
	v_cndmask_b32_e64 v25, v25, 0xffffff82, s10
	v_add3_u32 v103, v56, v25, v64
	v_and_b32_e32 v25, 0xfffff, v102
                                        ; implicit-def: $vgpr102
	s_delay_alu instid0(VALU_DEP_1) | instskip(NEXT) | instid1(VALU_DEP_1)
	v_dual_add_nc_u32 v113, 6, v103 :: v_dual_add_nc_u32 v64, v25, v24
                                        ; implicit-def: $vgpr24_vgpr25
	v_cmpx_ne_u32_e32 0, v113
	s_xor_b32 s11, exec_lo, s11
; %bb.1303:                             ;   in Loop: Header=BB4_1125 Depth=2
	s_delay_alu instid0(VALU_DEP_2) | instskip(SKIP_1) | instid1(VALU_DEP_1)
	v_cmp_lt_u64_e64 s10, 0xffffff, v[64:65]
	v_add_nc_u32_e32 v24, 7, v103
	v_cndmask_b32_e64 v102, v113, v24, s10
	v_cndmask_b32_e64 v24, 0, 1, s10
	s_delay_alu instid0(VALU_DEP_1)
	v_lshrrev_b64 v[24:25], v24, v[64:65]
; %bb.1304:                             ;   in Loop: Header=BB4_1125 Depth=2
	s_and_not1_saveexec_b32 s10, s11
; %bb.1305:                             ;   in Loop: Header=BB4_1125 Depth=2
	v_mov_b64_e32 v[24:25], v[64:65]
	v_bfe_u32 v102, v64, 23, 1
; %bb.1306:                             ;   in Loop: Header=BB4_1125 Depth=2
	s_or_b32 exec_lo, exec_lo, s10
	s_delay_alu instid0(VALU_DEP_2) | instskip(NEXT) | instid1(VALU_DEP_2)
	v_lshrrev_b64 v[24:25], 20, v[24:25]
	v_cmp_gt_i32_e64 s10, 16, v102
	v_min_i32_e32 v64, 15, v102
	v_cmp_eq_u32_e64 s11, 0, v102
	s_delay_alu instid0(VALU_DEP_2) | instskip(SKIP_1) | instid1(VALU_DEP_2)
	v_dual_cndmask_b32 v25, 0, v25, s10 :: v_dual_lshlrev_b32 v64, 3, v64
	v_cndmask_b32_e64 v24, 7, v24, s10
	v_and_b32_e32 v64, 0xf8, v64
	s_delay_alu instid0(VALU_DEP_2) | instskip(NEXT) | instid1(VALU_DEP_2)
	v_cmp_eq_u64_e64 s10, 0, v[24:25]
	v_and_or_b32 v24, v24, 7, v64
	s_and_b32 s10, s11, s10
	s_delay_alu instid0(VALU_DEP_1) | instid1(SALU_CYCLE_1)
	v_cndmask_b32_e64 v24, v24, 0, s10
	s_delay_alu instid0(VALU_DEP_1)
	v_or_b32_e32 v113, v24, v47
.LBB4_1307:                             ;   in Loop: Header=BB4_1125 Depth=2
	s_or_b32 exec_lo, exec_lo, s41
                                        ; implicit-def: $vgpr47
.LBB4_1308:                             ;   in Loop: Header=BB4_1125 Depth=2
	s_and_not1_saveexec_b32 s10, s40
; %bb.1309:                             ;   in Loop: Header=BB4_1125 Depth=2
	v_or_b32_e32 v113, 0x7e, v47
; %bb.1310:                             ;   in Loop: Header=BB4_1125 Depth=2
	s_or_b32 exec_lo, exec_lo, s10
                                        ; implicit-def: $vgpr25
.LBB4_1311:                             ;   in Loop: Header=BB4_1125 Depth=2
	s_and_not1_saveexec_b32 s10, s12
; %bb.1312:                             ;   in Loop: Header=BB4_1125 Depth=2
	v_or_b32_e32 v113, 0x7f, v25
; %bb.1313:                             ;   in Loop: Header=BB4_1125 Depth=2
	s_or_b32 exec_lo, exec_lo, s10
	v_dual_mov_b32 v25, 0 :: v_dual_lshrrev_b32 v24, 16, v15
	s_mov_b32 s11, exec_lo
	s_delay_alu instid0(VALU_DEP_1) | instskip(NEXT) | instid1(VALU_DEP_1)
	v_and_b32_e32 v64, 0xff, v24
	v_cmpx_ne_u16_e32 0, v64
	s_cbranch_execz .LBB4_1321
; %bb.1314:                             ;   in Loop: Header=BB4_1125 Depth=2
	v_bfrev_b32_e32 v25, 1
	s_mov_b32 s12, exec_lo
	v_cmpx_ne_u16_e32 0x80, v64
	s_cbranch_execz .LBB4_1320
; %bb.1315:                             ;   in Loop: Header=BB4_1125 Depth=2
	v_bfe_u32 v102, v15, 16, 7
	v_mov_b32_e32 v25, 0x7f800001
	s_mov_b32 s40, exec_lo
	s_delay_alu instid0(VALU_DEP_2)
	v_cmpx_ne_u32_e32 0x7f, v102
	s_cbranch_execz .LBB4_1319
; %bb.1316:                             ;   in Loop: Header=BB4_1125 Depth=2
	v_dual_lshrrev_b32 v25, 3, v102 :: v_dual_bitop2_b32 v64, 7, v24 bitop3:0x40
	s_mov_b32 s41, exec_lo
	v_cmpx_gt_u32_e32 8, v102
; %bb.1317:                             ;   in Loop: Header=BB4_1125 Depth=2
	s_delay_alu instid0(VALU_DEP_2) | instskip(NEXT) | instid1(VALU_DEP_1)
	v_clz_i32_u32_e32 v25, v64
	v_min_u32_e32 v25, 32, v25
	s_delay_alu instid0(VALU_DEP_1) | instskip(NEXT) | instid1(VALU_DEP_1)
	v_subrev_nc_u32_e32 v102, 28, v25
	v_lshlrev_b64_e32 v[102:103], v102, v[64:65]
	s_delay_alu instid0(VALU_DEP_1)
	v_dual_sub_nc_u32 v25, 29, v25 :: v_dual_bitop2_b32 v64, 7, v102 bitop3:0x40
; %bb.1318:                             ;   in Loop: Header=BB4_1125 Depth=2
	s_or_b32 exec_lo, exec_lo, s41
	v_lshlrev_b32_e32 v24, 24, v24
	s_delay_alu instid0(VALU_DEP_2) | instskip(NEXT) | instid1(VALU_DEP_3)
	v_lshlrev_b32_e32 v64, 20, v64
	v_lshl_add_u32 v25, v25, 23, 0x3c000000
	s_delay_alu instid0(VALU_DEP_3) | instskip(NEXT) | instid1(VALU_DEP_1)
	v_and_b32_e32 v24, 0x80000000, v24
	v_or3_b32 v25, v64, v24, v25
.LBB4_1319:                             ;   in Loop: Header=BB4_1125 Depth=2
	s_or_b32 exec_lo, exec_lo, s40
.LBB4_1320:                             ;   in Loop: Header=BB4_1125 Depth=2
	s_delay_alu instid0(SALU_CYCLE_1)
	s_or_b32 exec_lo, exec_lo, s12
.LBB4_1321:                             ;   in Loop: Header=BB4_1125 Depth=2
	s_delay_alu instid0(SALU_CYCLE_1) | instskip(SKIP_3) | instid1(VALU_DEP_1)
	s_or_b32 exec_lo, exec_lo, s11
	v_lshrrev_b32_e32 v24, 16, v11
	s_mov_b32 s12, 0
	s_mov_b32 s11, exec_lo
	v_and_b32_e32 v102, 0xff, v24
	s_delay_alu instid0(VALU_DEP_1)
	v_cmpx_lt_i16_e32 0x7f, v102
	s_xor_b32 s11, exec_lo, s11
	s_cbranch_execz .LBB4_1326
; %bb.1322:                             ;   in Loop: Header=BB4_1125 Depth=2
	s_mov_b32 s12, -1
	s_mov_b32 s40, exec_lo
	v_cmpx_eq_u16_e32 0x80, v102
; %bb.1323:                             ;   in Loop: Header=BB4_1125 Depth=2
	s_xor_b32 s12, exec_lo, -1
; %bb.1324:                             ;   in Loop: Header=BB4_1125 Depth=2
	s_or_b32 exec_lo, exec_lo, s40
	s_delay_alu instid0(SALU_CYCLE_1)
	s_and_b32 s12, s12, exec_lo
                                        ; implicit-def: $vgpr102
	s_or_saveexec_b32 s11, s11
	v_bfrev_b32_e32 v64, 1
	s_xor_b32 exec_lo, exec_lo, s11
	s_cbranch_execnz .LBB4_1327
.LBB4_1325:                             ;   in Loop: Header=BB4_1125 Depth=2
	s_or_b32 exec_lo, exec_lo, s11
	s_and_saveexec_b32 s11, s12
	s_cbranch_execnz .LBB4_1328
	s_branch .LBB4_1331
.LBB4_1326:                             ;   in Loop: Header=BB4_1125 Depth=2
	s_or_saveexec_b32 s11, s11
	v_bfrev_b32_e32 v64, 1
	s_xor_b32 exec_lo, exec_lo, s11
	s_cbranch_execz .LBB4_1325
.LBB4_1327:                             ;   in Loop: Header=BB4_1125 Depth=2
	v_cmp_ne_u16_e64 s10, 0, v102
	v_mov_b32_e32 v64, 0
	s_and_not1_b32 s12, s12, exec_lo
	s_and_b32 s10, s10, exec_lo
	s_delay_alu instid0(SALU_CYCLE_1)
	s_or_b32 s12, s12, s10
	s_or_b32 exec_lo, exec_lo, s11
	s_and_saveexec_b32 s11, s12
	s_cbranch_execz .LBB4_1331
.LBB4_1328:                             ;   in Loop: Header=BB4_1125 Depth=2
	v_and_b32_e32 v102, 0x7f, v24
	v_mov_b32_e32 v64, 0x7f800001
	s_mov_b32 s12, exec_lo
	s_delay_alu instid0(VALU_DEP_2)
	v_cmpx_ne_u32_e32 0x7f, v102
	s_cbranch_execz .LBB4_1330
; %bb.1329:                             ;   in Loop: Header=BB4_1125 Depth=2
	v_and_b32_e32 v64, 7, v24
	v_cmp_gt_u32_e64 s10, 8, v102
	s_delay_alu instid0(VALU_DEP_2) | instskip(NEXT) | instid1(VALU_DEP_1)
	v_clz_i32_u32_e32 v103, v64
	v_min_u32_e32 v103, 32, v103
	s_delay_alu instid0(VALU_DEP_1) | instskip(NEXT) | instid1(VALU_DEP_1)
	v_subrev_nc_u32_e32 v47, 28, v103
	v_lshlrev_b64_e32 v[56:57], v47, v[24:25]
	v_dual_lshrrev_b32 v47, 3, v102 :: v_dual_sub_nc_u32 v103, 29, v103
	s_delay_alu instid0(VALU_DEP_2) | instskip(NEXT) | instid1(VALU_DEP_2)
	v_and_b32_e32 v102, 7, v56
	v_dual_lshlrev_b32 v24, 24, v24 :: v_dual_cndmask_b32 v103, v47, v103, s10
	s_delay_alu instid0(VALU_DEP_2) | instskip(NEXT) | instid1(VALU_DEP_2)
	v_cndmask_b32_e64 v64, v64, v102, s10
	v_and_b32_e32 v24, 0x80000000, v24
	s_delay_alu instid0(VALU_DEP_3) | instskip(NEXT) | instid1(VALU_DEP_3)
	v_lshl_add_u32 v102, v103, 23, 0x3c000000
	v_lshlrev_b32_e32 v64, 20, v64
	s_delay_alu instid0(VALU_DEP_1)
	v_or3_b32 v64, v64, v24, v102
.LBB4_1330:                             ;   in Loop: Header=BB4_1125 Depth=2
	s_or_b32 exec_lo, exec_lo, s12
.LBB4_1331:                             ;   in Loop: Header=BB4_1125 Depth=2
	s_delay_alu instid0(SALU_CYCLE_1) | instskip(NEXT) | instid1(VALU_DEP_1)
	s_or_b32 exec_lo, exec_lo, s11
	v_mul_f32_e32 v24, v25, v64
                                        ; implicit-def: $vgpr102
	s_mov_b32 s11, exec_lo
	s_delay_alu instid0(VALU_DEP_1) | instskip(SKIP_1) | instid1(VALU_DEP_2)
	v_and_b32_e32 v64, 0x7f800000, v24
	v_lshrrev_b32_e32 v25, 24, v24
	v_cmpx_ne_u64_e32 0x7f800000, v[64:65]
	s_xor_b32 s12, exec_lo, s11
	s_cbranch_execz .LBB4_1345
; %bb.1332:                             ;   in Loop: Header=BB4_1125 Depth=2
	v_and_b32_e32 v64, 0x7fffffff, v24
	v_and_b32_e32 v47, 0x80, v25
                                        ; implicit-def: $vgpr102
	s_mov_b32 s11, exec_lo
	s_delay_alu instid0(VALU_DEP_2)
	v_cmpx_gt_u64_e32 0x43e00001, v[64:65]
	s_xor_b32 s40, exec_lo, s11
	s_cbranch_execz .LBB4_1342
; %bb.1333:                             ;   in Loop: Header=BB4_1125 Depth=2
	v_mov_b32_e32 v102, 0
	s_mov_b32 s41, exec_lo
	v_cmpx_ne_u32_e32 0, v24
	s_cbranch_execz .LBB4_1341
; %bb.1334:                             ;   in Loop: Header=BB4_1125 Depth=2
	v_bfe_u32 v56, v24, 23, 8
	v_and_b32_e32 v64, 0x7fffff, v24
	s_delay_alu instid0(VALU_DEP_2) | instskip(SKIP_1) | instid1(VALU_DEP_3)
	v_sub_nc_u32_e32 v25, 0x79, v56
	v_cmp_gt_u32_e64 s10, 0x7a, v56
	v_or_b32_e32 v102, 0x800000, v64
	s_delay_alu instid0(VALU_DEP_2) | instskip(SKIP_1) | instid1(VALU_DEP_1)
	v_cndmask_b32_e64 v25, 0, v25, s10
	v_cmp_eq_u32_e64 s10, 0, v56
	v_cndmask_b32_e64 v64, v102, v64, s10
	s_delay_alu instid0(VALU_DEP_3) | instskip(NEXT) | instid1(VALU_DEP_1)
	v_cndmask_b32_e64 v57, v25, 0x78, s10
	v_dual_add_nc_u32 v24, 20, v57 :: v_dual_add_nc_u32 v103, 19, v57
	s_delay_alu instid0(VALU_DEP_1) | instskip(NEXT) | instid1(VALU_DEP_2)
	v_lshlrev_b64_e64 v[24:25], v24, -1
	v_lshlrev_b64_e64 v[102:103], v103, 1
	s_delay_alu instid0(VALU_DEP_2) | instskip(NEXT) | instid1(VALU_DEP_3)
	v_bfi_b32 v59, v25, 0, 0
	v_bfi_b32 v58, v24, 0, v64
	v_lshrrev_b64 v[24:25], v57, v[64:65]
	s_delay_alu instid0(VALU_DEP_2) | instskip(NEXT) | instid1(VALU_DEP_2)
	v_cmp_eq_u64_e64 s11, v[58:59], v[102:103]
	v_mov_b64_e32 v[102:103], v[24:25]
	s_and_saveexec_b32 s42, s11
; %bb.1335:                             ;   in Loop: Header=BB4_1125 Depth=2
	v_bfe_u32 v64, v24, 20, 1
	s_delay_alu instid0(VALU_DEP_1) | instskip(NEXT) | instid1(VALU_DEP_1)
	v_add_nc_u64_e32 v[102:103], v[24:25], v[64:65]
	v_add_nc_u64_e32 v[102:103], -1, v[102:103]
; %bb.1336:                             ;   in Loop: Header=BB4_1125 Depth=2
	s_or_b32 exec_lo, exec_lo, s42
	v_add_nc_u32_e32 v25, 0xffffff81, v56
	v_lshrrev_b32_e32 v64, 23, v24
	s_mov_b32 s11, exec_lo
	s_delay_alu instid0(VALU_DEP_2) | instskip(NEXT) | instid1(VALU_DEP_1)
	v_cndmask_b32_e64 v25, v25, 0xffffff82, s10
	v_add3_u32 v103, v57, v25, v64
	v_and_b32_e32 v25, 0xfffff, v102
                                        ; implicit-def: $vgpr102
	s_delay_alu instid0(VALU_DEP_1) | instskip(NEXT) | instid1(VALU_DEP_1)
	v_dual_add_nc_u32 v56, 6, v103 :: v_dual_add_nc_u32 v64, v25, v24
                                        ; implicit-def: $vgpr24_vgpr25
	v_cmpx_ne_u32_e32 0, v56
	s_xor_b32 s11, exec_lo, s11
; %bb.1337:                             ;   in Loop: Header=BB4_1125 Depth=2
	s_delay_alu instid0(VALU_DEP_2) | instskip(SKIP_1) | instid1(VALU_DEP_1)
	v_cmp_lt_u64_e64 s10, 0xffffff, v[64:65]
	v_add_nc_u32_e32 v24, 7, v103
	v_cndmask_b32_e64 v102, v56, v24, s10
	v_cndmask_b32_e64 v24, 0, 1, s10
	s_delay_alu instid0(VALU_DEP_1)
	v_lshrrev_b64 v[24:25], v24, v[64:65]
; %bb.1338:                             ;   in Loop: Header=BB4_1125 Depth=2
	s_and_not1_saveexec_b32 s10, s11
; %bb.1339:                             ;   in Loop: Header=BB4_1125 Depth=2
	v_mov_b64_e32 v[24:25], v[64:65]
	v_bfe_u32 v102, v64, 23, 1
; %bb.1340:                             ;   in Loop: Header=BB4_1125 Depth=2
	s_or_b32 exec_lo, exec_lo, s10
	s_delay_alu instid0(VALU_DEP_2) | instskip(NEXT) | instid1(VALU_DEP_2)
	v_lshrrev_b64 v[24:25], 20, v[24:25]
	v_cmp_gt_i32_e64 s10, 16, v102
	v_min_i32_e32 v64, 15, v102
	v_cmp_eq_u32_e64 s11, 0, v102
	s_delay_alu instid0(VALU_DEP_2) | instskip(SKIP_1) | instid1(VALU_DEP_2)
	v_dual_cndmask_b32 v25, 0, v25, s10 :: v_dual_lshlrev_b32 v64, 3, v64
	v_cndmask_b32_e64 v24, 7, v24, s10
	v_and_b32_e32 v64, 0xf8, v64
	s_delay_alu instid0(VALU_DEP_2) | instskip(NEXT) | instid1(VALU_DEP_2)
	v_cmp_eq_u64_e64 s10, 0, v[24:25]
	v_and_or_b32 v24, v24, 7, v64
	s_and_b32 s10, s11, s10
	s_delay_alu instid0(VALU_DEP_1) | instid1(SALU_CYCLE_1)
	v_cndmask_b32_e64 v24, v24, 0, s10
	s_delay_alu instid0(VALU_DEP_1)
	v_or_b32_e32 v102, v24, v47
.LBB4_1341:                             ;   in Loop: Header=BB4_1125 Depth=2
	s_or_b32 exec_lo, exec_lo, s41
                                        ; implicit-def: $vgpr47
.LBB4_1342:                             ;   in Loop: Header=BB4_1125 Depth=2
	s_and_not1_saveexec_b32 s10, s40
; %bb.1343:                             ;   in Loop: Header=BB4_1125 Depth=2
	v_or_b32_e32 v102, 0x7e, v47
; %bb.1344:                             ;   in Loop: Header=BB4_1125 Depth=2
	s_or_b32 exec_lo, exec_lo, s10
                                        ; implicit-def: $vgpr25
.LBB4_1345:                             ;   in Loop: Header=BB4_1125 Depth=2
	s_and_not1_saveexec_b32 s10, s12
; %bb.1346:                             ;   in Loop: Header=BB4_1125 Depth=2
	v_or_b32_e32 v102, 0x7f, v25
; %bb.1347:                             ;   in Loop: Header=BB4_1125 Depth=2
	s_or_b32 exec_lo, exec_lo, s10
	v_mov_b32_e32 v24, 0
	s_mov_b32 s11, exec_lo
	v_cmpx_lt_u64_e64 s[14:15], v[14:15]
	s_cbranch_execz .LBB4_1355
; %bb.1348:                             ;   in Loop: Header=BB4_1125 Depth=2
	v_lshrrev_b32_e32 v14, 24, v15
	v_bfrev_b32_e32 v24, 1
	s_mov_b32 s12, exec_lo
	s_delay_alu instid0(VALU_DEP_2)
	v_cmpx_ne_u32_e32 0x80, v14
	s_cbranch_execz .LBB4_1354
; %bb.1349:                             ;   in Loop: Header=BB4_1125 Depth=2
	v_bfe_u32 v25, v15, 24, 7
	v_mov_b32_e32 v24, 0x7f800001
	s_mov_b32 s40, exec_lo
	s_delay_alu instid0(VALU_DEP_2)
	v_cmpx_ne_u32_e32 0x7f, v25
	s_cbranch_execz .LBB4_1353
; %bb.1350:                             ;   in Loop: Header=BB4_1125 Depth=2
	v_dual_lshrrev_b32 v15, 3, v25 :: v_dual_bitop2_b32 v64, 7, v14 bitop3:0x40
	s_mov_b32 s41, exec_lo
	v_cmpx_gt_u32_e32 8, v25
; %bb.1351:                             ;   in Loop: Header=BB4_1125 Depth=2
	s_delay_alu instid0(VALU_DEP_2) | instskip(NEXT) | instid1(VALU_DEP_1)
	v_clz_i32_u32_e32 v15, v64
	v_min_u32_e32 v15, 32, v15
	s_delay_alu instid0(VALU_DEP_1) | instskip(NEXT) | instid1(VALU_DEP_1)
	v_subrev_nc_u32_e32 v24, 28, v15
	v_lshlrev_b64_e32 v[24:25], v24, v[64:65]
	s_delay_alu instid0(VALU_DEP_1)
	v_dual_sub_nc_u32 v15, 29, v15 :: v_dual_bitop2_b32 v64, 7, v24 bitop3:0x40
; %bb.1352:                             ;   in Loop: Header=BB4_1125 Depth=2
	s_or_b32 exec_lo, exec_lo, s41
	s_delay_alu instid0(VALU_DEP_1) | instskip(NEXT) | instid1(VALU_DEP_2)
	v_dual_lshlrev_b32 v14, 24, v14 :: v_dual_lshlrev_b32 v24, 20, v64
	v_lshl_add_u32 v15, v15, 23, 0x3c000000
	s_delay_alu instid0(VALU_DEP_2) | instskip(NEXT) | instid1(VALU_DEP_1)
	v_and_b32_e32 v14, 0x80000000, v14
	v_or3_b32 v24, v24, v14, v15
.LBB4_1353:                             ;   in Loop: Header=BB4_1125 Depth=2
	s_or_b32 exec_lo, exec_lo, s40
.LBB4_1354:                             ;   in Loop: Header=BB4_1125 Depth=2
	s_delay_alu instid0(SALU_CYCLE_1)
	s_or_b32 exec_lo, exec_lo, s12
.LBB4_1355:                             ;   in Loop: Header=BB4_1125 Depth=2
	s_delay_alu instid0(SALU_CYCLE_1) | instskip(SKIP_3) | instid1(VALU_DEP_3)
	s_or_b32 exec_lo, exec_lo, s11
	v_lshrrev_b32_e32 v14, 24, v11
	v_bfe_u32 v15, v11, 24, 7
	v_cmp_gt_u64_e64 s12, s[16:17], v[10:11]
	v_cmp_eq_u32_e64 s11, 0x80, v14
	s_delay_alu instid0(VALU_DEP_3) | instskip(NEXT) | instid1(VALU_DEP_2)
	v_cmp_eq_u32_e64 s10, 0x7f, v15
	v_cndmask_b32_e64 v25, 0x7f800001, v45, s11
	s_or_b32 s10, s11, s10
	s_delay_alu instid0(SALU_CYCLE_1) | instskip(NEXT) | instid1(VALU_DEP_1)
	s_nor_b32 s10, s12, s10
	v_cndmask_b32_e64 v10, v25, 0, s12
	s_and_saveexec_b32 s11, s10
	s_cbranch_execz .LBB4_1357
; %bb.1356:                             ;   in Loop: Header=BB4_1125 Depth=2
	v_and_b32_e32 v25, 7, v14
	v_cmp_gt_u32_e64 s10, 8, v15
	s_delay_alu instid0(VALU_DEP_2) | instskip(NEXT) | instid1(VALU_DEP_1)
	v_clz_i32_u32_e32 v10, v25
	v_min_u32_e32 v64, 32, v10
	s_delay_alu instid0(VALU_DEP_1) | instskip(NEXT) | instid1(VALU_DEP_1)
	v_subrev_nc_u32_e32 v10, 28, v64
	v_lshlrev_b64_e32 v[10:11], v10, v[14:15]
	v_dual_lshrrev_b32 v11, 3, v15 :: v_dual_sub_nc_u32 v64, 29, v64
	s_delay_alu instid0(VALU_DEP_2) | instskip(NEXT) | instid1(VALU_DEP_2)
	v_and_b32_e32 v10, 7, v10
	v_dual_lshlrev_b32 v14, 24, v14 :: v_dual_cndmask_b32 v11, v11, v64, s10
	s_delay_alu instid0(VALU_DEP_2) | instskip(NEXT) | instid1(VALU_DEP_2)
	v_cndmask_b32_e64 v10, v25, v10, s10
	v_and_b32_e32 v14, 0x80000000, v14
	s_delay_alu instid0(VALU_DEP_3) | instskip(NEXT) | instid1(VALU_DEP_3)
	v_lshl_add_u32 v11, v11, 23, 0x3c000000
	v_lshlrev_b32_e32 v10, 20, v10
	s_delay_alu instid0(VALU_DEP_1)
	v_or3_b32 v10, v10, v14, v11
.LBB4_1357:                             ;   in Loop: Header=BB4_1125 Depth=2
	s_or_b32 exec_lo, exec_lo, s11
	s_delay_alu instid0(VALU_DEP_1) | instskip(SKIP_1) | instid1(VALU_DEP_1)
	v_mul_f32_e32 v10, v24, v10
                                        ; implicit-def: $vgpr103
	s_mov_b32 s11, exec_lo
	v_and_b32_e32 v64, 0x7f800000, v10
	v_lshrrev_b32_e32 v11, 24, v10
	s_delay_alu instid0(VALU_DEP_2)
	v_cmpx_ne_u64_e32 0x7f800000, v[64:65]
	s_xor_b32 s12, exec_lo, s11
	s_cbranch_execz .LBB4_1371
; %bb.1358:                             ;   in Loop: Header=BB4_1125 Depth=2
	v_and_b32_e32 v64, 0x7fffffff, v10
	v_and_b32_e32 v24, 0x80, v11
                                        ; implicit-def: $vgpr103
	s_mov_b32 s11, exec_lo
	s_delay_alu instid0(VALU_DEP_2)
	v_cmpx_gt_u64_e32 0x43e00001, v[64:65]
	s_xor_b32 s40, exec_lo, s11
	s_cbranch_execz .LBB4_1368
; %bb.1359:                             ;   in Loop: Header=BB4_1125 Depth=2
	v_mov_b32_e32 v103, 0
	s_mov_b32 s41, exec_lo
	v_cmpx_ne_u32_e32 0, v10
	s_cbranch_execz .LBB4_1367
; %bb.1360:                             ;   in Loop: Header=BB4_1125 Depth=2
	v_bfe_u32 v25, v10, 23, 8
	v_and_b32_e32 v14, 0x7fffff, v10
	s_delay_alu instid0(VALU_DEP_2) | instskip(SKIP_1) | instid1(VALU_DEP_3)
	v_sub_nc_u32_e32 v11, 0x79, v25
	v_cmp_gt_u32_e64 s10, 0x7a, v25
	v_or_b32_e32 v15, 0x800000, v14
	s_delay_alu instid0(VALU_DEP_2) | instskip(SKIP_1) | instid1(VALU_DEP_1)
	v_cndmask_b32_e64 v11, 0, v11, s10
	v_cmp_eq_u32_e64 s10, 0, v25
	v_cndmask_b32_e64 v64, v15, v14, s10
	s_delay_alu instid0(VALU_DEP_3) | instskip(NEXT) | instid1(VALU_DEP_1)
	v_cndmask_b32_e64 v103, v11, 0x78, s10
	v_dual_add_nc_u32 v10, 20, v103 :: v_dual_add_nc_u32 v47, 19, v103
	s_delay_alu instid0(VALU_DEP_1) | instskip(NEXT) | instid1(VALU_DEP_2)
	v_lshlrev_b64_e64 v[10:11], v10, -1
	v_lshlrev_b64_e64 v[14:15], v47, 1
	s_delay_alu instid0(VALU_DEP_2) | instskip(NEXT) | instid1(VALU_DEP_3)
	v_bfi_b32 v57, v11, 0, 0
	v_bfi_b32 v56, v10, 0, v64
	v_lshrrev_b64 v[10:11], v103, v[64:65]
	s_delay_alu instid0(VALU_DEP_2) | instskip(NEXT) | instid1(VALU_DEP_2)
	v_cmp_eq_u64_e64 s11, v[56:57], v[14:15]
	v_mov_b64_e32 v[14:15], v[10:11]
	s_and_saveexec_b32 s42, s11
; %bb.1361:                             ;   in Loop: Header=BB4_1125 Depth=2
	v_bfe_u32 v64, v10, 20, 1
	s_delay_alu instid0(VALU_DEP_1) | instskip(NEXT) | instid1(VALU_DEP_1)
	v_add_nc_u64_e32 v[14:15], v[10:11], v[64:65]
	v_add_nc_u64_e32 v[14:15], -1, v[14:15]
; %bb.1362:                             ;   in Loop: Header=BB4_1125 Depth=2
	s_or_b32 exec_lo, exec_lo, s42
	v_add_nc_u32_e32 v11, 0xffffff81, v25
	v_lshrrev_b32_e32 v15, 23, v10
	s_mov_b32 s11, exec_lo
	s_delay_alu instid0(VALU_DEP_2) | instskip(NEXT) | instid1(VALU_DEP_1)
	v_cndmask_b32_e64 v11, v11, 0xffffff82, s10
	v_add3_u32 v15, v103, v11, v15
	v_and_b32_e32 v11, 0xfffff, v14
                                        ; implicit-def: $vgpr14
	s_delay_alu instid0(VALU_DEP_1) | instskip(NEXT) | instid1(VALU_DEP_1)
	v_dual_add_nc_u32 v25, 6, v15 :: v_dual_add_nc_u32 v64, v11, v10
                                        ; implicit-def: $vgpr10_vgpr11
	v_cmpx_ne_u32_e32 0, v25
	s_xor_b32 s11, exec_lo, s11
; %bb.1363:                             ;   in Loop: Header=BB4_1125 Depth=2
	s_delay_alu instid0(VALU_DEP_2) | instskip(SKIP_1) | instid1(VALU_DEP_1)
	v_cmp_lt_u64_e64 s10, 0xffffff, v[64:65]
	v_add_nc_u32_e32 v10, 7, v15
	v_cndmask_b32_e64 v14, v25, v10, s10
	v_cndmask_b32_e64 v10, 0, 1, s10
	s_delay_alu instid0(VALU_DEP_1)
	v_lshrrev_b64 v[10:11], v10, v[64:65]
; %bb.1364:                             ;   in Loop: Header=BB4_1125 Depth=2
	s_and_not1_saveexec_b32 s10, s11
; %bb.1365:                             ;   in Loop: Header=BB4_1125 Depth=2
	v_mov_b64_e32 v[10:11], v[64:65]
	v_bfe_u32 v14, v64, 23, 1
; %bb.1366:                             ;   in Loop: Header=BB4_1125 Depth=2
	s_or_b32 exec_lo, exec_lo, s10
	s_delay_alu instid0(VALU_DEP_2) | instskip(NEXT) | instid1(VALU_DEP_2)
	v_lshrrev_b64 v[10:11], 20, v[10:11]
	v_cmp_gt_i32_e64 s10, 16, v14
	v_min_i32_e32 v15, 15, v14
	v_cmp_eq_u32_e64 s11, 0, v14
	s_delay_alu instid0(VALU_DEP_3) | instskip(NEXT) | instid1(VALU_DEP_3)
	v_cndmask_b32_e64 v11, 0, v11, s10
	v_dual_lshlrev_b32 v15, 3, v15 :: v_dual_cndmask_b32 v10, 7, v10, s10
	s_delay_alu instid0(VALU_DEP_1) | instskip(NEXT) | instid1(VALU_DEP_2)
	v_and_b32_e32 v15, 0xf8, v15
	v_cmp_eq_u64_e64 s10, 0, v[10:11]
	s_delay_alu instid0(VALU_DEP_2)
	v_and_or_b32 v10, v10, 7, v15
	s_and_b32 s10, s11, s10
	s_delay_alu instid0(VALU_DEP_1) | instid1(SALU_CYCLE_1)
	v_cndmask_b32_e64 v10, v10, 0, s10
	s_delay_alu instid0(VALU_DEP_1)
	v_or_b32_e32 v103, v10, v24
.LBB4_1367:                             ;   in Loop: Header=BB4_1125 Depth=2
	s_or_b32 exec_lo, exec_lo, s41
                                        ; implicit-def: $vgpr24
.LBB4_1368:                             ;   in Loop: Header=BB4_1125 Depth=2
	s_and_not1_saveexec_b32 s10, s40
; %bb.1369:                             ;   in Loop: Header=BB4_1125 Depth=2
	v_or_b32_e32 v103, 0x7e, v24
; %bb.1370:                             ;   in Loop: Header=BB4_1125 Depth=2
	s_or_b32 exec_lo, exec_lo, s10
                                        ; implicit-def: $vgpr11
.LBB4_1371:                             ;   in Loop: Header=BB4_1125 Depth=2
	s_and_not1_saveexec_b32 s10, s12
; %bb.1372:                             ;   in Loop: Header=BB4_1125 Depth=2
	v_or_b32_e32 v103, 0x7f, v11
; %bb.1373:                             ;   in Loop: Header=BB4_1125 Depth=2
	s_or_b32 exec_lo, exec_lo, s10
	v_and_b32_e32 v11, 0xff, v16
	v_mov_b32_e32 v10, 0
	s_mov_b32 s11, exec_lo
	s_delay_alu instid0(VALU_DEP_2)
	v_cmpx_ne_u16_e32 0, v11
	s_cbranch_execz .LBB4_1379
; %bb.1374:                             ;   in Loop: Header=BB4_1125 Depth=2
	v_bfrev_b32_e32 v10, 1
	s_mov_b32 s12, exec_lo
	v_cmpx_ne_u16_e32 0x80, v11
	s_cbranch_execz .LBB4_1378
; %bb.1375:                             ;   in Loop: Header=BB4_1125 Depth=2
	v_and_b32_e32 v11, 0x7f, v16
	v_mov_b32_e32 v10, 0x7f800001
	s_mov_b32 s40, exec_lo
	s_delay_alu instid0(VALU_DEP_2)
	v_cmpx_ne_u32_e32 0x7f, v11
	s_cbranch_execz .LBB4_1377
; %bb.1376:                             ;   in Loop: Header=BB4_1125 Depth=2
	v_dual_lshrrev_b32 v14, 3, v11 :: v_dual_bitop2_b32 v10, 7, v16 bitop3:0x40
	v_cmp_gt_u32_e64 s10, 8, v11
	s_delay_alu instid0(VALU_DEP_2) | instskip(NEXT) | instid1(VALU_DEP_1)
	v_clz_i32_u32_e32 v10, v10
	v_min_u32_e32 v10, 32, v10
	s_delay_alu instid0(VALU_DEP_1) | instskip(SKIP_1) | instid1(VALU_DEP_1)
	v_subrev_nc_u32_e32 v15, 28, v10
	v_sub_nc_u32_e32 v10, 29, v10
	v_dual_cndmask_b32 v14, v14, v10, s10 :: v_dual_cndmask_b32 v10, 0, v15, s10
	s_delay_alu instid0(VALU_DEP_1) | instskip(NEXT) | instid1(VALU_DEP_2)
	v_lshl_add_u32 v14, v14, 23, 0x3c000000
	v_lshlrev_b64_e32 v[10:11], v10, v[16:17]
	v_lshlrev_b32_e32 v11, 24, v16
	s_delay_alu instid0(VALU_DEP_1) | instskip(NEXT) | instid1(VALU_DEP_3)
	v_and_b32_e32 v11, 0x80000000, v11
	v_lshlrev_b32_e32 v10, 20, v10
	s_delay_alu instid0(VALU_DEP_1) | instskip(NEXT) | instid1(VALU_DEP_1)
	v_and_b32_e32 v10, 0x700000, v10
	v_or3_b32 v10, v10, v11, v14
.LBB4_1377:                             ;   in Loop: Header=BB4_1125 Depth=2
	s_or_b32 exec_lo, exec_lo, s40
.LBB4_1378:                             ;   in Loop: Header=BB4_1125 Depth=2
	s_delay_alu instid0(SALU_CYCLE_1)
	s_or_b32 exec_lo, exec_lo, s12
.LBB4_1379:                             ;   in Loop: Header=BB4_1125 Depth=2
	s_delay_alu instid0(SALU_CYCLE_1) | instskip(SKIP_3) | instid1(VALU_DEP_1)
	s_or_b32 exec_lo, exec_lo, s11
	v_and_b32_e32 v14, 0xff, v12
	s_mov_b32 s11, 0
	s_mov_b32 s12, exec_lo
	v_cmpx_lt_i16_e32 0x7f, v14
	s_xor_b32 s12, exec_lo, s12
	s_cbranch_execz .LBB4_1414
; %bb.1380:                             ;   in Loop: Header=BB4_1125 Depth=2
	s_mov_b32 s11, -1
	s_mov_b32 s40, exec_lo
	v_cmpx_eq_u16_e32 0x80, v14
; %bb.1381:                             ;   in Loop: Header=BB4_1125 Depth=2
	s_xor_b32 s11, exec_lo, -1
; %bb.1382:                             ;   in Loop: Header=BB4_1125 Depth=2
	s_or_b32 exec_lo, exec_lo, s40
	s_delay_alu instid0(SALU_CYCLE_1)
	s_and_b32 s11, s11, exec_lo
                                        ; implicit-def: $vgpr14
	s_or_saveexec_b32 s12, s12
	v_bfrev_b32_e32 v11, 1
	s_xor_b32 exec_lo, exec_lo, s12
	s_cbranch_execnz .LBB4_1415
.LBB4_1383:                             ;   in Loop: Header=BB4_1125 Depth=2
	s_or_b32 exec_lo, exec_lo, s12
	s_and_saveexec_b32 s12, s11
	s_cbranch_execz .LBB4_1385
.LBB4_1384:                             ;   in Loop: Header=BB4_1125 Depth=2
	v_and_b32_e32 v24, 0x7f, v12
	v_bfe_u32 v14, v12, 3, 4
	s_delay_alu instid0(VALU_DEP_2) | instskip(SKIP_1) | instid1(VALU_DEP_1)
	v_cmp_gt_u32_e64 s10, 8, v24
	v_and_b32_e32 v11, 7, v12
	v_clz_i32_u32_e32 v11, v11
	s_delay_alu instid0(VALU_DEP_1) | instskip(NEXT) | instid1(VALU_DEP_1)
	v_min_u32_e32 v11, 32, v11
	v_subrev_nc_u32_e32 v15, 28, v11
	v_sub_nc_u32_e32 v11, 29, v11
	s_delay_alu instid0(VALU_DEP_1) | instskip(NEXT) | instid1(VALU_DEP_3)
	v_cndmask_b32_e64 v11, v14, v11, s10
	v_cndmask_b32_e64 v14, 0, v15, s10
	v_cmp_ne_u32_e64 s10, 0x7f, v24
	s_delay_alu instid0(VALU_DEP_2) | instskip(SKIP_1) | instid1(VALU_DEP_1)
	v_lshlrev_b64_e32 v[14:15], v14, v[12:13]
	v_lshlrev_b32_e32 v15, 24, v12
	v_and_b32_e32 v15, 0x80000000, v15
	s_delay_alu instid0(VALU_DEP_3) | instskip(SKIP_1) | instid1(VALU_DEP_2)
	v_lshlrev_b32_e32 v14, 20, v14
	v_lshl_add_u32 v11, v11, 23, 0x3c000000
	v_and_b32_e32 v14, 0x700000, v14
	s_delay_alu instid0(VALU_DEP_1) | instskip(NEXT) | instid1(VALU_DEP_1)
	v_or3_b32 v11, v14, v15, v11
	v_cndmask_b32_e64 v11, 0x7f800001, v11, s10
.LBB4_1385:                             ;   in Loop: Header=BB4_1125 Depth=2
	s_or_b32 exec_lo, exec_lo, s12
	s_delay_alu instid0(VALU_DEP_1) | instskip(SKIP_1) | instid1(VALU_DEP_1)
	v_mul_f32_e32 v10, v10, v11
                                        ; implicit-def: $vgpr47
	s_mov_b32 s11, exec_lo
	v_and_b32_e32 v64, 0x7f800000, v10
	v_lshrrev_b32_e32 v11, 24, v10
	s_delay_alu instid0(VALU_DEP_2)
	v_cmpx_ne_u64_e32 0x7f800000, v[64:65]
	s_xor_b32 s12, exec_lo, s11
	s_cbranch_execz .LBB4_1399
; %bb.1386:                             ;   in Loop: Header=BB4_1125 Depth=2
	v_and_b32_e32 v64, 0x7fffffff, v10
	v_and_b32_e32 v24, 0x80, v11
                                        ; implicit-def: $vgpr47
	s_mov_b32 s11, exec_lo
	s_delay_alu instid0(VALU_DEP_2)
	v_cmpx_gt_u64_e32 0x43e00001, v[64:65]
	s_xor_b32 s40, exec_lo, s11
	s_cbranch_execz .LBB4_1396
; %bb.1387:                             ;   in Loop: Header=BB4_1125 Depth=2
	v_mov_b32_e32 v47, 0
	s_mov_b32 s41, exec_lo
	v_cmpx_ne_u32_e32 0, v10
	s_cbranch_execz .LBB4_1395
; %bb.1388:                             ;   in Loop: Header=BB4_1125 Depth=2
	v_bfe_u32 v25, v10, 23, 8
	v_and_b32_e32 v14, 0x7fffff, v10
	s_delay_alu instid0(VALU_DEP_2) | instskip(SKIP_1) | instid1(VALU_DEP_3)
	v_sub_nc_u32_e32 v11, 0x79, v25
	v_cmp_gt_u32_e64 s10, 0x7a, v25
	v_or_b32_e32 v15, 0x800000, v14
	s_delay_alu instid0(VALU_DEP_2) | instskip(SKIP_1) | instid1(VALU_DEP_1)
	v_cndmask_b32_e64 v11, 0, v11, s10
	v_cmp_eq_u32_e64 s10, 0, v25
	v_cndmask_b32_e64 v64, v15, v14, s10
	s_delay_alu instid0(VALU_DEP_3) | instskip(NEXT) | instid1(VALU_DEP_1)
	v_cndmask_b32_e64 v47, v11, 0x78, s10
	v_dual_add_nc_u32 v10, 20, v47 :: v_dual_add_nc_u32 v56, 19, v47
	s_delay_alu instid0(VALU_DEP_1) | instskip(NEXT) | instid1(VALU_DEP_2)
	v_lshlrev_b64_e64 v[10:11], v10, -1
	v_lshlrev_b64_e64 v[14:15], v56, 1
	s_delay_alu instid0(VALU_DEP_2) | instskip(NEXT) | instid1(VALU_DEP_3)
	v_bfi_b32 v57, v11, 0, 0
	v_bfi_b32 v56, v10, 0, v64
	v_lshrrev_b64 v[10:11], v47, v[64:65]
	s_delay_alu instid0(VALU_DEP_2) | instskip(NEXT) | instid1(VALU_DEP_2)
	v_cmp_eq_u64_e64 s11, v[56:57], v[14:15]
	v_mov_b64_e32 v[14:15], v[10:11]
	s_and_saveexec_b32 s42, s11
; %bb.1389:                             ;   in Loop: Header=BB4_1125 Depth=2
	v_bfe_u32 v64, v10, 20, 1
	s_delay_alu instid0(VALU_DEP_1) | instskip(NEXT) | instid1(VALU_DEP_1)
	v_add_nc_u64_e32 v[14:15], v[10:11], v[64:65]
	v_add_nc_u64_e32 v[14:15], -1, v[14:15]
; %bb.1390:                             ;   in Loop: Header=BB4_1125 Depth=2
	s_or_b32 exec_lo, exec_lo, s42
	v_add_nc_u32_e32 v11, 0xffffff81, v25
	v_lshrrev_b32_e32 v15, 23, v10
	s_mov_b32 s11, exec_lo
	s_delay_alu instid0(VALU_DEP_2) | instskip(NEXT) | instid1(VALU_DEP_1)
	v_cndmask_b32_e64 v11, v11, 0xffffff82, s10
	v_add3_u32 v15, v47, v11, v15
	v_and_b32_e32 v11, 0xfffff, v14
                                        ; implicit-def: $vgpr14
	s_delay_alu instid0(VALU_DEP_1) | instskip(NEXT) | instid1(VALU_DEP_1)
	v_dual_add_nc_u32 v25, 6, v15 :: v_dual_add_nc_u32 v64, v11, v10
                                        ; implicit-def: $vgpr10_vgpr11
	v_cmpx_ne_u32_e32 0, v25
	s_xor_b32 s11, exec_lo, s11
; %bb.1391:                             ;   in Loop: Header=BB4_1125 Depth=2
	s_delay_alu instid0(VALU_DEP_2) | instskip(SKIP_1) | instid1(VALU_DEP_1)
	v_cmp_lt_u64_e64 s10, 0xffffff, v[64:65]
	v_add_nc_u32_e32 v10, 7, v15
	v_cndmask_b32_e64 v14, v25, v10, s10
	v_cndmask_b32_e64 v10, 0, 1, s10
	s_delay_alu instid0(VALU_DEP_1)
	v_lshrrev_b64 v[10:11], v10, v[64:65]
; %bb.1392:                             ;   in Loop: Header=BB4_1125 Depth=2
	s_and_not1_saveexec_b32 s10, s11
; %bb.1393:                             ;   in Loop: Header=BB4_1125 Depth=2
	v_mov_b64_e32 v[10:11], v[64:65]
	v_bfe_u32 v14, v64, 23, 1
; %bb.1394:                             ;   in Loop: Header=BB4_1125 Depth=2
	s_or_b32 exec_lo, exec_lo, s10
	s_delay_alu instid0(VALU_DEP_2) | instskip(NEXT) | instid1(VALU_DEP_2)
	v_lshrrev_b64 v[10:11], 20, v[10:11]
	v_cmp_gt_i32_e64 s10, 16, v14
	v_min_i32_e32 v15, 15, v14
	v_cmp_eq_u32_e64 s11, 0, v14
	s_delay_alu instid0(VALU_DEP_3) | instskip(NEXT) | instid1(VALU_DEP_3)
	v_cndmask_b32_e64 v11, 0, v11, s10
	v_dual_lshlrev_b32 v15, 3, v15 :: v_dual_cndmask_b32 v10, 7, v10, s10
	s_delay_alu instid0(VALU_DEP_1) | instskip(NEXT) | instid1(VALU_DEP_2)
	v_and_b32_e32 v15, 0xf8, v15
	v_cmp_eq_u64_e64 s10, 0, v[10:11]
	s_delay_alu instid0(VALU_DEP_2)
	v_and_or_b32 v10, v10, 7, v15
	s_and_b32 s10, s11, s10
	s_delay_alu instid0(VALU_DEP_1) | instid1(SALU_CYCLE_1)
	v_cndmask_b32_e64 v10, v10, 0, s10
	s_delay_alu instid0(VALU_DEP_1)
	v_or_b32_e32 v47, v10, v24
.LBB4_1395:                             ;   in Loop: Header=BB4_1125 Depth=2
	s_or_b32 exec_lo, exec_lo, s41
                                        ; implicit-def: $vgpr24
.LBB4_1396:                             ;   in Loop: Header=BB4_1125 Depth=2
	s_and_not1_saveexec_b32 s10, s40
; %bb.1397:                             ;   in Loop: Header=BB4_1125 Depth=2
	v_or_b32_e32 v47, 0x7e, v24
; %bb.1398:                             ;   in Loop: Header=BB4_1125 Depth=2
	s_or_b32 exec_lo, exec_lo, s10
                                        ; implicit-def: $vgpr11
.LBB4_1399:                             ;   in Loop: Header=BB4_1125 Depth=2
	s_and_not1_saveexec_b32 s10, s12
; %bb.1400:                             ;   in Loop: Header=BB4_1125 Depth=2
	v_or_b32_e32 v47, 0x7f, v11
; %bb.1401:                             ;   in Loop: Header=BB4_1125 Depth=2
	s_or_b32 exec_lo, exec_lo, s10
	v_lshrrev_b16 v10, 8, v16
	v_mov_b32_e32 v11, 0
	s_mov_b32 s11, exec_lo
	s_delay_alu instid0(VALU_DEP_2)
	v_cmpx_ne_u16_e32 0, v10
	s_cbranch_execz .LBB4_1409
; %bb.1402:                             ;   in Loop: Header=BB4_1125 Depth=2
	v_bfrev_b32_e32 v11, 1
	s_mov_b32 s12, exec_lo
	v_cmpx_ne_u16_e32 0x80, v10
	s_cbranch_execz .LBB4_1408
; %bb.1403:                             ;   in Loop: Header=BB4_1125 Depth=2
	v_and_b32_e32 v10, 0xffff, v10
	v_mov_b32_e32 v11, 0x7f800001
	s_mov_b32 s40, exec_lo
	s_delay_alu instid0(VALU_DEP_2) | instskip(NEXT) | instid1(VALU_DEP_1)
	v_and_b32_e32 v14, 0x7f, v10
	v_cmpx_ne_u32_e32 0x7f, v14
	s_cbranch_execz .LBB4_1407
; %bb.1404:                             ;   in Loop: Header=BB4_1125 Depth=2
	v_and_b32_e32 v64, 7, v10
	v_lshrrev_b32_e32 v10, 3, v14
	s_mov_b32 s41, exec_lo
	v_cmpx_gt_u32_e32 8, v14
; %bb.1405:                             ;   in Loop: Header=BB4_1125 Depth=2
	s_delay_alu instid0(VALU_DEP_3) | instskip(NEXT) | instid1(VALU_DEP_1)
	v_clz_i32_u32_e32 v10, v64
	v_min_u32_e32 v10, 32, v10
	s_delay_alu instid0(VALU_DEP_1) | instskip(SKIP_1) | instid1(VALU_DEP_2)
	v_subrev_nc_u32_e32 v11, 28, v10
	v_sub_nc_u32_e32 v10, 29, v10
	v_lshlrev_b64_e32 v[14:15], v11, v[64:65]
	s_delay_alu instid0(VALU_DEP_1)
	v_and_b32_e32 v64, 7, v14
; %bb.1406:                             ;   in Loop: Header=BB4_1125 Depth=2
	s_or_b32 exec_lo, exec_lo, s41
	v_lshlrev_b32_e32 v11, 16, v16
	s_delay_alu instid0(VALU_DEP_2) | instskip(SKIP_1) | instid1(VALU_DEP_3)
	v_lshlrev_b32_e32 v14, 20, v64
	v_lshl_add_u32 v10, v10, 23, 0x3c000000
	v_and_b32_e32 v11, 0x80000000, v11
	s_delay_alu instid0(VALU_DEP_1)
	v_or3_b32 v11, v14, v11, v10
.LBB4_1407:                             ;   in Loop: Header=BB4_1125 Depth=2
	s_or_b32 exec_lo, exec_lo, s40
.LBB4_1408:                             ;   in Loop: Header=BB4_1125 Depth=2
	s_delay_alu instid0(SALU_CYCLE_1)
	s_or_b32 exec_lo, exec_lo, s12
.LBB4_1409:                             ;   in Loop: Header=BB4_1125 Depth=2
	s_delay_alu instid0(SALU_CYCLE_1) | instskip(SKIP_3) | instid1(VALU_DEP_1)
	s_or_b32 exec_lo, exec_lo, s11
	v_lshrrev_b16 v14, 8, v12
	s_mov_b32 s12, 0
	s_mov_b32 s11, exec_lo
	v_cmpx_lt_i16_e32 0x7f, v14
	s_xor_b32 s11, exec_lo, s11
	s_cbranch_execz .LBB4_1416
; %bb.1410:                             ;   in Loop: Header=BB4_1125 Depth=2
	s_mov_b32 s12, -1
	s_mov_b32 s40, exec_lo
	v_cmpx_eq_u16_e32 0x80, v14
; %bb.1411:                             ;   in Loop: Header=BB4_1125 Depth=2
	s_xor_b32 s12, exec_lo, -1
; %bb.1412:                             ;   in Loop: Header=BB4_1125 Depth=2
	s_or_b32 exec_lo, exec_lo, s40
	s_delay_alu instid0(SALU_CYCLE_1)
	s_and_b32 s12, s12, exec_lo
	s_or_saveexec_b32 s11, s11
	v_bfrev_b32_e32 v15, 1
	s_xor_b32 exec_lo, exec_lo, s11
	s_cbranch_execnz .LBB4_1417
.LBB4_1413:                             ;   in Loop: Header=BB4_1125 Depth=2
	s_or_b32 exec_lo, exec_lo, s11
	s_and_saveexec_b32 s11, s12
	s_cbranch_execnz .LBB4_1418
	s_branch .LBB4_1421
.LBB4_1414:                             ;   in Loop: Header=BB4_1125 Depth=2
	s_or_saveexec_b32 s12, s12
	v_bfrev_b32_e32 v11, 1
	s_xor_b32 exec_lo, exec_lo, s12
	s_cbranch_execz .LBB4_1383
.LBB4_1415:                             ;   in Loop: Header=BB4_1125 Depth=2
	v_cmp_ne_u16_e64 s10, 0, v14
	v_mov_b32_e32 v11, 0
	s_and_not1_b32 s11, s11, exec_lo
	s_and_b32 s10, s10, exec_lo
	s_delay_alu instid0(SALU_CYCLE_1)
	s_or_b32 s11, s11, s10
	s_or_b32 exec_lo, exec_lo, s12
	s_and_saveexec_b32 s12, s11
	s_cbranch_execnz .LBB4_1384
	s_branch .LBB4_1385
.LBB4_1416:                             ;   in Loop: Header=BB4_1125 Depth=2
	s_or_saveexec_b32 s11, s11
	v_bfrev_b32_e32 v15, 1
	s_xor_b32 exec_lo, exec_lo, s11
	s_cbranch_execz .LBB4_1413
.LBB4_1417:                             ;   in Loop: Header=BB4_1125 Depth=2
	v_cmp_ne_u16_e64 s10, 0, v14
	v_mov_b32_e32 v15, 0
	s_and_not1_b32 s12, s12, exec_lo
	s_and_b32 s10, s10, exec_lo
	s_delay_alu instid0(SALU_CYCLE_1)
	s_or_b32 s12, s12, s10
	s_or_b32 exec_lo, exec_lo, s11
	s_and_saveexec_b32 s11, s12
	s_cbranch_execz .LBB4_1421
.LBB4_1418:                             ;   in Loop: Header=BB4_1125 Depth=2
	v_and_b32_e32 v10, 0xffff, v14
	v_mov_b32_e32 v15, 0x7f800001
	s_mov_b32 s12, exec_lo
	s_delay_alu instid0(VALU_DEP_2) | instskip(NEXT) | instid1(VALU_DEP_1)
	v_and_b32_e32 v24, 0x7f, v10
	v_cmpx_ne_u32_e32 0x7f, v24
	s_cbranch_execz .LBB4_1420
; %bb.1419:                             ;   in Loop: Header=BB4_1125 Depth=2
	v_and_b32_e32 v15, 7, v10
	v_cmp_gt_u32_e64 s10, 8, v24
	s_delay_alu instid0(VALU_DEP_2) | instskip(NEXT) | instid1(VALU_DEP_1)
	v_clz_i32_u32_e32 v25, v15
	v_min_u32_e32 v25, 32, v25
	s_delay_alu instid0(VALU_DEP_1) | instskip(NEXT) | instid1(VALU_DEP_1)
	v_subrev_nc_u32_e32 v64, 28, v25
	v_lshlrev_b64_e32 v[56:57], v64, v[10:11]
	v_dual_lshrrev_b32 v10, 3, v24 :: v_dual_sub_nc_u32 v25, 29, v25
	s_delay_alu instid0(VALU_DEP_2) | instskip(NEXT) | instid1(VALU_DEP_1)
	v_dual_lshlrev_b32 v14, 24, v14 :: v_dual_bitop2_b32 v24, 7, v56 bitop3:0x40
	v_dual_cndmask_b32 v10, v10, v25, s10 :: v_dual_cndmask_b32 v15, v15, v24, s10
	s_delay_alu instid0(VALU_DEP_2) | instskip(NEXT) | instid1(VALU_DEP_2)
	v_and_b32_e32 v14, 0x80000000, v14
	v_lshl_add_u32 v10, v10, 23, 0x3c000000
	s_delay_alu instid0(VALU_DEP_3) | instskip(NEXT) | instid1(VALU_DEP_1)
	v_lshlrev_b32_e32 v15, 20, v15
	v_or3_b32 v15, v15, v14, v10
.LBB4_1420:                             ;   in Loop: Header=BB4_1125 Depth=2
	s_or_b32 exec_lo, exec_lo, s12
.LBB4_1421:                             ;   in Loop: Header=BB4_1125 Depth=2
	s_delay_alu instid0(SALU_CYCLE_1) | instskip(NEXT) | instid1(VALU_DEP_1)
	s_or_b32 exec_lo, exec_lo, s11
	v_mul_f32_e32 v10, v11, v15
                                        ; implicit-def: $vgpr56
	s_mov_b32 s11, exec_lo
	s_delay_alu instid0(VALU_DEP_1) | instskip(SKIP_1) | instid1(VALU_DEP_2)
	v_and_b32_e32 v64, 0x7f800000, v10
	v_lshrrev_b32_e32 v11, 24, v10
	v_cmpx_ne_u64_e32 0x7f800000, v[64:65]
	s_xor_b32 s12, exec_lo, s11
	s_cbranch_execz .LBB4_1435
; %bb.1422:                             ;   in Loop: Header=BB4_1125 Depth=2
	v_and_b32_e32 v64, 0x7fffffff, v10
	v_and_b32_e32 v24, 0x80, v11
                                        ; implicit-def: $vgpr56
	s_mov_b32 s11, exec_lo
	s_delay_alu instid0(VALU_DEP_2)
	v_cmpx_gt_u64_e32 0x43e00001, v[64:65]
	s_xor_b32 s40, exec_lo, s11
	s_cbranch_execz .LBB4_1432
; %bb.1423:                             ;   in Loop: Header=BB4_1125 Depth=2
	v_mov_b32_e32 v56, 0
	s_mov_b32 s41, exec_lo
	v_cmpx_ne_u32_e32 0, v10
	s_cbranch_execz .LBB4_1431
; %bb.1424:                             ;   in Loop: Header=BB4_1125 Depth=2
	v_bfe_u32 v25, v10, 23, 8
	v_and_b32_e32 v14, 0x7fffff, v10
	s_delay_alu instid0(VALU_DEP_2) | instskip(SKIP_1) | instid1(VALU_DEP_3)
	v_sub_nc_u32_e32 v11, 0x79, v25
	v_cmp_gt_u32_e64 s10, 0x7a, v25
	v_or_b32_e32 v15, 0x800000, v14
	s_delay_alu instid0(VALU_DEP_2) | instskip(SKIP_1) | instid1(VALU_DEP_1)
	v_cndmask_b32_e64 v11, 0, v11, s10
	v_cmp_eq_u32_e64 s10, 0, v25
	v_cndmask_b32_e64 v56, v11, 0x78, s10
	s_delay_alu instid0(VALU_DEP_1) | instskip(SKIP_1) | instid1(VALU_DEP_2)
	v_dual_cndmask_b32 v64, v15, v14, s10 :: v_dual_add_nc_u32 v57, 19, v56
	v_add_nc_u32_e32 v10, 20, v56
	v_lshlrev_b64_e64 v[14:15], v57, 1
	s_delay_alu instid0(VALU_DEP_2) | instskip(NEXT) | instid1(VALU_DEP_1)
	v_lshlrev_b64_e64 v[10:11], v10, -1
	v_bfi_b32 v59, v11, 0, 0
	s_delay_alu instid0(VALU_DEP_2) | instskip(SKIP_1) | instid1(VALU_DEP_2)
	v_bfi_b32 v58, v10, 0, v64
	v_lshrrev_b64 v[10:11], v56, v[64:65]
	v_cmp_eq_u64_e64 s11, v[58:59], v[14:15]
	s_delay_alu instid0(VALU_DEP_2)
	v_mov_b64_e32 v[14:15], v[10:11]
	s_and_saveexec_b32 s42, s11
; %bb.1425:                             ;   in Loop: Header=BB4_1125 Depth=2
	v_bfe_u32 v64, v10, 20, 1
	s_delay_alu instid0(VALU_DEP_1) | instskip(NEXT) | instid1(VALU_DEP_1)
	v_add_nc_u64_e32 v[14:15], v[10:11], v[64:65]
	v_add_nc_u64_e32 v[14:15], -1, v[14:15]
; %bb.1426:                             ;   in Loop: Header=BB4_1125 Depth=2
	s_or_b32 exec_lo, exec_lo, s42
	v_add_nc_u32_e32 v11, 0xffffff81, v25
	v_lshrrev_b32_e32 v15, 23, v10
	s_mov_b32 s11, exec_lo
	s_delay_alu instid0(VALU_DEP_2) | instskip(NEXT) | instid1(VALU_DEP_1)
	v_cndmask_b32_e64 v11, v11, 0xffffff82, s10
	v_add3_u32 v15, v56, v11, v15
	v_and_b32_e32 v11, 0xfffff, v14
                                        ; implicit-def: $vgpr14
	s_delay_alu instid0(VALU_DEP_1) | instskip(NEXT) | instid1(VALU_DEP_1)
	v_dual_add_nc_u32 v25, 6, v15 :: v_dual_add_nc_u32 v64, v11, v10
                                        ; implicit-def: $vgpr10_vgpr11
	v_cmpx_ne_u32_e32 0, v25
	s_xor_b32 s11, exec_lo, s11
; %bb.1427:                             ;   in Loop: Header=BB4_1125 Depth=2
	s_delay_alu instid0(VALU_DEP_2) | instskip(SKIP_1) | instid1(VALU_DEP_1)
	v_cmp_lt_u64_e64 s10, 0xffffff, v[64:65]
	v_add_nc_u32_e32 v10, 7, v15
	v_cndmask_b32_e64 v14, v25, v10, s10
	v_cndmask_b32_e64 v10, 0, 1, s10
	s_delay_alu instid0(VALU_DEP_1)
	v_lshrrev_b64 v[10:11], v10, v[64:65]
; %bb.1428:                             ;   in Loop: Header=BB4_1125 Depth=2
	s_and_not1_saveexec_b32 s10, s11
; %bb.1429:                             ;   in Loop: Header=BB4_1125 Depth=2
	v_mov_b64_e32 v[10:11], v[64:65]
	v_bfe_u32 v14, v64, 23, 1
; %bb.1430:                             ;   in Loop: Header=BB4_1125 Depth=2
	s_or_b32 exec_lo, exec_lo, s10
	s_delay_alu instid0(VALU_DEP_2) | instskip(NEXT) | instid1(VALU_DEP_2)
	v_lshrrev_b64 v[10:11], 20, v[10:11]
	v_cmp_gt_i32_e64 s10, 16, v14
	v_min_i32_e32 v15, 15, v14
	v_cmp_eq_u32_e64 s11, 0, v14
	s_delay_alu instid0(VALU_DEP_3) | instskip(NEXT) | instid1(VALU_DEP_3)
	v_cndmask_b32_e64 v11, 0, v11, s10
	v_dual_lshlrev_b32 v15, 3, v15 :: v_dual_cndmask_b32 v10, 7, v10, s10
	s_delay_alu instid0(VALU_DEP_1) | instskip(NEXT) | instid1(VALU_DEP_2)
	v_and_b32_e32 v15, 0xf8, v15
	v_cmp_eq_u64_e64 s10, 0, v[10:11]
	s_delay_alu instid0(VALU_DEP_2)
	v_and_or_b32 v10, v10, 7, v15
	s_and_b32 s10, s11, s10
	s_delay_alu instid0(VALU_DEP_1) | instid1(SALU_CYCLE_1)
	v_cndmask_b32_e64 v10, v10, 0, s10
	s_delay_alu instid0(VALU_DEP_1)
	v_or_b32_e32 v56, v10, v24
.LBB4_1431:                             ;   in Loop: Header=BB4_1125 Depth=2
	s_or_b32 exec_lo, exec_lo, s41
                                        ; implicit-def: $vgpr24
.LBB4_1432:                             ;   in Loop: Header=BB4_1125 Depth=2
	s_and_not1_saveexec_b32 s10, s40
; %bb.1433:                             ;   in Loop: Header=BB4_1125 Depth=2
	v_or_b32_e32 v56, 0x7e, v24
; %bb.1434:                             ;   in Loop: Header=BB4_1125 Depth=2
	s_or_b32 exec_lo, exec_lo, s10
                                        ; implicit-def: $vgpr11
.LBB4_1435:                             ;   in Loop: Header=BB4_1125 Depth=2
	s_and_not1_saveexec_b32 s10, s12
; %bb.1436:                             ;   in Loop: Header=BB4_1125 Depth=2
	v_or_b32_e32 v56, 0x7f, v11
; %bb.1437:                             ;   in Loop: Header=BB4_1125 Depth=2
	s_or_b32 exec_lo, exec_lo, s10
	v_dual_mov_b32 v11, 0 :: v_dual_lshrrev_b32 v10, 16, v16
	s_mov_b32 s11, exec_lo
	s_delay_alu instid0(VALU_DEP_1) | instskip(NEXT) | instid1(VALU_DEP_1)
	v_and_b32_e32 v14, 0xff, v10
	v_cmpx_ne_u16_e32 0, v14
	s_cbranch_execz .LBB4_1445
; %bb.1438:                             ;   in Loop: Header=BB4_1125 Depth=2
	v_bfrev_b32_e32 v11, 1
	s_mov_b32 s12, exec_lo
	v_cmpx_ne_u16_e32 0x80, v14
	s_cbranch_execz .LBB4_1444
; %bb.1439:                             ;   in Loop: Header=BB4_1125 Depth=2
	v_bfe_u32 v14, v16, 16, 7
	v_mov_b32_e32 v11, 0x7f800001
	s_mov_b32 s40, exec_lo
	s_delay_alu instid0(VALU_DEP_2)
	v_cmpx_ne_u32_e32 0x7f, v14
	s_cbranch_execz .LBB4_1443
; %bb.1440:                             ;   in Loop: Header=BB4_1125 Depth=2
	v_and_b32_e32 v64, 7, v10
	v_lshrrev_b32_e32 v11, 3, v14
	s_mov_b32 s41, exec_lo
	v_cmpx_gt_u32_e32 8, v14
; %bb.1441:                             ;   in Loop: Header=BB4_1125 Depth=2
	s_delay_alu instid0(VALU_DEP_3) | instskip(NEXT) | instid1(VALU_DEP_1)
	v_clz_i32_u32_e32 v11, v64
	v_min_u32_e32 v11, 32, v11
	s_delay_alu instid0(VALU_DEP_1) | instskip(NEXT) | instid1(VALU_DEP_1)
	v_subrev_nc_u32_e32 v14, 28, v11
	v_lshlrev_b64_e32 v[14:15], v14, v[64:65]
	s_delay_alu instid0(VALU_DEP_1)
	v_dual_sub_nc_u32 v11, 29, v11 :: v_dual_bitop2_b32 v64, 7, v14 bitop3:0x40
; %bb.1442:                             ;   in Loop: Header=BB4_1125 Depth=2
	s_or_b32 exec_lo, exec_lo, s41
	s_delay_alu instid0(VALU_DEP_1) | instskip(NEXT) | instid1(VALU_DEP_2)
	v_dual_lshlrev_b32 v10, 24, v10 :: v_dual_lshlrev_b32 v14, 20, v64
	v_lshl_add_u32 v11, v11, 23, 0x3c000000
	s_delay_alu instid0(VALU_DEP_2) | instskip(NEXT) | instid1(VALU_DEP_1)
	v_and_b32_e32 v10, 0x80000000, v10
	v_or3_b32 v11, v14, v10, v11
.LBB4_1443:                             ;   in Loop: Header=BB4_1125 Depth=2
	s_or_b32 exec_lo, exec_lo, s40
.LBB4_1444:                             ;   in Loop: Header=BB4_1125 Depth=2
	s_delay_alu instid0(SALU_CYCLE_1)
	s_or_b32 exec_lo, exec_lo, s12
.LBB4_1445:                             ;   in Loop: Header=BB4_1125 Depth=2
	s_delay_alu instid0(SALU_CYCLE_1) | instskip(SKIP_3) | instid1(VALU_DEP_1)
	s_or_b32 exec_lo, exec_lo, s11
	v_lshrrev_b32_e32 v10, 16, v12
	s_mov_b32 s12, 0
	s_mov_b32 s11, exec_lo
	v_and_b32_e32 v15, 0xff, v10
	s_delay_alu instid0(VALU_DEP_1)
	v_cmpx_lt_i16_e32 0x7f, v15
	s_xor_b32 s11, exec_lo, s11
	s_cbranch_execz .LBB4_1450
; %bb.1446:                             ;   in Loop: Header=BB4_1125 Depth=2
	s_mov_b32 s12, -1
	s_mov_b32 s40, exec_lo
	v_cmpx_eq_u16_e32 0x80, v15
; %bb.1447:                             ;   in Loop: Header=BB4_1125 Depth=2
	s_xor_b32 s12, exec_lo, -1
; %bb.1448:                             ;   in Loop: Header=BB4_1125 Depth=2
	s_or_b32 exec_lo, exec_lo, s40
	s_delay_alu instid0(SALU_CYCLE_1)
	s_and_b32 s12, s12, exec_lo
                                        ; implicit-def: $vgpr15
	s_or_saveexec_b32 s11, s11
	v_bfrev_b32_e32 v14, 1
	s_xor_b32 exec_lo, exec_lo, s11
	s_cbranch_execnz .LBB4_1451
.LBB4_1449:                             ;   in Loop: Header=BB4_1125 Depth=2
	s_or_b32 exec_lo, exec_lo, s11
	s_and_saveexec_b32 s11, s12
	s_cbranch_execnz .LBB4_1452
	s_branch .LBB4_1455
.LBB4_1450:                             ;   in Loop: Header=BB4_1125 Depth=2
	s_or_saveexec_b32 s11, s11
	v_bfrev_b32_e32 v14, 1
	s_xor_b32 exec_lo, exec_lo, s11
	s_cbranch_execz .LBB4_1449
.LBB4_1451:                             ;   in Loop: Header=BB4_1125 Depth=2
	v_cmp_ne_u16_e64 s10, 0, v15
	v_mov_b32_e32 v14, 0
	s_and_not1_b32 s12, s12, exec_lo
	s_and_b32 s10, s10, exec_lo
	s_delay_alu instid0(SALU_CYCLE_1)
	s_or_b32 s12, s12, s10
	s_or_b32 exec_lo, exec_lo, s11
	s_and_saveexec_b32 s11, s12
	s_cbranch_execz .LBB4_1455
.LBB4_1452:                             ;   in Loop: Header=BB4_1125 Depth=2
	v_and_b32_e32 v15, 0x7f, v10
	v_mov_b32_e32 v14, 0x7f800001
	s_mov_b32 s12, exec_lo
	s_delay_alu instid0(VALU_DEP_2)
	v_cmpx_ne_u32_e32 0x7f, v15
	s_cbranch_execz .LBB4_1454
; %bb.1453:                             ;   in Loop: Header=BB4_1125 Depth=2
	v_and_b32_e32 v14, 7, v10
	v_cmp_gt_u32_e64 s10, 8, v15
	s_delay_alu instid0(VALU_DEP_2) | instskip(NEXT) | instid1(VALU_DEP_1)
	v_clz_i32_u32_e32 v24, v14
	v_min_u32_e32 v64, 32, v24
	s_delay_alu instid0(VALU_DEP_1) | instskip(SKIP_1) | instid1(VALU_DEP_2)
	v_subrev_nc_u32_e32 v24, 28, v64
	v_sub_nc_u32_e32 v64, 29, v64
	v_lshlrev_b64_e32 v[24:25], v24, v[10:11]
	v_dual_lshrrev_b32 v25, 3, v15 :: v_dual_lshlrev_b32 v10, 24, v10
	s_delay_alu instid0(VALU_DEP_1) | instskip(NEXT) | instid1(VALU_DEP_3)
	v_and_b32_e32 v10, 0x80000000, v10
	v_and_b32_e32 v15, 7, v24
	s_delay_alu instid0(VALU_DEP_1) | instskip(NEXT) | instid1(VALU_DEP_1)
	v_dual_cndmask_b32 v24, v25, v64, s10 :: v_dual_cndmask_b32 v14, v14, v15, s10
	v_lshl_add_u32 v15, v24, 23, 0x3c000000
	s_delay_alu instid0(VALU_DEP_2) | instskip(NEXT) | instid1(VALU_DEP_1)
	v_lshlrev_b32_e32 v14, 20, v14
	v_or3_b32 v14, v14, v10, v15
.LBB4_1454:                             ;   in Loop: Header=BB4_1125 Depth=2
	s_or_b32 exec_lo, exec_lo, s12
.LBB4_1455:                             ;   in Loop: Header=BB4_1125 Depth=2
	s_delay_alu instid0(SALU_CYCLE_1) | instskip(NEXT) | instid1(VALU_DEP_1)
	s_or_b32 exec_lo, exec_lo, s11
	v_mul_f32_e32 v10, v11, v14
                                        ; implicit-def: $vgpr57
	s_mov_b32 s11, exec_lo
	s_delay_alu instid0(VALU_DEP_1) | instskip(SKIP_1) | instid1(VALU_DEP_2)
	v_and_b32_e32 v64, 0x7f800000, v10
	v_lshrrev_b32_e32 v11, 24, v10
	v_cmpx_ne_u64_e32 0x7f800000, v[64:65]
	s_xor_b32 s12, exec_lo, s11
	s_cbranch_execz .LBB4_1469
; %bb.1456:                             ;   in Loop: Header=BB4_1125 Depth=2
	v_and_b32_e32 v64, 0x7fffffff, v10
	v_and_b32_e32 v24, 0x80, v11
                                        ; implicit-def: $vgpr57
	s_mov_b32 s11, exec_lo
	s_delay_alu instid0(VALU_DEP_2)
	v_cmpx_gt_u64_e32 0x43e00001, v[64:65]
	s_xor_b32 s40, exec_lo, s11
	s_cbranch_execz .LBB4_1466
; %bb.1457:                             ;   in Loop: Header=BB4_1125 Depth=2
	v_mov_b32_e32 v57, 0
	s_mov_b32 s41, exec_lo
	v_cmpx_ne_u32_e32 0, v10
	s_cbranch_execz .LBB4_1465
; %bb.1458:                             ;   in Loop: Header=BB4_1125 Depth=2
	v_bfe_u32 v25, v10, 23, 8
	v_and_b32_e32 v14, 0x7fffff, v10
	s_delay_alu instid0(VALU_DEP_2) | instskip(SKIP_1) | instid1(VALU_DEP_3)
	v_sub_nc_u32_e32 v11, 0x79, v25
	v_cmp_gt_u32_e64 s10, 0x7a, v25
	v_or_b32_e32 v15, 0x800000, v14
	s_delay_alu instid0(VALU_DEP_2) | instskip(SKIP_1) | instid1(VALU_DEP_1)
	v_cndmask_b32_e64 v11, 0, v11, s10
	v_cmp_eq_u32_e64 s10, 0, v25
	v_cndmask_b32_e64 v57, v11, 0x78, s10
	s_delay_alu instid0(VALU_DEP_1) | instskip(SKIP_1) | instid1(VALU_DEP_2)
	v_dual_cndmask_b32 v64, v15, v14, s10 :: v_dual_add_nc_u32 v58, 19, v57
	v_add_nc_u32_e32 v10, 20, v57
	v_lshlrev_b64_e64 v[14:15], v58, 1
	s_delay_alu instid0(VALU_DEP_2) | instskip(NEXT) | instid1(VALU_DEP_1)
	v_lshlrev_b64_e64 v[10:11], v10, -1
	v_bfi_b32 v59, v11, 0, 0
	s_delay_alu instid0(VALU_DEP_2) | instskip(SKIP_1) | instid1(VALU_DEP_2)
	v_bfi_b32 v58, v10, 0, v64
	v_lshrrev_b64 v[10:11], v57, v[64:65]
	v_cmp_eq_u64_e64 s11, v[58:59], v[14:15]
	s_delay_alu instid0(VALU_DEP_2)
	v_mov_b64_e32 v[14:15], v[10:11]
	s_and_saveexec_b32 s42, s11
; %bb.1459:                             ;   in Loop: Header=BB4_1125 Depth=2
	v_bfe_u32 v64, v10, 20, 1
	s_delay_alu instid0(VALU_DEP_1) | instskip(NEXT) | instid1(VALU_DEP_1)
	v_add_nc_u64_e32 v[14:15], v[10:11], v[64:65]
	v_add_nc_u64_e32 v[14:15], -1, v[14:15]
; %bb.1460:                             ;   in Loop: Header=BB4_1125 Depth=2
	s_or_b32 exec_lo, exec_lo, s42
	v_add_nc_u32_e32 v11, 0xffffff81, v25
	v_lshrrev_b32_e32 v15, 23, v10
	s_mov_b32 s11, exec_lo
	s_delay_alu instid0(VALU_DEP_2) | instskip(NEXT) | instid1(VALU_DEP_1)
	v_cndmask_b32_e64 v11, v11, 0xffffff82, s10
	v_add3_u32 v15, v57, v11, v15
	v_and_b32_e32 v11, 0xfffff, v14
                                        ; implicit-def: $vgpr14
	s_delay_alu instid0(VALU_DEP_1) | instskip(NEXT) | instid1(VALU_DEP_1)
	v_dual_add_nc_u32 v25, 6, v15 :: v_dual_add_nc_u32 v64, v11, v10
                                        ; implicit-def: $vgpr10_vgpr11
	v_cmpx_ne_u32_e32 0, v25
	s_xor_b32 s11, exec_lo, s11
; %bb.1461:                             ;   in Loop: Header=BB4_1125 Depth=2
	s_delay_alu instid0(VALU_DEP_2) | instskip(SKIP_1) | instid1(VALU_DEP_1)
	v_cmp_lt_u64_e64 s10, 0xffffff, v[64:65]
	v_add_nc_u32_e32 v10, 7, v15
	v_cndmask_b32_e64 v14, v25, v10, s10
	v_cndmask_b32_e64 v10, 0, 1, s10
	s_delay_alu instid0(VALU_DEP_1)
	v_lshrrev_b64 v[10:11], v10, v[64:65]
; %bb.1462:                             ;   in Loop: Header=BB4_1125 Depth=2
	s_and_not1_saveexec_b32 s10, s11
; %bb.1463:                             ;   in Loop: Header=BB4_1125 Depth=2
	v_mov_b64_e32 v[10:11], v[64:65]
	v_bfe_u32 v14, v64, 23, 1
; %bb.1464:                             ;   in Loop: Header=BB4_1125 Depth=2
	s_or_b32 exec_lo, exec_lo, s10
	s_delay_alu instid0(VALU_DEP_2) | instskip(NEXT) | instid1(VALU_DEP_2)
	v_lshrrev_b64 v[10:11], 20, v[10:11]
	v_cmp_gt_i32_e64 s10, 16, v14
	v_min_i32_e32 v15, 15, v14
	v_cmp_eq_u32_e64 s11, 0, v14
	s_delay_alu instid0(VALU_DEP_3) | instskip(NEXT) | instid1(VALU_DEP_3)
	v_cndmask_b32_e64 v11, 0, v11, s10
	v_dual_lshlrev_b32 v15, 3, v15 :: v_dual_cndmask_b32 v10, 7, v10, s10
	s_delay_alu instid0(VALU_DEP_1) | instskip(NEXT) | instid1(VALU_DEP_2)
	v_and_b32_e32 v15, 0xf8, v15
	v_cmp_eq_u64_e64 s10, 0, v[10:11]
	s_delay_alu instid0(VALU_DEP_2)
	v_and_or_b32 v10, v10, 7, v15
	s_and_b32 s10, s11, s10
	s_delay_alu instid0(VALU_DEP_1) | instid1(SALU_CYCLE_1)
	v_cndmask_b32_e64 v10, v10, 0, s10
	s_delay_alu instid0(VALU_DEP_1)
	v_or_b32_e32 v57, v10, v24
.LBB4_1465:                             ;   in Loop: Header=BB4_1125 Depth=2
	s_or_b32 exec_lo, exec_lo, s41
                                        ; implicit-def: $vgpr24
.LBB4_1466:                             ;   in Loop: Header=BB4_1125 Depth=2
	s_and_not1_saveexec_b32 s10, s40
; %bb.1467:                             ;   in Loop: Header=BB4_1125 Depth=2
	v_or_b32_e32 v57, 0x7e, v24
; %bb.1468:                             ;   in Loop: Header=BB4_1125 Depth=2
	s_or_b32 exec_lo, exec_lo, s10
                                        ; implicit-def: $vgpr11
.LBB4_1469:                             ;   in Loop: Header=BB4_1125 Depth=2
	s_and_not1_saveexec_b32 s10, s12
; %bb.1470:                             ;   in Loop: Header=BB4_1125 Depth=2
	v_or_b32_e32 v57, 0x7f, v11
; %bb.1471:                             ;   in Loop: Header=BB4_1125 Depth=2
	s_or_b32 exec_lo, exec_lo, s10
	v_mov_b32_e32 v11, 0
	s_mov_b32 s11, exec_lo
	v_cmpx_lt_u32_e32 0xffffff, v16
	s_cbranch_execz .LBB4_1479
; %bb.1472:                             ;   in Loop: Header=BB4_1125 Depth=2
	v_lshrrev_b32_e32 v10, 24, v16
	v_bfrev_b32_e32 v11, 1
	s_mov_b32 s12, exec_lo
	s_delay_alu instid0(VALU_DEP_2)
	v_cmpx_ne_u32_e32 0x80, v10
	s_cbranch_execz .LBB4_1478
; %bb.1473:                             ;   in Loop: Header=BB4_1125 Depth=2
	v_bfe_u32 v14, v16, 24, 7
	v_mov_b32_e32 v11, 0x7f800001
	s_mov_b32 s40, exec_lo
	s_delay_alu instid0(VALU_DEP_2)
	v_cmpx_ne_u32_e32 0x7f, v14
	s_cbranch_execz .LBB4_1477
; %bb.1474:                             ;   in Loop: Header=BB4_1125 Depth=2
	v_and_b32_e32 v64, 7, v10
	v_lshrrev_b32_e32 v11, 3, v14
	s_mov_b32 s41, exec_lo
	v_cmpx_gt_u32_e32 8, v14
; %bb.1475:                             ;   in Loop: Header=BB4_1125 Depth=2
	s_delay_alu instid0(VALU_DEP_3) | instskip(NEXT) | instid1(VALU_DEP_1)
	v_clz_i32_u32_e32 v11, v64
	v_min_u32_e32 v11, 32, v11
	s_delay_alu instid0(VALU_DEP_1) | instskip(NEXT) | instid1(VALU_DEP_1)
	v_subrev_nc_u32_e32 v14, 28, v11
	v_lshlrev_b64_e32 v[14:15], v14, v[64:65]
	s_delay_alu instid0(VALU_DEP_1)
	v_dual_sub_nc_u32 v11, 29, v11 :: v_dual_bitop2_b32 v64, 7, v14 bitop3:0x40
; %bb.1476:                             ;   in Loop: Header=BB4_1125 Depth=2
	s_or_b32 exec_lo, exec_lo, s41
	s_delay_alu instid0(VALU_DEP_1) | instskip(NEXT) | instid1(VALU_DEP_2)
	v_dual_lshlrev_b32 v10, 24, v10 :: v_dual_lshlrev_b32 v14, 20, v64
	v_lshl_add_u32 v11, v11, 23, 0x3c000000
	s_delay_alu instid0(VALU_DEP_2) | instskip(NEXT) | instid1(VALU_DEP_1)
	v_and_b32_e32 v10, 0x80000000, v10
	v_or3_b32 v11, v14, v10, v11
.LBB4_1477:                             ;   in Loop: Header=BB4_1125 Depth=2
	s_or_b32 exec_lo, exec_lo, s40
.LBB4_1478:                             ;   in Loop: Header=BB4_1125 Depth=2
	s_delay_alu instid0(SALU_CYCLE_1)
	s_or_b32 exec_lo, exec_lo, s12
.LBB4_1479:                             ;   in Loop: Header=BB4_1125 Depth=2
	s_delay_alu instid0(SALU_CYCLE_1) | instskip(SKIP_3) | instid1(VALU_DEP_3)
	s_or_b32 exec_lo, exec_lo, s11
	v_lshrrev_b32_e32 v10, 24, v12
	v_bfe_u32 v14, v12, 24, 7
	v_cmp_gt_u32_e64 s12, 0x1000000, v12
	v_cmp_eq_u32_e64 s10, 0x80, v10
	s_delay_alu instid0(VALU_DEP_3) | instskip(NEXT) | instid1(VALU_DEP_2)
	v_cmp_eq_u32_e64 s11, 0x7f, v14
	v_cndmask_b32_e64 v15, 0x7f800001, v45, s10
	s_or_b32 s10, s10, s11
	s_delay_alu instid0(SALU_CYCLE_1) | instskip(NEXT) | instid1(VALU_DEP_1)
	s_nor_b32 s10, s12, s10
	v_cndmask_b32_e64 v15, v15, 0, s12
	s_and_saveexec_b32 s11, s10
	s_cbranch_execz .LBB4_1481
; %bb.1480:                             ;   in Loop: Header=BB4_1125 Depth=2
	v_and_b32_e32 v15, 7, v10
	v_cmp_gt_u32_e64 s10, 8, v14
	s_delay_alu instid0(VALU_DEP_2) | instskip(NEXT) | instid1(VALU_DEP_1)
	v_clz_i32_u32_e32 v24, v15
	v_min_u32_e32 v64, 32, v24
	s_delay_alu instid0(VALU_DEP_1) | instskip(SKIP_1) | instid1(VALU_DEP_2)
	v_subrev_nc_u32_e32 v24, 28, v64
	v_sub_nc_u32_e32 v64, 29, v64
	v_lshlrev_b64_e32 v[24:25], v24, v[10:11]
	v_lshrrev_b32_e32 v25, 3, v14
	s_delay_alu instid0(VALU_DEP_2) | instskip(NEXT) | instid1(VALU_DEP_2)
	v_dual_lshlrev_b32 v10, 24, v10 :: v_dual_bitop2_b32 v14, 7, v24 bitop3:0x40
	v_cndmask_b32_e64 v24, v25, v64, s10
	s_delay_alu instid0(VALU_DEP_2) | instskip(NEXT) | instid1(VALU_DEP_3)
	v_and_b32_e32 v10, 0x80000000, v10
	v_cndmask_b32_e64 v14, v15, v14, s10
	s_delay_alu instid0(VALU_DEP_3) | instskip(NEXT) | instid1(VALU_DEP_2)
	v_lshl_add_u32 v15, v24, 23, 0x3c000000
	v_lshlrev_b32_e32 v14, 20, v14
	s_delay_alu instid0(VALU_DEP_1)
	v_or3_b32 v15, v14, v10, v15
.LBB4_1481:                             ;   in Loop: Header=BB4_1125 Depth=2
	s_or_b32 exec_lo, exec_lo, s11
	s_delay_alu instid0(VALU_DEP_1) | instskip(SKIP_1) | instid1(VALU_DEP_1)
	v_mul_f32_e32 v10, v11, v15
                                        ; implicit-def: $vgpr58
	s_mov_b32 s11, exec_lo
	v_and_b32_e32 v64, 0x7f800000, v10
	v_lshrrev_b32_e32 v11, 24, v10
	s_delay_alu instid0(VALU_DEP_2)
	v_cmpx_ne_u64_e32 0x7f800000, v[64:65]
	s_xor_b32 s12, exec_lo, s11
	s_cbranch_execz .LBB4_1495
; %bb.1482:                             ;   in Loop: Header=BB4_1125 Depth=2
	v_and_b32_e32 v64, 0x7fffffff, v10
	v_and_b32_e32 v24, 0x80, v11
                                        ; implicit-def: $vgpr58
	s_mov_b32 s11, exec_lo
	s_delay_alu instid0(VALU_DEP_2)
	v_cmpx_gt_u64_e32 0x43e00001, v[64:65]
	s_xor_b32 s40, exec_lo, s11
	s_cbranch_execz .LBB4_1492
; %bb.1483:                             ;   in Loop: Header=BB4_1125 Depth=2
	v_mov_b32_e32 v58, 0
	s_mov_b32 s41, exec_lo
	v_cmpx_ne_u32_e32 0, v10
	s_cbranch_execz .LBB4_1491
; %bb.1484:                             ;   in Loop: Header=BB4_1125 Depth=2
	v_bfe_u32 v25, v10, 23, 8
	v_and_b32_e32 v14, 0x7fffff, v10
	s_delay_alu instid0(VALU_DEP_2) | instskip(SKIP_1) | instid1(VALU_DEP_3)
	v_sub_nc_u32_e32 v11, 0x79, v25
	v_cmp_gt_u32_e64 s10, 0x7a, v25
	v_or_b32_e32 v15, 0x800000, v14
	s_delay_alu instid0(VALU_DEP_2) | instskip(SKIP_1) | instid1(VALU_DEP_1)
	v_cndmask_b32_e64 v11, 0, v11, s10
	v_cmp_eq_u32_e64 s10, 0, v25
	v_cndmask_b32_e64 v58, v11, 0x78, s10
	s_delay_alu instid0(VALU_DEP_4) | instskip(NEXT) | instid1(VALU_DEP_2)
	v_cndmask_b32_e64 v64, v15, v14, s10
	v_dual_add_nc_u32 v10, 20, v58 :: v_dual_add_nc_u32 v59, 19, v58
	s_delay_alu instid0(VALU_DEP_1) | instskip(NEXT) | instid1(VALU_DEP_2)
	v_lshlrev_b64_e64 v[10:11], v10, -1
	v_lshlrev_b64_e64 v[14:15], v59, 1
	s_delay_alu instid0(VALU_DEP_2) | instskip(NEXT) | instid1(VALU_DEP_3)
	v_bfi_b32 v61, v11, 0, 0
	v_bfi_b32 v60, v10, 0, v64
	v_lshrrev_b64 v[10:11], v58, v[64:65]
	s_delay_alu instid0(VALU_DEP_2) | instskip(NEXT) | instid1(VALU_DEP_2)
	v_cmp_eq_u64_e64 s11, v[60:61], v[14:15]
	v_mov_b64_e32 v[14:15], v[10:11]
	s_and_saveexec_b32 s42, s11
; %bb.1485:                             ;   in Loop: Header=BB4_1125 Depth=2
	v_bfe_u32 v64, v10, 20, 1
	s_delay_alu instid0(VALU_DEP_1) | instskip(NEXT) | instid1(VALU_DEP_1)
	v_add_nc_u64_e32 v[14:15], v[10:11], v[64:65]
	v_add_nc_u64_e32 v[14:15], -1, v[14:15]
; %bb.1486:                             ;   in Loop: Header=BB4_1125 Depth=2
	s_or_b32 exec_lo, exec_lo, s42
	v_add_nc_u32_e32 v11, 0xffffff81, v25
	v_lshrrev_b32_e32 v15, 23, v10
	s_mov_b32 s11, exec_lo
	s_delay_alu instid0(VALU_DEP_2) | instskip(NEXT) | instid1(VALU_DEP_1)
	v_cndmask_b32_e64 v11, v11, 0xffffff82, s10
	v_add3_u32 v15, v58, v11, v15
	v_and_b32_e32 v11, 0xfffff, v14
                                        ; implicit-def: $vgpr14
	s_delay_alu instid0(VALU_DEP_1) | instskip(NEXT) | instid1(VALU_DEP_1)
	v_dual_add_nc_u32 v25, 6, v15 :: v_dual_add_nc_u32 v64, v11, v10
                                        ; implicit-def: $vgpr10_vgpr11
	v_cmpx_ne_u32_e32 0, v25
	s_xor_b32 s11, exec_lo, s11
; %bb.1487:                             ;   in Loop: Header=BB4_1125 Depth=2
	s_delay_alu instid0(VALU_DEP_2) | instskip(SKIP_1) | instid1(VALU_DEP_1)
	v_cmp_lt_u64_e64 s10, 0xffffff, v[64:65]
	v_add_nc_u32_e32 v10, 7, v15
	v_cndmask_b32_e64 v14, v25, v10, s10
	v_cndmask_b32_e64 v10, 0, 1, s10
	s_delay_alu instid0(VALU_DEP_1)
	v_lshrrev_b64 v[10:11], v10, v[64:65]
; %bb.1488:                             ;   in Loop: Header=BB4_1125 Depth=2
	s_and_not1_saveexec_b32 s10, s11
; %bb.1489:                             ;   in Loop: Header=BB4_1125 Depth=2
	v_mov_b64_e32 v[10:11], v[64:65]
	v_bfe_u32 v14, v64, 23, 1
; %bb.1490:                             ;   in Loop: Header=BB4_1125 Depth=2
	s_or_b32 exec_lo, exec_lo, s10
	s_delay_alu instid0(VALU_DEP_2) | instskip(NEXT) | instid1(VALU_DEP_2)
	v_lshrrev_b64 v[10:11], 20, v[10:11]
	v_cmp_gt_i32_e64 s10, 16, v14
	v_min_i32_e32 v15, 15, v14
	v_cmp_eq_u32_e64 s11, 0, v14
	s_delay_alu instid0(VALU_DEP_3) | instskip(NEXT) | instid1(VALU_DEP_3)
	v_cndmask_b32_e64 v11, 0, v11, s10
	v_dual_lshlrev_b32 v15, 3, v15 :: v_dual_cndmask_b32 v10, 7, v10, s10
	s_delay_alu instid0(VALU_DEP_1) | instskip(NEXT) | instid1(VALU_DEP_2)
	v_and_b32_e32 v15, 0xf8, v15
	v_cmp_eq_u64_e64 s10, 0, v[10:11]
	s_delay_alu instid0(VALU_DEP_2)
	v_and_or_b32 v10, v10, 7, v15
	s_and_b32 s10, s11, s10
	s_delay_alu instid0(VALU_DEP_1) | instid1(SALU_CYCLE_1)
	v_cndmask_b32_e64 v10, v10, 0, s10
	s_delay_alu instid0(VALU_DEP_1)
	v_or_b32_e32 v58, v10, v24
.LBB4_1491:                             ;   in Loop: Header=BB4_1125 Depth=2
	s_or_b32 exec_lo, exec_lo, s41
                                        ; implicit-def: $vgpr24
.LBB4_1492:                             ;   in Loop: Header=BB4_1125 Depth=2
	s_and_not1_saveexec_b32 s10, s40
; %bb.1493:                             ;   in Loop: Header=BB4_1125 Depth=2
	v_or_b32_e32 v58, 0x7e, v24
; %bb.1494:                             ;   in Loop: Header=BB4_1125 Depth=2
	s_or_b32 exec_lo, exec_lo, s10
                                        ; implicit-def: $vgpr11
.LBB4_1495:                             ;   in Loop: Header=BB4_1125 Depth=2
	s_and_not1_saveexec_b32 s10, s12
; %bb.1496:                             ;   in Loop: Header=BB4_1125 Depth=2
	v_or_b32_e32 v58, 0x7f, v11
; %bb.1497:                             ;   in Loop: Header=BB4_1125 Depth=2
	s_or_b32 exec_lo, exec_lo, s10
	v_and_b32_e32 v10, 0xff, v17
	v_dual_mov_b32 v64, v17 :: v_dual_mov_b32 v14, 0
	s_mov_b32 s11, exec_lo
	s_delay_alu instid0(VALU_DEP_2)
	v_cmpx_ne_u16_e32 0, v10
	s_cbranch_execz .LBB4_1503
; %bb.1498:                             ;   in Loop: Header=BB4_1125 Depth=2
	v_bfrev_b32_e32 v14, 1
	s_mov_b32 s12, exec_lo
	v_cmpx_ne_u16_e32 0x80, v10
	s_cbranch_execz .LBB4_1502
; %bb.1499:                             ;   in Loop: Header=BB4_1125 Depth=2
	v_and_b32_e32 v10, 0x7f, v17
	v_mov_b32_e32 v14, 0x7f800001
	s_mov_b32 s40, exec_lo
	s_delay_alu instid0(VALU_DEP_2)
	v_cmpx_ne_u32_e32 0x7f, v10
	s_cbranch_execz .LBB4_1501
; %bb.1500:                             ;   in Loop: Header=BB4_1125 Depth=2
	v_dual_lshrrev_b32 v14, 3, v10 :: v_dual_bitop2_b32 v11, 7, v17 bitop3:0x40
	v_cmp_gt_u32_e64 s10, 8, v10
	s_delay_alu instid0(VALU_DEP_2) | instskip(NEXT) | instid1(VALU_DEP_1)
	v_clz_i32_u32_e32 v11, v11
	v_min_u32_e32 v11, 32, v11
	s_delay_alu instid0(VALU_DEP_1) | instskip(SKIP_1) | instid1(VALU_DEP_2)
	v_subrev_nc_u32_e32 v15, 28, v11
	v_sub_nc_u32_e32 v11, 29, v11
	v_cndmask_b32_e64 v10, 0, v15, s10
	s_delay_alu instid0(VALU_DEP_2) | instskip(NEXT) | instid1(VALU_DEP_2)
	v_cndmask_b32_e64 v14, v14, v11, s10
	v_lshlrev_b64_e32 v[10:11], v10, v[64:65]
	v_lshlrev_b32_e32 v11, 24, v64
	s_delay_alu instid0(VALU_DEP_3) | instskip(NEXT) | instid1(VALU_DEP_2)
	v_lshl_add_u32 v14, v14, 23, 0x3c000000
	v_and_b32_e32 v11, 0x80000000, v11
	s_delay_alu instid0(VALU_DEP_4) | instskip(NEXT) | instid1(VALU_DEP_1)
	v_lshlrev_b32_e32 v10, 20, v10
	v_and_b32_e32 v10, 0x700000, v10
	s_delay_alu instid0(VALU_DEP_1)
	v_or3_b32 v14, v10, v11, v14
.LBB4_1501:                             ;   in Loop: Header=BB4_1125 Depth=2
	s_or_b32 exec_lo, exec_lo, s40
.LBB4_1502:                             ;   in Loop: Header=BB4_1125 Depth=2
	s_delay_alu instid0(SALU_CYCLE_1)
	s_or_b32 exec_lo, exec_lo, s12
.LBB4_1503:                             ;   in Loop: Header=BB4_1125 Depth=2
	s_delay_alu instid0(SALU_CYCLE_1) | instskip(SKIP_4) | instid1(VALU_DEP_2)
	s_or_b32 exec_lo, exec_lo, s11
	v_and_b32_e32 v11, 0xff, v13
	v_mov_b32_e32 v10, v13
	s_mov_b32 s11, 0
	s_mov_b32 s12, exec_lo
	v_cmpx_lt_i16_e32 0x7f, v11
	s_xor_b32 s12, exec_lo, s12
	s_cbranch_execz .LBB4_1538
; %bb.1504:                             ;   in Loop: Header=BB4_1125 Depth=2
	s_mov_b32 s11, -1
	s_mov_b32 s40, exec_lo
	v_cmpx_eq_u16_e32 0x80, v11
; %bb.1505:                             ;   in Loop: Header=BB4_1125 Depth=2
	s_xor_b32 s11, exec_lo, -1
; %bb.1506:                             ;   in Loop: Header=BB4_1125 Depth=2
	s_or_b32 exec_lo, exec_lo, s40
	s_delay_alu instid0(SALU_CYCLE_1)
	s_and_b32 s11, s11, exec_lo
                                        ; implicit-def: $vgpr11
	s_or_saveexec_b32 s12, s12
	v_bfrev_b32_e32 v15, 1
	s_xor_b32 exec_lo, exec_lo, s12
	s_cbranch_execnz .LBB4_1539
.LBB4_1507:                             ;   in Loop: Header=BB4_1125 Depth=2
	s_or_b32 exec_lo, exec_lo, s12
	v_mov_b32_e32 v11, v65
	s_and_saveexec_b32 s12, s11
	s_cbranch_execz .LBB4_1509
.LBB4_1508:                             ;   in Loop: Header=BB4_1125 Depth=2
	v_and_b32_e32 v15, 7, v13
	v_and_b32_e32 v59, 0x7f, v13
	v_bfe_u32 v24, v13, 3, 4
	s_delay_alu instid0(VALU_DEP_3) | instskip(NEXT) | instid1(VALU_DEP_3)
	v_clz_i32_u32_e32 v15, v15
	v_cmp_gt_u32_e64 s10, 8, v59
	s_delay_alu instid0(VALU_DEP_2) | instskip(NEXT) | instid1(VALU_DEP_1)
	v_min_u32_e32 v15, 32, v15
	v_subrev_nc_u32_e32 v25, 28, v15
	v_sub_nc_u32_e32 v15, 29, v15
	s_delay_alu instid0(VALU_DEP_1) | instskip(SKIP_1) | instid1(VALU_DEP_2)
	v_dual_cndmask_b32 v15, v24, v15, s10 :: v_dual_cndmask_b32 v24, 0, v25, s10
	v_cmp_ne_u32_e64 s10, 0x7f, v59
	v_lshlrev_b64_e32 v[24:25], v24, v[10:11]
	v_lshlrev_b32_e32 v11, 24, v10
	s_delay_alu instid0(VALU_DEP_1) | instskip(NEXT) | instid1(VALU_DEP_3)
	v_and_b32_e32 v11, 0x80000000, v11
	v_lshlrev_b32_e32 v24, 20, v24
	v_lshl_add_u32 v15, v15, 23, 0x3c000000
	s_delay_alu instid0(VALU_DEP_2) | instskip(NEXT) | instid1(VALU_DEP_1)
	v_and_b32_e32 v24, 0x700000, v24
	v_or3_b32 v11, v24, v11, v15
	s_delay_alu instid0(VALU_DEP_1)
	v_cndmask_b32_e64 v15, 0x7f800001, v11, s10
.LBB4_1509:                             ;   in Loop: Header=BB4_1125 Depth=2
	s_or_b32 exec_lo, exec_lo, s12
	s_delay_alu instid0(VALU_DEP_1) | instskip(NEXT) | instid1(VALU_DEP_1)
	v_dual_mul_f32 v14, v14, v15 :: v_dual_mov_b32 v25, v65
	v_and_b32_e32 v24, 0x7f800000, v14
	v_lshrrev_b32_e32 v11, 24, v14
	s_delay_alu instid0(VALU_DEP_2) | instskip(SKIP_1) | instid1(SALU_CYCLE_1)
	v_cmp_ne_u64_e64 s10, 0x7f800000, v[24:25]
                                        ; implicit-def: $vgpr24
	s_and_saveexec_b32 s11, s10
	s_xor_b32 s12, exec_lo, s11
	s_cbranch_execz .LBB4_1523
; %bb.1510:                             ;   in Loop: Header=BB4_1125 Depth=2
	v_and_b32_e32 v24, 0x7fffffff, v14
	v_mov_b32_e32 v25, v65
	v_and_b32_e32 v11, 0x80, v11
	s_delay_alu instid0(VALU_DEP_2) | instskip(SKIP_1) | instid1(SALU_CYCLE_1)
	v_cmp_gt_u64_e64 s10, 0x43e00001, v[24:25]
                                        ; implicit-def: $vgpr24
	s_and_saveexec_b32 s11, s10
	s_xor_b32 s40, exec_lo, s11
	s_cbranch_execz .LBB4_1520
; %bb.1511:                             ;   in Loop: Header=BB4_1125 Depth=2
	v_mov_b32_e32 v24, 0
	s_mov_b32 s41, exec_lo
	v_cmpx_ne_u32_e32 0, v14
	s_cbranch_execz .LBB4_1519
; %bb.1512:                             ;   in Loop: Header=BB4_1125 Depth=2
	v_bfe_u32 v59, v14, 23, 8
	v_and_b32_e32 v24, 0x7fffff, v14
	s_mov_b32 s42, exec_lo
	s_delay_alu instid0(VALU_DEP_2) | instskip(SKIP_1) | instid1(VALU_DEP_3)
	v_sub_nc_u32_e32 v15, 0x79, v59
	v_cmp_gt_u32_e64 s10, 0x7a, v59
	v_or_b32_e32 v25, 0x800000, v24
	s_delay_alu instid0(VALU_DEP_2) | instskip(SKIP_1) | instid1(VALU_DEP_1)
	v_cndmask_b32_e64 v15, 0, v15, s10
	v_cmp_eq_u32_e64 s10, 0, v59
	v_cndmask_b32_e64 v60, v15, 0x78, s10
	s_delay_alu instid0(VALU_DEP_4) | instskip(NEXT) | instid1(VALU_DEP_2)
	v_cndmask_b32_e64 v24, v25, v24, s10
	v_dual_mov_b32 v25, v65 :: v_dual_add_nc_u32 v61, 19, v60
	v_add_nc_u32_e32 v14, 20, v60
	s_delay_alu instid0(VALU_DEP_2) | instskip(NEXT) | instid1(VALU_DEP_2)
	v_lshlrev_b64_e64 v[62:63], v61, 1
	v_lshlrev_b64_e64 v[14:15], v14, -1
	s_delay_alu instid0(VALU_DEP_1) | instskip(NEXT) | instid1(VALU_DEP_2)
	v_bfi_b32 v73, v15, 0, 0
	v_bfi_b32 v72, v14, 0, v24
	v_lshrrev_b64 v[14:15], v60, v[24:25]
	s_delay_alu instid0(VALU_DEP_1) | instskip(NEXT) | instid1(VALU_DEP_3)
	v_mov_b64_e32 v[24:25], v[14:15]
	v_cmpx_eq_u64_e64 v[72:73], v[62:63]
; %bb.1513:                             ;   in Loop: Header=BB4_1125 Depth=2
	v_bfe_u32 v24, v14, 20, 1
	v_mov_b32_e32 v25, v65
	s_delay_alu instid0(VALU_DEP_1) | instskip(NEXT) | instid1(VALU_DEP_1)
	v_add_nc_u64_e32 v[24:25], v[14:15], v[24:25]
	v_add_nc_u64_e32 v[24:25], -1, v[24:25]
; %bb.1514:                             ;   in Loop: Header=BB4_1125 Depth=2
	s_or_b32 exec_lo, exec_lo, s42
	v_add_nc_u32_e32 v15, 0xffffff81, v59
	v_lshrrev_b32_e32 v25, 23, v14
	s_mov_b32 s11, exec_lo
	s_delay_alu instid0(VALU_DEP_2) | instskip(NEXT) | instid1(VALU_DEP_1)
	v_cndmask_b32_e64 v15, v15, 0xffffff82, s10
	v_add3_u32 v25, v60, v15, v25
	v_and_b32_e32 v15, 0xfffff, v24
                                        ; implicit-def: $vgpr24
	s_delay_alu instid0(VALU_DEP_1) | instskip(SKIP_1) | instid1(VALU_DEP_2)
	v_dual_add_nc_u32 v59, 6, v25 :: v_dual_add_nc_u32 v14, v15, v14
	v_mov_b32_e32 v15, v65
	v_cmpx_ne_u32_e32 0, v59
	s_xor_b32 s11, exec_lo, s11
; %bb.1515:                             ;   in Loop: Header=BB4_1125 Depth=2
	s_delay_alu instid0(VALU_DEP_2) | instskip(SKIP_1) | instid1(VALU_DEP_2)
	v_cmp_lt_u64_e64 s10, 0xffffff, v[14:15]
	v_add_nc_u32_e32 v24, 7, v25
	v_cndmask_b32_e64 v25, 0, 1, s10
	s_delay_alu instid0(VALU_DEP_2) | instskip(NEXT) | instid1(VALU_DEP_2)
	v_cndmask_b32_e64 v24, v59, v24, s10
	v_lshrrev_b64 v[14:15], v25, v[14:15]
; %bb.1516:                             ;   in Loop: Header=BB4_1125 Depth=2
	s_and_not1_saveexec_b32 s10, s11
; %bb.1517:                             ;   in Loop: Header=BB4_1125 Depth=2
	s_delay_alu instid0(VALU_DEP_1)
	v_bfe_u32 v24, v14, 23, 1
; %bb.1518:                             ;   in Loop: Header=BB4_1125 Depth=2
	s_or_b32 exec_lo, exec_lo, s10
	s_delay_alu instid0(VALU_DEP_2) | instskip(NEXT) | instid1(VALU_DEP_2)
	v_lshrrev_b64 v[14:15], 20, v[14:15]
	v_cmp_gt_i32_e64 s10, 16, v24
	v_min_i32_e32 v25, 15, v24
	v_cmp_eq_u32_e64 s11, 0, v24
	s_delay_alu instid0(VALU_DEP_2) | instskip(SKIP_1) | instid1(VALU_DEP_2)
	v_dual_cndmask_b32 v15, 0, v15, s10 :: v_dual_lshlrev_b32 v25, 3, v25
	v_cndmask_b32_e64 v14, 7, v14, s10
	v_and_b32_e32 v25, 0xf8, v25
	s_delay_alu instid0(VALU_DEP_2) | instskip(NEXT) | instid1(VALU_DEP_2)
	v_cmp_eq_u64_e64 s10, 0, v[14:15]
	v_and_or_b32 v14, v14, 7, v25
	s_and_b32 s10, s11, s10
	s_delay_alu instid0(VALU_DEP_1) | instid1(SALU_CYCLE_1)
	v_cndmask_b32_e64 v14, v14, 0, s10
	s_delay_alu instid0(VALU_DEP_1)
	v_or_b32_e32 v24, v14, v11
.LBB4_1519:                             ;   in Loop: Header=BB4_1125 Depth=2
	s_or_b32 exec_lo, exec_lo, s41
                                        ; implicit-def: $vgpr11
.LBB4_1520:                             ;   in Loop: Header=BB4_1125 Depth=2
	s_and_not1_saveexec_b32 s10, s40
; %bb.1521:                             ;   in Loop: Header=BB4_1125 Depth=2
	v_or_b32_e32 v24, 0x7e, v11
; %bb.1522:                             ;   in Loop: Header=BB4_1125 Depth=2
	s_or_b32 exec_lo, exec_lo, s10
                                        ; implicit-def: $vgpr11
.LBB4_1523:                             ;   in Loop: Header=BB4_1125 Depth=2
	s_and_not1_saveexec_b32 s10, s12
; %bb.1524:                             ;   in Loop: Header=BB4_1125 Depth=2
	v_or_b32_e32 v24, 0x7f, v11
; %bb.1525:                             ;   in Loop: Header=BB4_1125 Depth=2
	s_or_b32 exec_lo, exec_lo, s10
	v_lshrrev_b16 v14, 8, v64
	v_mov_b32_e32 v11, 0
	s_mov_b32 s11, exec_lo
	s_delay_alu instid0(VALU_DEP_2)
	v_cmpx_ne_u16_e32 0, v14
	s_cbranch_execz .LBB4_1533
; %bb.1526:                             ;   in Loop: Header=BB4_1125 Depth=2
	v_bfrev_b32_e32 v11, 1
	s_mov_b32 s12, exec_lo
	v_cmpx_ne_u16_e32 0x80, v14
	s_cbranch_execz .LBB4_1532
; %bb.1527:                             ;   in Loop: Header=BB4_1125 Depth=2
	v_and_b32_e32 v14, 0xffff, v14
	v_mov_b32_e32 v11, 0x7f800001
	s_mov_b32 s40, exec_lo
	s_delay_alu instid0(VALU_DEP_2) | instskip(NEXT) | instid1(VALU_DEP_1)
	v_and_b32_e32 v25, 0x7f, v14
	v_cmpx_ne_u32_e32 0x7f, v25
	s_cbranch_execz .LBB4_1531
; %bb.1528:                             ;   in Loop: Header=BB4_1125 Depth=2
	v_dual_mov_b32 v15, v65 :: v_dual_bitop2_b32 v14, 7, v14 bitop3:0x40
	v_lshrrev_b32_e32 v11, 3, v25
	s_mov_b32 s41, exec_lo
	v_cmpx_gt_u32_e32 8, v25
; %bb.1529:                             ;   in Loop: Header=BB4_1125 Depth=2
	s_delay_alu instid0(VALU_DEP_3) | instskip(NEXT) | instid1(VALU_DEP_1)
	v_clz_i32_u32_e32 v11, v14
	v_min_u32_e32 v11, 32, v11
	s_delay_alu instid0(VALU_DEP_1) | instskip(NEXT) | instid1(VALU_DEP_1)
	v_subrev_nc_u32_e32 v25, 28, v11
	v_lshlrev_b64_e32 v[14:15], v25, v[14:15]
	s_delay_alu instid0(VALU_DEP_1)
	v_dual_sub_nc_u32 v11, 29, v11 :: v_dual_bitop2_b32 v14, 7, v14 bitop3:0x40
; %bb.1530:                             ;   in Loop: Header=BB4_1125 Depth=2
	s_or_b32 exec_lo, exec_lo, s41
	s_delay_alu instid0(VALU_DEP_1) | instskip(NEXT) | instid1(VALU_DEP_2)
	v_dual_lshlrev_b32 v15, 16, v64 :: v_dual_lshlrev_b32 v14, 20, v14
	v_lshl_add_u32 v11, v11, 23, 0x3c000000
	s_delay_alu instid0(VALU_DEP_2) | instskip(NEXT) | instid1(VALU_DEP_1)
	v_and_b32_e32 v15, 0x80000000, v15
	v_or3_b32 v11, v14, v15, v11
.LBB4_1531:                             ;   in Loop: Header=BB4_1125 Depth=2
	s_or_b32 exec_lo, exec_lo, s40
.LBB4_1532:                             ;   in Loop: Header=BB4_1125 Depth=2
	s_delay_alu instid0(SALU_CYCLE_1)
	s_or_b32 exec_lo, exec_lo, s12
.LBB4_1533:                             ;   in Loop: Header=BB4_1125 Depth=2
	s_delay_alu instid0(SALU_CYCLE_1) | instskip(SKIP_3) | instid1(VALU_DEP_1)
	s_or_b32 exec_lo, exec_lo, s11
	v_lshrrev_b16 v14, 8, v10
	s_mov_b32 s12, 0
	s_mov_b32 s11, exec_lo
	v_cmpx_lt_i16_e32 0x7f, v14
	s_xor_b32 s11, exec_lo, s11
	s_cbranch_execz .LBB4_1540
; %bb.1534:                             ;   in Loop: Header=BB4_1125 Depth=2
	s_mov_b32 s12, -1
	s_mov_b32 s40, exec_lo
	v_cmpx_eq_u16_e32 0x80, v14
; %bb.1535:                             ;   in Loop: Header=BB4_1125 Depth=2
	s_xor_b32 s12, exec_lo, -1
; %bb.1536:                             ;   in Loop: Header=BB4_1125 Depth=2
	s_or_b32 exec_lo, exec_lo, s40
	s_delay_alu instid0(SALU_CYCLE_1)
	s_and_b32 s12, s12, exec_lo
	s_or_saveexec_b32 s11, s11
	v_bfrev_b32_e32 v15, 1
	s_xor_b32 exec_lo, exec_lo, s11
	s_cbranch_execnz .LBB4_1541
.LBB4_1537:                             ;   in Loop: Header=BB4_1125 Depth=2
	s_or_b32 exec_lo, exec_lo, s11
	s_and_saveexec_b32 s11, s12
	s_cbranch_execnz .LBB4_1542
	s_branch .LBB4_1545
.LBB4_1538:                             ;   in Loop: Header=BB4_1125 Depth=2
	s_or_saveexec_b32 s12, s12
	v_bfrev_b32_e32 v15, 1
	s_xor_b32 exec_lo, exec_lo, s12
	s_cbranch_execz .LBB4_1507
.LBB4_1539:                             ;   in Loop: Header=BB4_1125 Depth=2
	v_cmp_ne_u16_e64 s10, 0, v11
	v_mov_b32_e32 v15, 0
	s_and_not1_b32 s11, s11, exec_lo
	s_and_b32 s10, s10, exec_lo
	s_delay_alu instid0(SALU_CYCLE_1)
	s_or_b32 s11, s11, s10
	s_or_b32 exec_lo, exec_lo, s12
	v_mov_b32_e32 v11, v65
	s_and_saveexec_b32 s12, s11
	s_cbranch_execnz .LBB4_1508
	s_branch .LBB4_1509
.LBB4_1540:                             ;   in Loop: Header=BB4_1125 Depth=2
	s_or_saveexec_b32 s11, s11
	v_bfrev_b32_e32 v15, 1
	s_xor_b32 exec_lo, exec_lo, s11
	s_cbranch_execz .LBB4_1537
.LBB4_1541:                             ;   in Loop: Header=BB4_1125 Depth=2
	v_cmp_ne_u16_e64 s10, 0, v14
	v_mov_b32_e32 v15, 0
	s_and_not1_b32 s12, s12, exec_lo
	s_and_b32 s10, s10, exec_lo
	s_delay_alu instid0(SALU_CYCLE_1)
	s_or_b32 s12, s12, s10
	s_or_b32 exec_lo, exec_lo, s11
	s_and_saveexec_b32 s11, s12
	s_cbranch_execz .LBB4_1545
.LBB4_1542:                             ;   in Loop: Header=BB4_1125 Depth=2
	v_and_b32_e32 v10, 0xffff, v14
	v_mov_b32_e32 v15, 0x7f800001
	s_mov_b32 s12, exec_lo
	s_delay_alu instid0(VALU_DEP_2) | instskip(NEXT) | instid1(VALU_DEP_1)
	v_and_b32_e32 v25, 0x7f, v10
	v_cmpx_ne_u32_e32 0x7f, v25
	s_cbranch_execz .LBB4_1544
; %bb.1543:                             ;   in Loop: Header=BB4_1125 Depth=2
	v_and_b32_e32 v15, 7, v10
	v_cmp_gt_u32_e64 s10, 8, v25
	v_lshlrev_b32_e32 v14, 24, v14
	s_delay_alu instid0(VALU_DEP_3) | instskip(NEXT) | instid1(VALU_DEP_2)
	v_clz_i32_u32_e32 v64, v15
	v_and_b32_e32 v14, 0x80000000, v14
	s_delay_alu instid0(VALU_DEP_2) | instskip(NEXT) | instid1(VALU_DEP_1)
	v_min_u32_e32 v64, 32, v64
	v_subrev_nc_u32_e32 v59, 28, v64
	v_sub_nc_u32_e32 v64, 29, v64
	s_delay_alu instid0(VALU_DEP_2) | instskip(NEXT) | instid1(VALU_DEP_1)
	v_lshlrev_b64_e32 v[60:61], v59, v[10:11]
	v_dual_lshrrev_b32 v10, 3, v25 :: v_dual_bitop2_b32 v25, 7, v60 bitop3:0x40
	s_delay_alu instid0(VALU_DEP_1) | instskip(NEXT) | instid1(VALU_DEP_1)
	v_dual_cndmask_b32 v10, v10, v64, s10 :: v_dual_cndmask_b32 v15, v15, v25, s10
	v_lshl_add_u32 v10, v10, 23, 0x3c000000
	s_delay_alu instid0(VALU_DEP_2) | instskip(NEXT) | instid1(VALU_DEP_1)
	v_lshlrev_b32_e32 v15, 20, v15
	v_or3_b32 v15, v15, v14, v10
.LBB4_1544:                             ;   in Loop: Header=BB4_1125 Depth=2
	s_or_b32 exec_lo, exec_lo, s12
.LBB4_1545:                             ;   in Loop: Header=BB4_1125 Depth=2
	s_delay_alu instid0(SALU_CYCLE_1) | instskip(NEXT) | instid1(VALU_DEP_1)
	s_or_b32 exec_lo, exec_lo, s11
	v_mul_f32_e32 v10, v11, v15
                                        ; implicit-def: $vgpr25
	s_mov_b32 s11, exec_lo
	s_delay_alu instid0(VALU_DEP_1) | instskip(SKIP_1) | instid1(VALU_DEP_2)
	v_and_b32_e32 v64, 0x7f800000, v10
	v_lshrrev_b32_e32 v11, 24, v10
	v_cmpx_ne_u64_e32 0x7f800000, v[64:65]
	s_xor_b32 s12, exec_lo, s11
	s_cbranch_execz .LBB4_1559
; %bb.1546:                             ;   in Loop: Header=BB4_1125 Depth=2
	v_and_b32_e32 v64, 0x7fffffff, v10
	v_and_b32_e32 v59, 0x80, v11
                                        ; implicit-def: $vgpr25
	s_mov_b32 s11, exec_lo
	s_delay_alu instid0(VALU_DEP_2)
	v_cmpx_gt_u64_e32 0x43e00001, v[64:65]
	s_xor_b32 s40, exec_lo, s11
	s_cbranch_execz .LBB4_1556
; %bb.1547:                             ;   in Loop: Header=BB4_1125 Depth=2
	v_mov_b32_e32 v25, 0
	s_mov_b32 s41, exec_lo
	v_cmpx_ne_u32_e32 0, v10
	s_cbranch_execz .LBB4_1555
; %bb.1548:                             ;   in Loop: Header=BB4_1125 Depth=2
	v_bfe_u32 v25, v10, 23, 8
	v_and_b32_e32 v14, 0x7fffff, v10
	s_delay_alu instid0(VALU_DEP_2) | instskip(SKIP_1) | instid1(VALU_DEP_3)
	v_sub_nc_u32_e32 v11, 0x79, v25
	v_cmp_gt_u32_e64 s10, 0x7a, v25
	v_or_b32_e32 v15, 0x800000, v14
	s_delay_alu instid0(VALU_DEP_2) | instskip(SKIP_1) | instid1(VALU_DEP_1)
	v_cndmask_b32_e64 v11, 0, v11, s10
	v_cmp_eq_u32_e64 s10, 0, v25
	v_cndmask_b32_e64 v60, v11, 0x78, s10
	s_delay_alu instid0(VALU_DEP_1) | instskip(SKIP_1) | instid1(VALU_DEP_2)
	v_dual_cndmask_b32 v64, v15, v14, s10 :: v_dual_add_nc_u32 v61, 19, v60
	v_add_nc_u32_e32 v10, 20, v60
	v_lshlrev_b64_e64 v[14:15], v61, 1
	s_delay_alu instid0(VALU_DEP_2) | instskip(NEXT) | instid1(VALU_DEP_1)
	v_lshlrev_b64_e64 v[10:11], v10, -1
	v_bfi_b32 v63, v11, 0, 0
	s_delay_alu instid0(VALU_DEP_2) | instskip(SKIP_1) | instid1(VALU_DEP_2)
	v_bfi_b32 v62, v10, 0, v64
	v_lshrrev_b64 v[10:11], v60, v[64:65]
	v_cmp_eq_u64_e64 s11, v[62:63], v[14:15]
	s_delay_alu instid0(VALU_DEP_2)
	v_mov_b64_e32 v[14:15], v[10:11]
	s_and_saveexec_b32 s42, s11
; %bb.1549:                             ;   in Loop: Header=BB4_1125 Depth=2
	v_bfe_u32 v64, v10, 20, 1
	s_delay_alu instid0(VALU_DEP_1) | instskip(NEXT) | instid1(VALU_DEP_1)
	v_add_nc_u64_e32 v[14:15], v[10:11], v[64:65]
	v_add_nc_u64_e32 v[14:15], -1, v[14:15]
; %bb.1550:                             ;   in Loop: Header=BB4_1125 Depth=2
	s_or_b32 exec_lo, exec_lo, s42
	v_add_nc_u32_e32 v11, 0xffffff81, v25
	v_lshrrev_b32_e32 v15, 23, v10
	s_mov_b32 s11, exec_lo
	s_delay_alu instid0(VALU_DEP_2) | instskip(NEXT) | instid1(VALU_DEP_1)
	v_cndmask_b32_e64 v11, v11, 0xffffff82, s10
	v_add3_u32 v15, v60, v11, v15
	v_and_b32_e32 v11, 0xfffff, v14
                                        ; implicit-def: $vgpr14
	s_delay_alu instid0(VALU_DEP_1) | instskip(NEXT) | instid1(VALU_DEP_1)
	v_dual_add_nc_u32 v25, 6, v15 :: v_dual_add_nc_u32 v64, v11, v10
                                        ; implicit-def: $vgpr10_vgpr11
	v_cmpx_ne_u32_e32 0, v25
	s_xor_b32 s11, exec_lo, s11
; %bb.1551:                             ;   in Loop: Header=BB4_1125 Depth=2
	s_delay_alu instid0(VALU_DEP_2) | instskip(SKIP_1) | instid1(VALU_DEP_1)
	v_cmp_lt_u64_e64 s10, 0xffffff, v[64:65]
	v_add_nc_u32_e32 v10, 7, v15
	v_cndmask_b32_e64 v14, v25, v10, s10
	v_cndmask_b32_e64 v10, 0, 1, s10
	s_delay_alu instid0(VALU_DEP_1)
	v_lshrrev_b64 v[10:11], v10, v[64:65]
; %bb.1552:                             ;   in Loop: Header=BB4_1125 Depth=2
	s_and_not1_saveexec_b32 s10, s11
; %bb.1553:                             ;   in Loop: Header=BB4_1125 Depth=2
	v_mov_b64_e32 v[10:11], v[64:65]
	v_bfe_u32 v14, v64, 23, 1
; %bb.1554:                             ;   in Loop: Header=BB4_1125 Depth=2
	s_or_b32 exec_lo, exec_lo, s10
	s_delay_alu instid0(VALU_DEP_2) | instskip(NEXT) | instid1(VALU_DEP_2)
	v_lshrrev_b64 v[10:11], 20, v[10:11]
	v_cmp_gt_i32_e64 s10, 16, v14
	v_min_i32_e32 v15, 15, v14
	v_cmp_eq_u32_e64 s11, 0, v14
	s_delay_alu instid0(VALU_DEP_3) | instskip(NEXT) | instid1(VALU_DEP_3)
	v_cndmask_b32_e64 v11, 0, v11, s10
	v_dual_lshlrev_b32 v15, 3, v15 :: v_dual_cndmask_b32 v10, 7, v10, s10
	s_delay_alu instid0(VALU_DEP_1) | instskip(NEXT) | instid1(VALU_DEP_2)
	v_and_b32_e32 v15, 0xf8, v15
	v_cmp_eq_u64_e64 s10, 0, v[10:11]
	s_delay_alu instid0(VALU_DEP_2)
	v_and_or_b32 v10, v10, 7, v15
	s_and_b32 s10, s11, s10
	s_delay_alu instid0(VALU_DEP_1) | instid1(SALU_CYCLE_1)
	v_cndmask_b32_e64 v10, v10, 0, s10
	s_delay_alu instid0(VALU_DEP_1)
	v_or_b32_e32 v25, v10, v59
.LBB4_1555:                             ;   in Loop: Header=BB4_1125 Depth=2
	s_or_b32 exec_lo, exec_lo, s41
                                        ; implicit-def: $vgpr59
.LBB4_1556:                             ;   in Loop: Header=BB4_1125 Depth=2
	s_and_not1_saveexec_b32 s10, s40
; %bb.1557:                             ;   in Loop: Header=BB4_1125 Depth=2
	v_or_b32_e32 v25, 0x7e, v59
; %bb.1558:                             ;   in Loop: Header=BB4_1125 Depth=2
	s_or_b32 exec_lo, exec_lo, s10
                                        ; implicit-def: $vgpr11
.LBB4_1559:                             ;   in Loop: Header=BB4_1125 Depth=2
	s_and_not1_saveexec_b32 s10, s12
; %bb.1560:                             ;   in Loop: Header=BB4_1125 Depth=2
	v_or_b32_e32 v25, 0x7f, v11
; %bb.1561:                             ;   in Loop: Header=BB4_1125 Depth=2
	s_or_b32 exec_lo, exec_lo, s10
	v_dual_mov_b32 v11, 0 :: v_dual_lshrrev_b32 v10, 16, v17
	s_mov_b32 s11, exec_lo
	s_delay_alu instid0(VALU_DEP_1) | instskip(NEXT) | instid1(VALU_DEP_1)
	v_and_b32_e32 v14, 0xff, v10
	v_cmpx_ne_u16_e32 0, v14
	s_cbranch_execz .LBB4_1569
; %bb.1562:                             ;   in Loop: Header=BB4_1125 Depth=2
	v_bfrev_b32_e32 v11, 1
	s_mov_b32 s12, exec_lo
	v_cmpx_ne_u16_e32 0x80, v14
	s_cbranch_execz .LBB4_1568
; %bb.1563:                             ;   in Loop: Header=BB4_1125 Depth=2
	v_bfe_u32 v14, v17, 16, 7
	v_mov_b32_e32 v11, 0x7f800001
	s_mov_b32 s40, exec_lo
	s_delay_alu instid0(VALU_DEP_2)
	v_cmpx_ne_u32_e32 0x7f, v14
	s_cbranch_execz .LBB4_1567
; %bb.1564:                             ;   in Loop: Header=BB4_1125 Depth=2
	v_and_b32_e32 v64, 7, v10
	v_lshrrev_b32_e32 v11, 3, v14
	s_mov_b32 s41, exec_lo
	v_cmpx_gt_u32_e32 8, v14
; %bb.1565:                             ;   in Loop: Header=BB4_1125 Depth=2
	s_delay_alu instid0(VALU_DEP_3) | instskip(NEXT) | instid1(VALU_DEP_1)
	v_clz_i32_u32_e32 v11, v64
	v_min_u32_e32 v11, 32, v11
	s_delay_alu instid0(VALU_DEP_1) | instskip(NEXT) | instid1(VALU_DEP_1)
	v_subrev_nc_u32_e32 v14, 28, v11
	v_lshlrev_b64_e32 v[14:15], v14, v[64:65]
	s_delay_alu instid0(VALU_DEP_1)
	v_dual_sub_nc_u32 v11, 29, v11 :: v_dual_bitop2_b32 v64, 7, v14 bitop3:0x40
; %bb.1566:                             ;   in Loop: Header=BB4_1125 Depth=2
	s_or_b32 exec_lo, exec_lo, s41
	s_delay_alu instid0(VALU_DEP_1) | instskip(NEXT) | instid1(VALU_DEP_2)
	v_dual_lshlrev_b32 v10, 24, v10 :: v_dual_lshlrev_b32 v14, 20, v64
	v_lshl_add_u32 v11, v11, 23, 0x3c000000
	s_delay_alu instid0(VALU_DEP_2) | instskip(NEXT) | instid1(VALU_DEP_1)
	v_and_b32_e32 v10, 0x80000000, v10
	v_or3_b32 v11, v14, v10, v11
.LBB4_1567:                             ;   in Loop: Header=BB4_1125 Depth=2
	s_or_b32 exec_lo, exec_lo, s40
.LBB4_1568:                             ;   in Loop: Header=BB4_1125 Depth=2
	s_delay_alu instid0(SALU_CYCLE_1)
	s_or_b32 exec_lo, exec_lo, s12
.LBB4_1569:                             ;   in Loop: Header=BB4_1125 Depth=2
	s_delay_alu instid0(SALU_CYCLE_1) | instskip(SKIP_3) | instid1(VALU_DEP_1)
	s_or_b32 exec_lo, exec_lo, s11
	v_lshrrev_b32_e32 v10, 16, v13
	s_mov_b32 s12, 0
	s_mov_b32 s11, exec_lo
	v_and_b32_e32 v15, 0xff, v10
	s_delay_alu instid0(VALU_DEP_1)
	v_cmpx_lt_i16_e32 0x7f, v15
	s_xor_b32 s11, exec_lo, s11
	s_cbranch_execz .LBB4_1574
; %bb.1570:                             ;   in Loop: Header=BB4_1125 Depth=2
	s_mov_b32 s12, -1
	s_mov_b32 s40, exec_lo
	v_cmpx_eq_u16_e32 0x80, v15
; %bb.1571:                             ;   in Loop: Header=BB4_1125 Depth=2
	s_xor_b32 s12, exec_lo, -1
; %bb.1572:                             ;   in Loop: Header=BB4_1125 Depth=2
	s_or_b32 exec_lo, exec_lo, s40
	s_delay_alu instid0(SALU_CYCLE_1)
	s_and_b32 s12, s12, exec_lo
                                        ; implicit-def: $vgpr15
	s_or_saveexec_b32 s11, s11
	v_bfrev_b32_e32 v14, 1
	s_xor_b32 exec_lo, exec_lo, s11
	s_cbranch_execnz .LBB4_1575
.LBB4_1573:                             ;   in Loop: Header=BB4_1125 Depth=2
	s_or_b32 exec_lo, exec_lo, s11
	s_and_saveexec_b32 s11, s12
	s_cbranch_execnz .LBB4_1576
	s_branch .LBB4_1579
.LBB4_1574:                             ;   in Loop: Header=BB4_1125 Depth=2
	s_or_saveexec_b32 s11, s11
	v_bfrev_b32_e32 v14, 1
	s_xor_b32 exec_lo, exec_lo, s11
	s_cbranch_execz .LBB4_1573
.LBB4_1575:                             ;   in Loop: Header=BB4_1125 Depth=2
	v_cmp_ne_u16_e64 s10, 0, v15
	v_mov_b32_e32 v14, 0
	s_and_not1_b32 s12, s12, exec_lo
	s_and_b32 s10, s10, exec_lo
	s_delay_alu instid0(SALU_CYCLE_1)
	s_or_b32 s12, s12, s10
	s_or_b32 exec_lo, exec_lo, s11
	s_and_saveexec_b32 s11, s12
	s_cbranch_execz .LBB4_1579
.LBB4_1576:                             ;   in Loop: Header=BB4_1125 Depth=2
	v_and_b32_e32 v15, 0x7f, v10
	v_mov_b32_e32 v14, 0x7f800001
	s_mov_b32 s12, exec_lo
	s_delay_alu instid0(VALU_DEP_2)
	v_cmpx_ne_u32_e32 0x7f, v15
	s_cbranch_execz .LBB4_1578
; %bb.1577:                             ;   in Loop: Header=BB4_1125 Depth=2
	v_and_b32_e32 v14, 7, v10
	v_cmp_gt_u32_e64 s10, 8, v15
	s_delay_alu instid0(VALU_DEP_2) | instskip(NEXT) | instid1(VALU_DEP_1)
	v_clz_i32_u32_e32 v64, v14
	v_min_u32_e32 v64, 32, v64
	s_delay_alu instid0(VALU_DEP_1) | instskip(SKIP_1) | instid1(VALU_DEP_2)
	v_subrev_nc_u32_e32 v59, 28, v64
	v_sub_nc_u32_e32 v64, 29, v64
	v_lshlrev_b64_e32 v[60:61], v59, v[10:11]
	v_dual_lshrrev_b32 v59, 3, v15 :: v_dual_lshlrev_b32 v10, 24, v10
	s_delay_alu instid0(VALU_DEP_1) | instskip(NEXT) | instid1(VALU_DEP_3)
	v_and_b32_e32 v10, 0x80000000, v10
	v_and_b32_e32 v15, 7, v60
	s_delay_alu instid0(VALU_DEP_1) | instskip(NEXT) | instid1(VALU_DEP_1)
	v_dual_cndmask_b32 v64, v59, v64, s10 :: v_dual_cndmask_b32 v14, v14, v15, s10
	v_lshl_add_u32 v15, v64, 23, 0x3c000000
	s_delay_alu instid0(VALU_DEP_2) | instskip(NEXT) | instid1(VALU_DEP_1)
	v_lshlrev_b32_e32 v14, 20, v14
	v_or3_b32 v14, v14, v10, v15
.LBB4_1578:                             ;   in Loop: Header=BB4_1125 Depth=2
	s_or_b32 exec_lo, exec_lo, s12
.LBB4_1579:                             ;   in Loop: Header=BB4_1125 Depth=2
	s_delay_alu instid0(SALU_CYCLE_1) | instskip(NEXT) | instid1(VALU_DEP_1)
	s_or_b32 exec_lo, exec_lo, s11
	v_mul_f32_e32 v10, v11, v14
                                        ; implicit-def: $vgpr14
	s_mov_b32 s11, exec_lo
	s_delay_alu instid0(VALU_DEP_1) | instskip(SKIP_1) | instid1(VALU_DEP_2)
	v_and_b32_e32 v64, 0x7f800000, v10
	v_lshrrev_b32_e32 v11, 24, v10
	v_cmpx_ne_u64_e32 0x7f800000, v[64:65]
	s_xor_b32 s12, exec_lo, s11
	s_cbranch_execz .LBB4_1593
; %bb.1580:                             ;   in Loop: Header=BB4_1125 Depth=2
	v_and_b32_e32 v64, 0x7fffffff, v10
	v_and_b32_e32 v59, 0x80, v11
                                        ; implicit-def: $vgpr14
	s_mov_b32 s11, exec_lo
	s_delay_alu instid0(VALU_DEP_2)
	v_cmpx_gt_u64_e32 0x43e00001, v[64:65]
	s_xor_b32 s40, exec_lo, s11
	s_cbranch_execz .LBB4_1590
; %bb.1581:                             ;   in Loop: Header=BB4_1125 Depth=2
	v_mov_b32_e32 v14, 0
	s_mov_b32 s41, exec_lo
	v_cmpx_ne_u32_e32 0, v10
	s_cbranch_execz .LBB4_1589
; %bb.1582:                             ;   in Loop: Header=BB4_1125 Depth=2
	v_bfe_u32 v60, v10, 23, 8
	v_and_b32_e32 v14, 0x7fffff, v10
	s_delay_alu instid0(VALU_DEP_2) | instskip(SKIP_1) | instid1(VALU_DEP_3)
	v_sub_nc_u32_e32 v11, 0x79, v60
	v_cmp_gt_u32_e64 s10, 0x7a, v60
	v_or_b32_e32 v15, 0x800000, v14
	s_delay_alu instid0(VALU_DEP_2) | instskip(SKIP_1) | instid1(VALU_DEP_1)
	v_cndmask_b32_e64 v11, 0, v11, s10
	v_cmp_eq_u32_e64 s10, 0, v60
	v_cndmask_b32_e64 v61, v11, 0x78, s10
	s_delay_alu instid0(VALU_DEP_1) | instskip(SKIP_1) | instid1(VALU_DEP_2)
	v_dual_cndmask_b32 v64, v15, v14, s10 :: v_dual_add_nc_u32 v62, 19, v61
	v_add_nc_u32_e32 v10, 20, v61
	v_lshlrev_b64_e64 v[14:15], v62, 1
	s_delay_alu instid0(VALU_DEP_2) | instskip(NEXT) | instid1(VALU_DEP_1)
	v_lshlrev_b64_e64 v[10:11], v10, -1
	v_bfi_b32 v63, v11, 0, 0
	s_delay_alu instid0(VALU_DEP_2) | instskip(SKIP_1) | instid1(VALU_DEP_2)
	v_bfi_b32 v62, v10, 0, v64
	v_lshrrev_b64 v[10:11], v61, v[64:65]
	v_cmp_eq_u64_e64 s11, v[62:63], v[14:15]
	s_delay_alu instid0(VALU_DEP_2)
	v_mov_b64_e32 v[14:15], v[10:11]
	s_and_saveexec_b32 s42, s11
; %bb.1583:                             ;   in Loop: Header=BB4_1125 Depth=2
	v_bfe_u32 v64, v10, 20, 1
	s_delay_alu instid0(VALU_DEP_1) | instskip(NEXT) | instid1(VALU_DEP_1)
	v_add_nc_u64_e32 v[14:15], v[10:11], v[64:65]
	v_add_nc_u64_e32 v[14:15], -1, v[14:15]
; %bb.1584:                             ;   in Loop: Header=BB4_1125 Depth=2
	s_or_b32 exec_lo, exec_lo, s42
	v_add_nc_u32_e32 v11, 0xffffff81, v60
	v_lshrrev_b32_e32 v15, 23, v10
	s_mov_b32 s11, exec_lo
	s_delay_alu instid0(VALU_DEP_2) | instskip(NEXT) | instid1(VALU_DEP_1)
	v_cndmask_b32_e64 v11, v11, 0xffffff82, s10
	v_add3_u32 v15, v61, v11, v15
	v_and_b32_e32 v11, 0xfffff, v14
                                        ; implicit-def: $vgpr14
	s_delay_alu instid0(VALU_DEP_1) | instskip(NEXT) | instid1(VALU_DEP_1)
	v_dual_add_nc_u32 v60, 6, v15 :: v_dual_add_nc_u32 v64, v11, v10
                                        ; implicit-def: $vgpr10_vgpr11
	v_cmpx_ne_u32_e32 0, v60
	s_xor_b32 s11, exec_lo, s11
; %bb.1585:                             ;   in Loop: Header=BB4_1125 Depth=2
	s_delay_alu instid0(VALU_DEP_2) | instskip(SKIP_1) | instid1(VALU_DEP_1)
	v_cmp_lt_u64_e64 s10, 0xffffff, v[64:65]
	v_add_nc_u32_e32 v10, 7, v15
	v_cndmask_b32_e64 v14, v60, v10, s10
	v_cndmask_b32_e64 v10, 0, 1, s10
	s_delay_alu instid0(VALU_DEP_1)
	v_lshrrev_b64 v[10:11], v10, v[64:65]
; %bb.1586:                             ;   in Loop: Header=BB4_1125 Depth=2
	s_and_not1_saveexec_b32 s10, s11
; %bb.1587:                             ;   in Loop: Header=BB4_1125 Depth=2
	v_mov_b64_e32 v[10:11], v[64:65]
	v_bfe_u32 v14, v64, 23, 1
; %bb.1588:                             ;   in Loop: Header=BB4_1125 Depth=2
	s_or_b32 exec_lo, exec_lo, s10
	s_delay_alu instid0(VALU_DEP_2) | instskip(NEXT) | instid1(VALU_DEP_2)
	v_lshrrev_b64 v[10:11], 20, v[10:11]
	v_cmp_gt_i32_e64 s10, 16, v14
	v_min_i32_e32 v15, 15, v14
	v_cmp_eq_u32_e64 s11, 0, v14
	s_delay_alu instid0(VALU_DEP_3) | instskip(NEXT) | instid1(VALU_DEP_3)
	v_cndmask_b32_e64 v11, 0, v11, s10
	v_dual_lshlrev_b32 v15, 3, v15 :: v_dual_cndmask_b32 v10, 7, v10, s10
	s_delay_alu instid0(VALU_DEP_1) | instskip(NEXT) | instid1(VALU_DEP_2)
	v_and_b32_e32 v15, 0xf8, v15
	v_cmp_eq_u64_e64 s10, 0, v[10:11]
	s_delay_alu instid0(VALU_DEP_2)
	v_and_or_b32 v10, v10, 7, v15
	s_and_b32 s10, s11, s10
	s_delay_alu instid0(VALU_DEP_1) | instid1(SALU_CYCLE_1)
	v_cndmask_b32_e64 v10, v10, 0, s10
	s_delay_alu instid0(VALU_DEP_1)
	v_or_b32_e32 v14, v10, v59
.LBB4_1589:                             ;   in Loop: Header=BB4_1125 Depth=2
	s_or_b32 exec_lo, exec_lo, s41
                                        ; implicit-def: $vgpr59
.LBB4_1590:                             ;   in Loop: Header=BB4_1125 Depth=2
	s_and_not1_saveexec_b32 s10, s40
; %bb.1591:                             ;   in Loop: Header=BB4_1125 Depth=2
	v_or_b32_e32 v14, 0x7e, v59
; %bb.1592:                             ;   in Loop: Header=BB4_1125 Depth=2
	s_or_b32 exec_lo, exec_lo, s10
                                        ; implicit-def: $vgpr11
.LBB4_1593:                             ;   in Loop: Header=BB4_1125 Depth=2
	s_and_not1_saveexec_b32 s10, s12
; %bb.1594:                             ;   in Loop: Header=BB4_1125 Depth=2
	v_or_b32_e32 v14, 0x7f, v11
; %bb.1595:                             ;   in Loop: Header=BB4_1125 Depth=2
	s_or_b32 exec_lo, exec_lo, s10
	v_mov_b32_e32 v11, 0
	s_mov_b32 s11, exec_lo
	v_cmpx_lt_u64_e64 s[14:15], v[16:17]
	s_cbranch_execz .LBB4_1603
; %bb.1596:                             ;   in Loop: Header=BB4_1125 Depth=2
	v_lshrrev_b32_e32 v10, 24, v17
	v_bfrev_b32_e32 v11, 1
	s_mov_b32 s12, exec_lo
	s_delay_alu instid0(VALU_DEP_2)
	v_cmpx_ne_u32_e32 0x80, v10
	s_cbranch_execz .LBB4_1602
; %bb.1597:                             ;   in Loop: Header=BB4_1125 Depth=2
	v_bfe_u32 v15, v17, 24, 7
	v_mov_b32_e32 v11, 0x7f800001
	s_mov_b32 s40, exec_lo
	s_delay_alu instid0(VALU_DEP_2)
	v_cmpx_ne_u32_e32 0x7f, v15
	s_cbranch_execz .LBB4_1601
; %bb.1598:                             ;   in Loop: Header=BB4_1125 Depth=2
	v_dual_lshrrev_b32 v11, 3, v15 :: v_dual_bitop2_b32 v64, 7, v10 bitop3:0x40
	s_mov_b32 s41, exec_lo
	v_cmpx_gt_u32_e32 8, v15
; %bb.1599:                             ;   in Loop: Header=BB4_1125 Depth=2
	s_delay_alu instid0(VALU_DEP_2) | instskip(NEXT) | instid1(VALU_DEP_1)
	v_clz_i32_u32_e32 v11, v64
	v_min_u32_e32 v11, 32, v11
	s_delay_alu instid0(VALU_DEP_1) | instskip(NEXT) | instid1(VALU_DEP_1)
	v_subrev_nc_u32_e32 v15, 28, v11
	v_lshlrev_b64_e32 v[16:17], v15, v[64:65]
	s_delay_alu instid0(VALU_DEP_1)
	v_dual_sub_nc_u32 v11, 29, v11 :: v_dual_bitop2_b32 v64, 7, v16 bitop3:0x40
; %bb.1600:                             ;   in Loop: Header=BB4_1125 Depth=2
	s_or_b32 exec_lo, exec_lo, s41
	s_delay_alu instid0(VALU_DEP_1) | instskip(NEXT) | instid1(VALU_DEP_2)
	v_dual_lshlrev_b32 v10, 24, v10 :: v_dual_lshlrev_b32 v15, 20, v64
	v_lshl_add_u32 v11, v11, 23, 0x3c000000
	s_delay_alu instid0(VALU_DEP_2) | instskip(NEXT) | instid1(VALU_DEP_1)
	v_and_b32_e32 v10, 0x80000000, v10
	v_or3_b32 v11, v15, v10, v11
.LBB4_1601:                             ;   in Loop: Header=BB4_1125 Depth=2
	s_or_b32 exec_lo, exec_lo, s40
.LBB4_1602:                             ;   in Loop: Header=BB4_1125 Depth=2
	s_delay_alu instid0(SALU_CYCLE_1)
	s_or_b32 exec_lo, exec_lo, s12
.LBB4_1603:                             ;   in Loop: Header=BB4_1125 Depth=2
	s_delay_alu instid0(SALU_CYCLE_1) | instskip(SKIP_3) | instid1(VALU_DEP_3)
	s_or_b32 exec_lo, exec_lo, s11
	v_lshrrev_b32_e32 v10, 24, v13
	v_bfe_u32 v15, v13, 24, 7
	v_cmp_gt_u64_e64 s12, s[16:17], v[12:13]
	v_cmp_eq_u32_e64 s11, 0x80, v10
	s_delay_alu instid0(VALU_DEP_3) | instskip(NEXT) | instid1(VALU_DEP_2)
	v_cmp_eq_u32_e64 s10, 0x7f, v15
	v_cndmask_b32_e64 v16, 0x7f800001, v45, s11
	s_or_b32 s10, s11, s10
	s_delay_alu instid0(SALU_CYCLE_1) | instskip(NEXT) | instid1(VALU_DEP_1)
	s_nor_b32 s10, s12, s10
	v_cndmask_b32_e64 v12, v16, 0, s12
	s_and_saveexec_b32 s11, s10
	s_cbranch_execz .LBB4_1605
; %bb.1604:                             ;   in Loop: Header=BB4_1125 Depth=2
	v_and_b32_e32 v16, 7, v10
	v_cmp_gt_u32_e64 s10, 8, v15
	s_delay_alu instid0(VALU_DEP_2) | instskip(NEXT) | instid1(VALU_DEP_1)
	v_clz_i32_u32_e32 v12, v16
	v_min_u32_e32 v17, 32, v12
	s_delay_alu instid0(VALU_DEP_1) | instskip(NEXT) | instid1(VALU_DEP_1)
	v_subrev_nc_u32_e32 v12, 28, v17
	v_lshlrev_b64_e32 v[12:13], v12, v[10:11]
	v_dual_lshrrev_b32 v13, 3, v15 :: v_dual_sub_nc_u32 v17, 29, v17
	s_delay_alu instid0(VALU_DEP_2) | instskip(NEXT) | instid1(VALU_DEP_1)
	v_dual_lshlrev_b32 v10, 24, v10 :: v_dual_bitop2_b32 v12, 7, v12 bitop3:0x40
	v_dual_cndmask_b32 v13, v13, v17, s10 :: v_dual_cndmask_b32 v12, v16, v12, s10
	s_delay_alu instid0(VALU_DEP_2) | instskip(NEXT) | instid1(VALU_DEP_2)
	v_and_b32_e32 v10, 0x80000000, v10
	v_lshl_add_u32 v13, v13, 23, 0x3c000000
	s_delay_alu instid0(VALU_DEP_3) | instskip(NEXT) | instid1(VALU_DEP_1)
	v_lshlrev_b32_e32 v12, 20, v12
	v_or3_b32 v12, v12, v10, v13
.LBB4_1605:                             ;   in Loop: Header=BB4_1125 Depth=2
	s_or_b32 exec_lo, exec_lo, s11
	s_delay_alu instid0(VALU_DEP_1) | instskip(SKIP_1) | instid1(VALU_DEP_1)
	v_mul_f32_e32 v11, v11, v12
                                        ; implicit-def: $vgpr10
	s_mov_b32 s11, exec_lo
	v_and_b32_e32 v64, 0x7f800000, v11
	v_lshrrev_b32_e32 v12, 24, v11
	s_delay_alu instid0(VALU_DEP_2)
	v_cmpx_ne_u64_e32 0x7f800000, v[64:65]
	s_xor_b32 s12, exec_lo, s11
	s_cbranch_execz .LBB4_1619
; %bb.1606:                             ;   in Loop: Header=BB4_1125 Depth=2
	v_and_b32_e32 v64, 0x7fffffff, v11
	v_and_b32_e32 v15, 0x80, v12
                                        ; implicit-def: $vgpr10
	s_mov_b32 s11, exec_lo
	s_delay_alu instid0(VALU_DEP_2)
	v_cmpx_gt_u64_e32 0x43e00001, v[64:65]
	s_xor_b32 s40, exec_lo, s11
	s_cbranch_execz .LBB4_1616
; %bb.1607:                             ;   in Loop: Header=BB4_1125 Depth=2
	v_mov_b32_e32 v10, 0
	s_mov_b32 s41, exec_lo
	v_cmpx_ne_u32_e32 0, v11
	s_cbranch_execz .LBB4_1615
; %bb.1608:                             ;   in Loop: Header=BB4_1125 Depth=2
	v_bfe_u32 v16, v11, 23, 8
	v_and_b32_e32 v12, 0x7fffff, v11
	s_delay_alu instid0(VALU_DEP_2) | instskip(SKIP_1) | instid1(VALU_DEP_3)
	v_sub_nc_u32_e32 v10, 0x79, v16
	v_cmp_gt_u32_e64 s10, 0x7a, v16
	v_or_b32_e32 v13, 0x800000, v12
	s_delay_alu instid0(VALU_DEP_2) | instskip(SKIP_1) | instid1(VALU_DEP_1)
	v_cndmask_b32_e64 v10, 0, v10, s10
	v_cmp_eq_u32_e64 s10, 0, v16
	v_cndmask_b32_e64 v17, v10, 0x78, s10
	s_delay_alu instid0(VALU_DEP_1) | instskip(SKIP_1) | instid1(VALU_DEP_2)
	v_dual_cndmask_b32 v64, v13, v12, s10 :: v_dual_add_nc_u32 v10, 20, v17
	v_add_nc_u32_e32 v59, 19, v17
	v_lshlrev_b64_e64 v[10:11], v10, -1
	s_delay_alu instid0(VALU_DEP_2) | instskip(NEXT) | instid1(VALU_DEP_2)
	v_lshlrev_b64_e64 v[12:13], v59, 1
	v_bfi_b32 v61, v11, 0, 0
	s_delay_alu instid0(VALU_DEP_3) | instskip(SKIP_1) | instid1(VALU_DEP_2)
	v_bfi_b32 v60, v10, 0, v64
	v_lshrrev_b64 v[10:11], v17, v[64:65]
	v_cmp_eq_u64_e64 s11, v[60:61], v[12:13]
	s_delay_alu instid0(VALU_DEP_2)
	v_mov_b64_e32 v[12:13], v[10:11]
	s_and_saveexec_b32 s42, s11
; %bb.1609:                             ;   in Loop: Header=BB4_1125 Depth=2
	v_bfe_u32 v64, v10, 20, 1
	s_delay_alu instid0(VALU_DEP_1) | instskip(NEXT) | instid1(VALU_DEP_1)
	v_add_nc_u64_e32 v[12:13], v[10:11], v[64:65]
	v_add_nc_u64_e32 v[12:13], -1, v[12:13]
; %bb.1610:                             ;   in Loop: Header=BB4_1125 Depth=2
	s_or_b32 exec_lo, exec_lo, s42
	v_add_nc_u32_e32 v11, 0xffffff81, v16
	v_lshrrev_b32_e32 v13, 23, v10
	s_mov_b32 s11, exec_lo
	s_delay_alu instid0(VALU_DEP_2) | instskip(NEXT) | instid1(VALU_DEP_1)
	v_cndmask_b32_e64 v11, v11, 0xffffff82, s10
	v_add3_u32 v13, v17, v11, v13
	v_and_b32_e32 v11, 0xfffff, v12
                                        ; implicit-def: $vgpr12
	s_delay_alu instid0(VALU_DEP_1) | instskip(NEXT) | instid1(VALU_DEP_1)
	v_dual_add_nc_u32 v16, 6, v13 :: v_dual_add_nc_u32 v64, v11, v10
                                        ; implicit-def: $vgpr10_vgpr11
	v_cmpx_ne_u32_e32 0, v16
	s_xor_b32 s11, exec_lo, s11
; %bb.1611:                             ;   in Loop: Header=BB4_1125 Depth=2
	s_delay_alu instid0(VALU_DEP_2) | instskip(SKIP_1) | instid1(VALU_DEP_1)
	v_cmp_lt_u64_e64 s10, 0xffffff, v[64:65]
	v_add_nc_u32_e32 v10, 7, v13
	v_cndmask_b32_e64 v12, v16, v10, s10
	v_cndmask_b32_e64 v10, 0, 1, s10
	s_delay_alu instid0(VALU_DEP_1)
	v_lshrrev_b64 v[10:11], v10, v[64:65]
; %bb.1612:                             ;   in Loop: Header=BB4_1125 Depth=2
	s_and_not1_saveexec_b32 s10, s11
; %bb.1613:                             ;   in Loop: Header=BB4_1125 Depth=2
	v_mov_b64_e32 v[10:11], v[64:65]
	v_bfe_u32 v12, v64, 23, 1
; %bb.1614:                             ;   in Loop: Header=BB4_1125 Depth=2
	s_or_b32 exec_lo, exec_lo, s10
	s_delay_alu instid0(VALU_DEP_2) | instskip(NEXT) | instid1(VALU_DEP_2)
	v_lshrrev_b64 v[10:11], 20, v[10:11]
	v_cmp_gt_i32_e64 s10, 16, v12
	v_min_i32_e32 v13, 15, v12
	v_cmp_eq_u32_e64 s11, 0, v12
	s_delay_alu instid0(VALU_DEP_2) | instskip(SKIP_1) | instid1(VALU_DEP_2)
	v_dual_cndmask_b32 v11, 0, v11, s10 :: v_dual_lshlrev_b32 v13, 3, v13
	v_cndmask_b32_e64 v10, 7, v10, s10
	v_and_b32_e32 v13, 0xf8, v13
	s_delay_alu instid0(VALU_DEP_2) | instskip(NEXT) | instid1(VALU_DEP_2)
	v_cmp_eq_u64_e64 s10, 0, v[10:11]
	v_and_or_b32 v10, v10, 7, v13
	s_and_b32 s10, s11, s10
	s_delay_alu instid0(VALU_DEP_1) | instid1(SALU_CYCLE_1)
	v_cndmask_b32_e64 v10, v10, 0, s10
	s_delay_alu instid0(VALU_DEP_1)
	v_or_b32_e32 v10, v10, v15
.LBB4_1615:                             ;   in Loop: Header=BB4_1125 Depth=2
	s_or_b32 exec_lo, exec_lo, s41
                                        ; implicit-def: $vgpr15
.LBB4_1616:                             ;   in Loop: Header=BB4_1125 Depth=2
	s_and_not1_saveexec_b32 s10, s40
; %bb.1617:                             ;   in Loop: Header=BB4_1125 Depth=2
	v_or_b32_e32 v10, 0x7e, v15
; %bb.1618:                             ;   in Loop: Header=BB4_1125 Depth=2
	s_or_b32 exec_lo, exec_lo, s10
                                        ; implicit-def: $vgpr12
.LBB4_1619:                             ;   in Loop: Header=BB4_1125 Depth=2
	s_and_not1_saveexec_b32 s10, s12
	s_cbranch_execz .LBB4_1124
; %bb.1620:                             ;   in Loop: Header=BB4_1125 Depth=2
	v_or_b32_e32 v10, 0x7f, v12
	s_branch .LBB4_1124
.LBB4_1621:                             ;   in Loop: Header=BB4_49 Depth=1
	s_or_b32 exec_lo, exec_lo, s29
.LBB4_1622:                             ;   in Loop: Header=BB4_49 Depth=1
	s_delay_alu instid0(SALU_CYCLE_1) | instskip(SKIP_3) | instid1(VALU_DEP_1)
	s_or_b32 exec_lo, exec_lo, s28
	v_dual_mov_b32 v20, 0 :: v_dual_bitop2_b32 v10, 15, v87 bitop3:0x40
	s_mov_b32 s11, 0
	s_mov_b32 s12, exec_lo
                                        ; implicit-def: $vgpr22
	v_cndmask_b32_e32 v21, v115, v10, vcc_lo
                                        ; implicit-def: $vgpr10
	s_delay_alu instid0(VALU_DEP_1)
	v_cmpx_ne_u32_e32 0, v21
	s_cbranch_execz .LBB4_1624
; %bb.1623:                             ;   in Loop: Header=BB4_49 Depth=1
	v_cmp_lt_i32_e64 s10, 0, v114
	v_and_b32_e32 v11, 0x1f0, v87
	s_mov_b32 s11, exec_lo
	s_delay_alu instid0(VALU_DEP_1) | instskip(NEXT) | instid1(VALU_DEP_1)
	v_dual_cndmask_b32 v10, 0, v54, s10 :: v_dual_cndmask_b32 v11, 0, v11, vcc_lo
	v_sub_nc_u32_e32 v10, v10, v114
	s_delay_alu instid0(VALU_DEP_2) | instskip(NEXT) | instid1(VALU_DEP_2)
	v_and_or_b32 v20, 0x3ffffe00, v87, v11
	v_lshl_add_u32 v22, v10, 5, v97
	s_delay_alu instid0(VALU_DEP_1) | instskip(NEXT) | instid1(VALU_DEP_1)
	v_ashrrev_i32_e32 v10, 31, v22
	v_lshrrev_b32_e32 v10, 27, v10
	s_delay_alu instid0(VALU_DEP_1) | instskip(NEXT) | instid1(VALU_DEP_1)
	v_add_nc_u32_e32 v10, v22, v10
	v_ashrrev_i32_e32 v10, 5, v10
.LBB4_1624:                             ;   in Loop: Header=BB4_49 Depth=1
	s_or_b32 exec_lo, exec_lo, s12
	s_delay_alu instid0(SALU_CYCLE_1)
	s_and_b32 s10, s11, exec_lo
.LBB4_1625:                             ;   in Loop: Header=BB4_49 Depth=1
	s_or_b32 exec_lo, exec_lo, s27
	s_and_saveexec_b32 s11, s10
	s_cbranch_execz .LBB4_2246
.LBB4_1626:                             ;   in Loop: Header=BB4_49 Depth=1
	v_lshrrev_b32_e32 v11, 9, v21
	s_mov_b32 s12, exec_lo
	s_delay_alu instid0(VALU_DEP_1) | instskip(SKIP_1) | instid1(VALU_DEP_1)
	v_sub_nc_u32_e32 v23, v11, v10
	v_ashrrev_i32_e32 v11, 31, v22
	v_lshrrev_b32_e32 v24, 27, v11
	s_delay_alu instid0(VALU_DEP_3)
	v_cmpx_lt_i32_e32 0, v23
	s_cbranch_execz .LBB4_2206
; %bb.1627:                             ;   in Loop: Header=BB4_49 Depth=1
	s_delay_alu instid0(VALU_DEP_2)
	v_dual_add_nc_u32 v11, v22, v24 :: v_dual_lshlrev_b32 v10, 9, v10
	s_trap 2
	ds_load_b64 v[12:13], v0
	v_add_nc_u64_e32 v[16:17], 0x1e0, v[100:101]
	v_and_b32_e32 v11, 0xffffffe0, v11
	s_mov_b32 s27, 0
	s_delay_alu instid0(VALU_DEP_1) | instskip(NEXT) | instid1(VALU_DEP_1)
	v_sub_nc_u32_e32 v11, v22, v11
	v_add3_u32 v14, v20, v11, v10
	s_delay_alu instid0(VALU_DEP_1) | instskip(NEXT) | instid1(VALU_DEP_1)
	v_ashrrev_i32_e32 v15, 31, v14
	v_add_nc_u64_e32 v[10:11], v[14:15], v[98:99]
	s_wait_dscnt 0x0
	v_add_nc_u64_e32 v[12:13], v[12:13], v[14:15]
	v_add_nc_u64_e32 v[14:15], v[16:17], v[14:15]
	s_branch .LBB4_1629
.LBB4_1628:                             ;   in Loop: Header=BB4_1629 Depth=2
	s_or_b32 exec_lo, exec_lo, s10
	v_sub_nc_u32_e32 v23, v23, v54
	s_clause 0xf
	flat_store_b8 v[14:15], v97 offset:-480 th:TH_STORE_NT
	flat_store_b8 v[14:15], v100 offset:-448 th:TH_STORE_NT
	;; [unrolled: 1-line block ×15, first 2 shown]
	flat_store_b8 v[14:15], v17 th:TH_STORE_NT
	v_add_nc_u64_e32 v[10:11], v[10:11], v[80:81]
	v_add_nc_u64_e32 v[12:13], v[12:13], v[80:81]
	v_cmp_gt_i32_e32 vcc_lo, 1, v23
	s_wait_xcnt 0x0
	v_add_nc_u64_e32 v[14:15], v[14:15], v[80:81]
	s_or_b32 s27, vcc_lo, s27
	s_delay_alu instid0(SALU_CYCLE_1)
	s_and_not1_b32 exec_lo, exec_lo, s27
	s_cbranch_execz .LBB4_2205
.LBB4_1629:                             ;   Parent Loop BB4_49 Depth=1
                                        ; =>  This Inner Loop Header: Depth=2
	s_clause 0xf
	flat_load_u8 v19, v[10:11] th:TH_LOAD_NT
	flat_load_u8 v76, v[10:11] offset:32 th:TH_LOAD_NT
	flat_load_u8 v75, v[10:11] offset:64 th:TH_LOAD_NT
	;; [unrolled: 1-line block ×15, first 2 shown]
	s_clause 0xf
	flat_load_u8 v16, v[12:13] th:TH_LOAD_NT
	flat_load_u8 v100, v[12:13] offset:32 th:TH_LOAD_NT
	flat_load_u8 v103, v[12:13] offset:64 th:TH_LOAD_NT
	;; [unrolled: 1-line block ×15, first 2 shown]
	v_dual_mov_b32 v17, 0 :: v_dual_mov_b32 v18, 0
	s_mov_b32 s10, exec_lo
	s_wait_loadcnt_dscnt 0x1f1f
	s_wait_xcnt 0x0
	v_cmpx_ne_u16_e32 0, v19
	s_cbranch_execz .LBB4_1637
; %bb.1630:                             ;   in Loop: Header=BB4_1629 Depth=2
	v_bfrev_b32_e32 v18, 1
	s_mov_b32 s28, exec_lo
	v_cmpx_ne_u16_e32 0x80, v19
	s_cbranch_execz .LBB4_1636
; %bb.1631:                             ;   in Loop: Header=BB4_1629 Depth=2
	v_and_b32_e32 v64, 0xffff, v19
	v_mov_b32_e32 v18, 0x7f800001
	s_mov_b32 s29, exec_lo
	s_delay_alu instid0(VALU_DEP_2) | instskip(NEXT) | instid1(VALU_DEP_1)
	v_and_b32_e32 v97, 0x7f, v64
	v_cmpx_ne_u32_e32 0x7f, v97
	s_cbranch_execz .LBB4_1635
; %bb.1632:                             ;   in Loop: Header=BB4_1629 Depth=2
	v_dual_lshrrev_b32 v18, 3, v97 :: v_dual_bitop2_b32 v64, 7, v64 bitop3:0x40
	s_mov_b32 s40, exec_lo
	v_cmpx_gt_u32_e32 8, v97
; %bb.1633:                             ;   in Loop: Header=BB4_1629 Depth=2
	s_delay_alu instid0(VALU_DEP_2) | instskip(NEXT) | instid1(VALU_DEP_1)
	v_clz_i32_u32_e32 v18, v64
	v_min_u32_e32 v18, 32, v18
	s_delay_alu instid0(VALU_DEP_1) | instskip(SKIP_1) | instid1(VALU_DEP_2)
	v_subrev_nc_u32_e32 v97, 28, v18
	v_sub_nc_u32_e32 v18, 29, v18
	v_lshlrev_b64_e32 v[78:79], v97, v[64:65]
	s_delay_alu instid0(VALU_DEP_1)
	v_and_b32_e32 v64, 7, v78
; %bb.1634:                             ;   in Loop: Header=BB4_1629 Depth=2
	s_or_b32 exec_lo, exec_lo, s40
	s_delay_alu instid0(VALU_DEP_1) | instskip(SKIP_1) | instid1(VALU_DEP_2)
	v_dual_lshlrev_b32 v19, 24, v19 :: v_dual_lshlrev_b32 v64, 20, v64
	v_lshl_add_u32 v18, v18, 23, 0x3c000000
	v_and_b32_e32 v19, 0x80000000, v19
	s_delay_alu instid0(VALU_DEP_1)
	v_or3_b32 v18, v64, v19, v18
.LBB4_1635:                             ;   in Loop: Header=BB4_1629 Depth=2
	s_or_b32 exec_lo, exec_lo, s29
.LBB4_1636:                             ;   in Loop: Header=BB4_1629 Depth=2
	s_delay_alu instid0(SALU_CYCLE_1)
	s_or_b32 exec_lo, exec_lo, s28
.LBB4_1637:                             ;   in Loop: Header=BB4_1629 Depth=2
	s_delay_alu instid0(SALU_CYCLE_1) | instskip(SKIP_3) | instid1(VALU_DEP_1)
	s_or_b32 exec_lo, exec_lo, s10
	s_wait_loadcnt_dscnt 0xf0f
	v_and_b32_e32 v19, 0xff, v16
	s_mov_b32 s10, exec_lo
	v_cmpx_ne_u16_e32 0, v19
	s_cbranch_execz .LBB4_1645
; %bb.1638:                             ;   in Loop: Header=BB4_1629 Depth=2
	v_bfrev_b32_e32 v17, 1
	s_mov_b32 s28, exec_lo
	v_cmpx_ne_u16_e32 0x80, v19
	s_cbranch_execz .LBB4_1644
; %bb.1639:                             ;   in Loop: Header=BB4_1629 Depth=2
	v_and_b32_e32 v97, 0x7f, v16
	v_mov_b32_e32 v17, 0x7f800001
	s_mov_b32 s29, exec_lo
	s_delay_alu instid0(VALU_DEP_2)
	v_cmpx_ne_u32_e32 0x7f, v97
	s_cbranch_execz .LBB4_1643
; %bb.1640:                             ;   in Loop: Header=BB4_1629 Depth=2
	v_dual_lshrrev_b32 v17, 3, v97 :: v_dual_bitop2_b32 v64, 7, v19 bitop3:0x40
	s_mov_b32 s40, exec_lo
	v_cmpx_gt_u32_e32 8, v97
; %bb.1641:                             ;   in Loop: Header=BB4_1629 Depth=2
	s_delay_alu instid0(VALU_DEP_2) | instskip(NEXT) | instid1(VALU_DEP_1)
	v_clz_i32_u32_e32 v17, v64
	v_min_u32_e32 v17, 32, v17
	s_delay_alu instid0(VALU_DEP_1) | instskip(NEXT) | instid1(VALU_DEP_1)
	v_subrev_nc_u32_e32 v19, 28, v17
	v_lshlrev_b64_e32 v[78:79], v19, v[64:65]
	s_delay_alu instid0(VALU_DEP_1)
	v_dual_sub_nc_u32 v17, 29, v17 :: v_dual_bitop2_b32 v64, 7, v78 bitop3:0x40
; %bb.1642:                             ;   in Loop: Header=BB4_1629 Depth=2
	s_or_b32 exec_lo, exec_lo, s40
	v_lshlrev_b32_e32 v16, 24, v16
	s_delay_alu instid0(VALU_DEP_2) | instskip(NEXT) | instid1(VALU_DEP_3)
	v_lshlrev_b32_e32 v19, 20, v64
	v_lshl_add_u32 v17, v17, 23, 0x3c000000
	s_delay_alu instid0(VALU_DEP_3) | instskip(NEXT) | instid1(VALU_DEP_1)
	v_and_b32_e32 v16, 0x80000000, v16
	v_or3_b32 v17, v19, v16, v17
.LBB4_1643:                             ;   in Loop: Header=BB4_1629 Depth=2
	s_or_b32 exec_lo, exec_lo, s29
.LBB4_1644:                             ;   in Loop: Header=BB4_1629 Depth=2
	s_delay_alu instid0(SALU_CYCLE_1)
	s_or_b32 exec_lo, exec_lo, s28
.LBB4_1645:                             ;   in Loop: Header=BB4_1629 Depth=2
	s_delay_alu instid0(SALU_CYCLE_1) | instskip(NEXT) | instid1(VALU_DEP_1)
	s_or_b32 exec_lo, exec_lo, s10
	v_mul_f32_e32 v16, v18, v17
                                        ; implicit-def: $vgpr97
	s_mov_b32 s10, exec_lo
	s_delay_alu instid0(VALU_DEP_1) | instskip(SKIP_1) | instid1(VALU_DEP_2)
	v_and_b32_e32 v64, 0x7f800000, v16
	v_lshrrev_b32_e32 v17, 24, v16
	v_cmpx_ne_u64_e32 0x7f800000, v[64:65]
	s_xor_b32 s28, exec_lo, s10
	s_cbranch_execz .LBB4_1663
; %bb.1646:                             ;   in Loop: Header=BB4_1629 Depth=2
	v_and_b32_e32 v64, 0x7fffffff, v16
	v_and_b32_e32 v77, 0x80, v17
                                        ; implicit-def: $vgpr97
	s_mov_b32 s10, exec_lo
	s_delay_alu instid0(VALU_DEP_2)
	v_cmpx_gt_u64_e32 0x43e00001, v[64:65]
	s_xor_b32 s29, exec_lo, s10
	s_cbranch_execz .LBB4_1660
; %bb.1647:                             ;   in Loop: Header=BB4_1629 Depth=2
	v_mov_b32_e32 v97, 0
	s_mov_b32 s40, exec_lo
	v_cmpx_ne_u32_e32 0, v16
	s_cbranch_execz .LBB4_1659
; %bb.1648:                             ;   in Loop: Header=BB4_1629 Depth=2
	v_bfe_u32 v97, v16, 23, 8
	v_and_b32_e32 v18, 0x7fffff, v16
	s_delay_alu instid0(VALU_DEP_2) | instskip(NEXT) | instid1(VALU_DEP_2)
	v_cmp_gt_u32_e32 vcc_lo, 0x7a, v97
	v_or_b32_e32 v19, 0x800000, v18
	v_sub_nc_u32_e32 v17, 0x79, v97
	s_delay_alu instid0(VALU_DEP_1) | instskip(SKIP_1) | instid1(VALU_DEP_2)
	v_cndmask_b32_e32 v17, 0, v17, vcc_lo
	v_cmp_eq_u32_e32 vcc_lo, 0, v97
	v_cndmask_b32_e64 v78, v17, 0x78, vcc_lo
	v_cndmask_b32_e32 v64, v19, v18, vcc_lo
	s_delay_alu instid0(VALU_DEP_2) | instskip(NEXT) | instid1(VALU_DEP_1)
	v_dual_add_nc_u32 v16, 20, v78 :: v_dual_add_nc_u32 v79, 19, v78
	v_lshlrev_b64_e64 v[16:17], v16, -1
	s_delay_alu instid0(VALU_DEP_2) | instskip(NEXT) | instid1(VALU_DEP_2)
	v_lshlrev_b64_e64 v[18:19], v79, 1
	v_bfi_b32 v89, v17, 0, 0
	s_delay_alu instid0(VALU_DEP_3) | instskip(SKIP_1) | instid1(VALU_DEP_2)
	v_bfi_b32 v88, v16, 0, v64
	v_lshrrev_b64 v[16:17], v78, v[64:65]
	v_cmp_eq_u64_e64 s10, v[88:89], v[18:19]
	s_delay_alu instid0(VALU_DEP_2)
	v_mov_b64_e32 v[18:19], v[16:17]
	s_and_saveexec_b32 s41, s10
; %bb.1649:                             ;   in Loop: Header=BB4_1629 Depth=2
	v_bfe_u32 v64, v16, 20, 1
	s_delay_alu instid0(VALU_DEP_1) | instskip(NEXT) | instid1(VALU_DEP_1)
	v_add_nc_u64_e32 v[18:19], v[16:17], v[64:65]
	v_add_nc_u64_e32 v[18:19], -1, v[18:19]
; %bb.1650:                             ;   in Loop: Header=BB4_1629 Depth=2
	s_or_b32 exec_lo, exec_lo, s41
	v_add_nc_u32_e32 v17, 0xffffff81, v97
	v_lshrrev_b32_e32 v19, 23, v16
	s_mov_b32 s10, exec_lo
	s_delay_alu instid0(VALU_DEP_2) | instskip(NEXT) | instid1(VALU_DEP_1)
	v_cndmask_b32_e64 v17, v17, 0xffffff82, vcc_lo
	v_add3_u32 v19, v78, v17, v19
	v_and_b32_e32 v17, 0xfffff, v18
                                        ; implicit-def: $vgpr18
	s_delay_alu instid0(VALU_DEP_1) | instskip(NEXT) | instid1(VALU_DEP_1)
	v_dual_add_nc_u32 v97, 6, v19 :: v_dual_add_nc_u32 v64, v17, v16
                                        ; implicit-def: $vgpr16_vgpr17
	v_cmpx_ne_u32_e32 0, v97
	s_xor_b32 s10, exec_lo, s10
; %bb.1651:                             ;   in Loop: Header=BB4_1629 Depth=2
	s_delay_alu instid0(VALU_DEP_2) | instskip(SKIP_1) | instid1(VALU_DEP_1)
	v_cmp_lt_u64_e32 vcc_lo, 0xffffff, v[64:65]
	v_add_nc_u32_e32 v16, 7, v19
	v_cndmask_b32_e32 v18, v97, v16, vcc_lo
	v_cndmask_b32_e64 v16, 0, 1, vcc_lo
	s_delay_alu instid0(VALU_DEP_1)
	v_lshrrev_b64 v[16:17], v16, v[64:65]
; %bb.1652:                             ;   in Loop: Header=BB4_1629 Depth=2
	s_and_not1_saveexec_b32 s10, s10
; %bb.1653:                             ;   in Loop: Header=BB4_1629 Depth=2
	v_mov_b64_e32 v[16:17], v[64:65]
	v_bfe_u32 v18, v64, 23, 1
; %bb.1654:                             ;   in Loop: Header=BB4_1629 Depth=2
	s_or_b32 exec_lo, exec_lo, s10
	s_delay_alu instid0(VALU_DEP_2) | instskip(NEXT) | instid1(VALU_DEP_2)
	v_lshrrev_b64 v[16:17], 20, v[16:17]
	v_cmp_gt_i32_e32 vcc_lo, 16, v18
	v_cmp_ne_u32_e64 s10, 0, v18
                                        ; implicit-def: $vgpr97
	s_delay_alu instid0(VALU_DEP_3) | instskip(NEXT) | instid1(VALU_DEP_1)
	v_dual_cndmask_b32 v17, 0, v17 :: v_dual_cndmask_b32 v16, 7, v16
	v_cmp_ne_u64_e32 vcc_lo, 0, v[16:17]
	s_or_b32 s10, s10, vcc_lo
	s_delay_alu instid0(SALU_CYCLE_1) | instskip(NEXT) | instid1(SALU_CYCLE_1)
	s_and_saveexec_b32 s41, s10
	s_xor_b32 s10, exec_lo, s41
; %bb.1655:                             ;   in Loop: Header=BB4_1629 Depth=2
	v_min_i32_e32 v17, 15, v18
	s_delay_alu instid0(VALU_DEP_1) | instskip(NEXT) | instid1(VALU_DEP_1)
	v_lshl_or_b32 v17, v17, 3, v77
                                        ; implicit-def: $vgpr77
	v_and_or_b32 v97, v16, 7, v17
; %bb.1656:                             ;   in Loop: Header=BB4_1629 Depth=2
	s_and_not1_saveexec_b32 s10, s10
; %bb.1657:                             ;   in Loop: Header=BB4_1629 Depth=2
	v_mov_b32_e32 v97, v77
; %bb.1658:                             ;   in Loop: Header=BB4_1629 Depth=2
	s_or_b32 exec_lo, exec_lo, s10
.LBB4_1659:                             ;   in Loop: Header=BB4_1629 Depth=2
	s_delay_alu instid0(SALU_CYCLE_1)
	s_or_b32 exec_lo, exec_lo, s40
                                        ; implicit-def: $vgpr77
.LBB4_1660:                             ;   in Loop: Header=BB4_1629 Depth=2
	s_and_not1_saveexec_b32 s10, s29
; %bb.1661:                             ;   in Loop: Header=BB4_1629 Depth=2
	v_or_b32_e32 v97, 0x7e, v77
; %bb.1662:                             ;   in Loop: Header=BB4_1629 Depth=2
	s_or_b32 exec_lo, exec_lo, s10
                                        ; implicit-def: $vgpr17
.LBB4_1663:                             ;   in Loop: Header=BB4_1629 Depth=2
	s_and_not1_saveexec_b32 s10, s28
; %bb.1664:                             ;   in Loop: Header=BB4_1629 Depth=2
	v_or_b32_e32 v97, 0x7f, v17
; %bb.1665:                             ;   in Loop: Header=BB4_1629 Depth=2
	s_or_b32 exec_lo, exec_lo, s10
	v_and_b32_e32 v18, 0xff, v76
	v_dual_mov_b32 v16, 0 :: v_dual_mov_b32 v17, 0
	s_mov_b32 s10, exec_lo
	s_delay_alu instid0(VALU_DEP_2)
	v_cmpx_ne_u16_e32 0, v18
	s_cbranch_execz .LBB4_1673
; %bb.1666:                             ;   in Loop: Header=BB4_1629 Depth=2
	v_bfrev_b32_e32 v17, 1
	s_mov_b32 s28, exec_lo
	v_cmpx_ne_u16_e32 0x80, v18
	s_cbranch_execz .LBB4_1672
; %bb.1667:                             ;   in Loop: Header=BB4_1629 Depth=2
	v_and_b32_e32 v19, 0x7f, v76
	v_mov_b32_e32 v17, 0x7f800001
	s_mov_b32 s29, exec_lo
	s_delay_alu instid0(VALU_DEP_2)
	v_cmpx_ne_u32_e32 0x7f, v19
	s_cbranch_execz .LBB4_1671
; %bb.1668:                             ;   in Loop: Header=BB4_1629 Depth=2
	v_dual_lshrrev_b32 v17, 3, v19 :: v_dual_bitop2_b32 v64, 7, v18 bitop3:0x40
	s_mov_b32 s40, exec_lo
	v_cmpx_gt_u32_e32 8, v19
; %bb.1669:                             ;   in Loop: Header=BB4_1629 Depth=2
	s_delay_alu instid0(VALU_DEP_2) | instskip(NEXT) | instid1(VALU_DEP_1)
	v_clz_i32_u32_e32 v17, v64
	v_min_u32_e32 v17, 32, v17
	s_delay_alu instid0(VALU_DEP_1) | instskip(NEXT) | instid1(VALU_DEP_1)
	v_subrev_nc_u32_e32 v18, 28, v17
	v_lshlrev_b64_e32 v[18:19], v18, v[64:65]
	s_delay_alu instid0(VALU_DEP_1)
	v_dual_sub_nc_u32 v17, 29, v17 :: v_dual_bitop2_b32 v64, 7, v18 bitop3:0x40
; %bb.1670:                             ;   in Loop: Header=BB4_1629 Depth=2
	s_or_b32 exec_lo, exec_lo, s40
	v_lshlrev_b32_e32 v18, 24, v76
	s_delay_alu instid0(VALU_DEP_2) | instskip(NEXT) | instid1(VALU_DEP_3)
	v_lshlrev_b32_e32 v19, 20, v64
	v_lshl_add_u32 v17, v17, 23, 0x3c000000
	s_delay_alu instid0(VALU_DEP_3) | instskip(NEXT) | instid1(VALU_DEP_1)
	v_and_b32_e32 v18, 0x80000000, v18
	v_or3_b32 v17, v19, v18, v17
.LBB4_1671:                             ;   in Loop: Header=BB4_1629 Depth=2
	s_or_b32 exec_lo, exec_lo, s29
.LBB4_1672:                             ;   in Loop: Header=BB4_1629 Depth=2
	s_delay_alu instid0(SALU_CYCLE_1)
	s_or_b32 exec_lo, exec_lo, s28
.LBB4_1673:                             ;   in Loop: Header=BB4_1629 Depth=2
	s_delay_alu instid0(SALU_CYCLE_1) | instskip(SKIP_3) | instid1(VALU_DEP_1)
	s_or_b32 exec_lo, exec_lo, s10
	s_wait_loadcnt_dscnt 0xe0e
	v_and_b32_e32 v18, 0xff, v100
	s_mov_b32 s10, exec_lo
	v_cmpx_ne_u16_e32 0, v18
	s_cbranch_execz .LBB4_1681
; %bb.1674:                             ;   in Loop: Header=BB4_1629 Depth=2
	v_bfrev_b32_e32 v16, 1
	s_mov_b32 s28, exec_lo
	v_cmpx_ne_u16_e32 0x80, v18
	s_cbranch_execz .LBB4_1680
; %bb.1675:                             ;   in Loop: Header=BB4_1629 Depth=2
	v_and_b32_e32 v19, 0x7f, v100
	v_mov_b32_e32 v16, 0x7f800001
	s_mov_b32 s29, exec_lo
	s_delay_alu instid0(VALU_DEP_2)
	v_cmpx_ne_u32_e32 0x7f, v19
	s_cbranch_execz .LBB4_1679
; %bb.1676:                             ;   in Loop: Header=BB4_1629 Depth=2
	v_dual_lshrrev_b32 v16, 3, v19 :: v_dual_bitop2_b32 v64, 7, v18 bitop3:0x40
	s_mov_b32 s40, exec_lo
	v_cmpx_gt_u32_e32 8, v19
; %bb.1677:                             ;   in Loop: Header=BB4_1629 Depth=2
	s_delay_alu instid0(VALU_DEP_2) | instskip(NEXT) | instid1(VALU_DEP_1)
	v_clz_i32_u32_e32 v16, v64
	v_min_u32_e32 v16, 32, v16
	s_delay_alu instid0(VALU_DEP_1) | instskip(NEXT) | instid1(VALU_DEP_1)
	v_subrev_nc_u32_e32 v18, 28, v16
	v_lshlrev_b64_e32 v[18:19], v18, v[64:65]
	s_delay_alu instid0(VALU_DEP_1)
	v_dual_sub_nc_u32 v16, 29, v16 :: v_dual_bitop2_b32 v64, 7, v18 bitop3:0x40
; %bb.1678:                             ;   in Loop: Header=BB4_1629 Depth=2
	s_or_b32 exec_lo, exec_lo, s40
	v_lshlrev_b32_e32 v18, 24, v100
	s_delay_alu instid0(VALU_DEP_2) | instskip(NEXT) | instid1(VALU_DEP_3)
	v_lshlrev_b32_e32 v19, 20, v64
	v_lshl_add_u32 v16, v16, 23, 0x3c000000
	s_delay_alu instid0(VALU_DEP_3) | instskip(NEXT) | instid1(VALU_DEP_1)
	v_and_b32_e32 v18, 0x80000000, v18
	v_or3_b32 v16, v19, v18, v16
.LBB4_1679:                             ;   in Loop: Header=BB4_1629 Depth=2
	s_or_b32 exec_lo, exec_lo, s29
.LBB4_1680:                             ;   in Loop: Header=BB4_1629 Depth=2
	s_delay_alu instid0(SALU_CYCLE_1)
	s_or_b32 exec_lo, exec_lo, s28
.LBB4_1681:                             ;   in Loop: Header=BB4_1629 Depth=2
	s_delay_alu instid0(SALU_CYCLE_1) | instskip(NEXT) | instid1(VALU_DEP_1)
	s_or_b32 exec_lo, exec_lo, s10
	v_mul_f32_e32 v16, v17, v16
                                        ; implicit-def: $vgpr100
	s_mov_b32 s10, exec_lo
	s_delay_alu instid0(VALU_DEP_1) | instskip(SKIP_1) | instid1(VALU_DEP_2)
	v_and_b32_e32 v64, 0x7f800000, v16
	v_lshrrev_b32_e32 v17, 24, v16
	v_cmpx_ne_u64_e32 0x7f800000, v[64:65]
	s_xor_b32 s28, exec_lo, s10
	s_cbranch_execz .LBB4_1699
; %bb.1682:                             ;   in Loop: Header=BB4_1629 Depth=2
	v_and_b32_e32 v64, 0x7fffffff, v16
	v_and_b32_e32 v76, 0x80, v17
                                        ; implicit-def: $vgpr100
	s_mov_b32 s10, exec_lo
	s_delay_alu instid0(VALU_DEP_2)
	v_cmpx_gt_u64_e32 0x43e00001, v[64:65]
	s_xor_b32 s29, exec_lo, s10
	s_cbranch_execz .LBB4_1696
; %bb.1683:                             ;   in Loop: Header=BB4_1629 Depth=2
	v_mov_b32_e32 v100, 0
	s_mov_b32 s40, exec_lo
	v_cmpx_ne_u32_e32 0, v16
	s_cbranch_execz .LBB4_1695
; %bb.1684:                             ;   in Loop: Header=BB4_1629 Depth=2
	v_bfe_u32 v100, v16, 23, 8
	v_and_b32_e32 v18, 0x7fffff, v16
	s_delay_alu instid0(VALU_DEP_2) | instskip(NEXT) | instid1(VALU_DEP_2)
	v_cmp_gt_u32_e32 vcc_lo, 0x7a, v100
	v_or_b32_e32 v19, 0x800000, v18
	v_sub_nc_u32_e32 v17, 0x79, v100
	s_delay_alu instid0(VALU_DEP_1) | instskip(SKIP_1) | instid1(VALU_DEP_2)
	v_cndmask_b32_e32 v17, 0, v17, vcc_lo
	v_cmp_eq_u32_e32 vcc_lo, 0, v100
	v_cndmask_b32_e64 v77, v17, 0x78, vcc_lo
	s_delay_alu instid0(VALU_DEP_1) | instskip(SKIP_1) | instid1(VALU_DEP_2)
	v_dual_cndmask_b32 v64, v19, v18, vcc_lo :: v_dual_add_nc_u32 v16, 20, v77
	v_add_nc_u32_e32 v78, 19, v77
	v_lshlrev_b64_e64 v[16:17], v16, -1
	s_delay_alu instid0(VALU_DEP_2) | instskip(NEXT) | instid1(VALU_DEP_2)
	v_lshlrev_b64_e64 v[18:19], v78, 1
	v_bfi_b32 v79, v17, 0, 0
	s_delay_alu instid0(VALU_DEP_3) | instskip(SKIP_1) | instid1(VALU_DEP_2)
	v_bfi_b32 v78, v16, 0, v64
	v_lshrrev_b64 v[16:17], v77, v[64:65]
	v_cmp_eq_u64_e64 s10, v[78:79], v[18:19]
	s_delay_alu instid0(VALU_DEP_2)
	v_mov_b64_e32 v[18:19], v[16:17]
	s_and_saveexec_b32 s41, s10
; %bb.1685:                             ;   in Loop: Header=BB4_1629 Depth=2
	v_bfe_u32 v64, v16, 20, 1
	s_delay_alu instid0(VALU_DEP_1) | instskip(NEXT) | instid1(VALU_DEP_1)
	v_add_nc_u64_e32 v[18:19], v[16:17], v[64:65]
	v_add_nc_u64_e32 v[18:19], -1, v[18:19]
; %bb.1686:                             ;   in Loop: Header=BB4_1629 Depth=2
	s_or_b32 exec_lo, exec_lo, s41
	v_add_nc_u32_e32 v17, 0xffffff81, v100
	v_lshrrev_b32_e32 v19, 23, v16
	s_mov_b32 s10, exec_lo
	s_delay_alu instid0(VALU_DEP_2) | instskip(NEXT) | instid1(VALU_DEP_1)
	v_cndmask_b32_e64 v17, v17, 0xffffff82, vcc_lo
	v_add3_u32 v19, v77, v17, v19
	v_and_b32_e32 v17, 0xfffff, v18
                                        ; implicit-def: $vgpr18
	s_delay_alu instid0(VALU_DEP_1) | instskip(NEXT) | instid1(VALU_DEP_1)
	v_dual_add_nc_u32 v100, 6, v19 :: v_dual_add_nc_u32 v64, v17, v16
                                        ; implicit-def: $vgpr16_vgpr17
	v_cmpx_ne_u32_e32 0, v100
	s_xor_b32 s10, exec_lo, s10
; %bb.1687:                             ;   in Loop: Header=BB4_1629 Depth=2
	s_delay_alu instid0(VALU_DEP_2) | instskip(SKIP_1) | instid1(VALU_DEP_1)
	v_cmp_lt_u64_e32 vcc_lo, 0xffffff, v[64:65]
	v_add_nc_u32_e32 v16, 7, v19
	v_cndmask_b32_e32 v18, v100, v16, vcc_lo
	v_cndmask_b32_e64 v16, 0, 1, vcc_lo
	s_delay_alu instid0(VALU_DEP_1)
	v_lshrrev_b64 v[16:17], v16, v[64:65]
; %bb.1688:                             ;   in Loop: Header=BB4_1629 Depth=2
	s_and_not1_saveexec_b32 s10, s10
; %bb.1689:                             ;   in Loop: Header=BB4_1629 Depth=2
	v_mov_b64_e32 v[16:17], v[64:65]
	v_bfe_u32 v18, v64, 23, 1
; %bb.1690:                             ;   in Loop: Header=BB4_1629 Depth=2
	s_or_b32 exec_lo, exec_lo, s10
	s_delay_alu instid0(VALU_DEP_2) | instskip(NEXT) | instid1(VALU_DEP_2)
	v_lshrrev_b64 v[16:17], 20, v[16:17]
	v_cmp_gt_i32_e32 vcc_lo, 16, v18
	v_cmp_ne_u32_e64 s10, 0, v18
                                        ; implicit-def: $vgpr100
	s_delay_alu instid0(VALU_DEP_3) | instskip(NEXT) | instid1(VALU_DEP_1)
	v_dual_cndmask_b32 v17, 0, v17 :: v_dual_cndmask_b32 v16, 7, v16
	v_cmp_ne_u64_e32 vcc_lo, 0, v[16:17]
	s_or_b32 s10, s10, vcc_lo
	s_delay_alu instid0(SALU_CYCLE_1) | instskip(NEXT) | instid1(SALU_CYCLE_1)
	s_and_saveexec_b32 s41, s10
	s_xor_b32 s10, exec_lo, s41
; %bb.1691:                             ;   in Loop: Header=BB4_1629 Depth=2
	v_min_i32_e32 v17, 15, v18
	s_delay_alu instid0(VALU_DEP_1) | instskip(NEXT) | instid1(VALU_DEP_1)
	v_lshl_or_b32 v17, v17, 3, v76
                                        ; implicit-def: $vgpr76
	v_and_or_b32 v100, v16, 7, v17
; %bb.1692:                             ;   in Loop: Header=BB4_1629 Depth=2
	s_and_not1_saveexec_b32 s10, s10
; %bb.1693:                             ;   in Loop: Header=BB4_1629 Depth=2
	v_mov_b32_e32 v100, v76
; %bb.1694:                             ;   in Loop: Header=BB4_1629 Depth=2
	s_or_b32 exec_lo, exec_lo, s10
.LBB4_1695:                             ;   in Loop: Header=BB4_1629 Depth=2
	s_delay_alu instid0(SALU_CYCLE_1)
	s_or_b32 exec_lo, exec_lo, s40
                                        ; implicit-def: $vgpr76
.LBB4_1696:                             ;   in Loop: Header=BB4_1629 Depth=2
	s_and_not1_saveexec_b32 s10, s29
; %bb.1697:                             ;   in Loop: Header=BB4_1629 Depth=2
	v_or_b32_e32 v100, 0x7e, v76
; %bb.1698:                             ;   in Loop: Header=BB4_1629 Depth=2
	s_or_b32 exec_lo, exec_lo, s10
                                        ; implicit-def: $vgpr17
.LBB4_1699:                             ;   in Loop: Header=BB4_1629 Depth=2
	s_and_not1_saveexec_b32 s10, s28
; %bb.1700:                             ;   in Loop: Header=BB4_1629 Depth=2
	v_or_b32_e32 v100, 0x7f, v17
; %bb.1701:                             ;   in Loop: Header=BB4_1629 Depth=2
	s_or_b32 exec_lo, exec_lo, s10
	v_and_b32_e32 v18, 0xff, v75
	v_dual_mov_b32 v16, 0 :: v_dual_mov_b32 v17, 0
	s_mov_b32 s10, exec_lo
	s_delay_alu instid0(VALU_DEP_2)
	v_cmpx_ne_u16_e32 0, v18
	s_cbranch_execz .LBB4_1709
; %bb.1702:                             ;   in Loop: Header=BB4_1629 Depth=2
	v_bfrev_b32_e32 v17, 1
	s_mov_b32 s28, exec_lo
	v_cmpx_ne_u16_e32 0x80, v18
	s_cbranch_execz .LBB4_1708
; %bb.1703:                             ;   in Loop: Header=BB4_1629 Depth=2
	v_and_b32_e32 v19, 0x7f, v75
	v_mov_b32_e32 v17, 0x7f800001
	s_mov_b32 s29, exec_lo
	s_delay_alu instid0(VALU_DEP_2)
	v_cmpx_ne_u32_e32 0x7f, v19
	s_cbranch_execz .LBB4_1707
; %bb.1704:                             ;   in Loop: Header=BB4_1629 Depth=2
	v_dual_lshrrev_b32 v17, 3, v19 :: v_dual_bitop2_b32 v64, 7, v18 bitop3:0x40
	s_mov_b32 s40, exec_lo
	v_cmpx_gt_u32_e32 8, v19
; %bb.1705:                             ;   in Loop: Header=BB4_1629 Depth=2
	s_delay_alu instid0(VALU_DEP_2) | instskip(NEXT) | instid1(VALU_DEP_1)
	v_clz_i32_u32_e32 v17, v64
	v_min_u32_e32 v17, 32, v17
	s_delay_alu instid0(VALU_DEP_1) | instskip(NEXT) | instid1(VALU_DEP_1)
	v_subrev_nc_u32_e32 v18, 28, v17
	v_lshlrev_b64_e32 v[18:19], v18, v[64:65]
	s_delay_alu instid0(VALU_DEP_1)
	v_dual_sub_nc_u32 v17, 29, v17 :: v_dual_bitop2_b32 v64, 7, v18 bitop3:0x40
; %bb.1706:                             ;   in Loop: Header=BB4_1629 Depth=2
	s_or_b32 exec_lo, exec_lo, s40
	s_delay_alu instid0(VALU_DEP_1) | instskip(NEXT) | instid1(VALU_DEP_2)
	v_dual_lshlrev_b32 v18, 24, v75 :: v_dual_lshlrev_b32 v19, 20, v64
	v_lshl_add_u32 v17, v17, 23, 0x3c000000
	s_delay_alu instid0(VALU_DEP_2) | instskip(NEXT) | instid1(VALU_DEP_1)
	v_and_b32_e32 v18, 0x80000000, v18
	v_or3_b32 v17, v19, v18, v17
.LBB4_1707:                             ;   in Loop: Header=BB4_1629 Depth=2
	s_or_b32 exec_lo, exec_lo, s29
.LBB4_1708:                             ;   in Loop: Header=BB4_1629 Depth=2
	s_delay_alu instid0(SALU_CYCLE_1)
	s_or_b32 exec_lo, exec_lo, s28
.LBB4_1709:                             ;   in Loop: Header=BB4_1629 Depth=2
	s_delay_alu instid0(SALU_CYCLE_1) | instskip(SKIP_3) | instid1(VALU_DEP_1)
	s_or_b32 exec_lo, exec_lo, s10
	s_wait_loadcnt_dscnt 0xd0d
	v_and_b32_e32 v18, 0xff, v103
	s_mov_b32 s10, exec_lo
	v_cmpx_ne_u16_e32 0, v18
	s_cbranch_execz .LBB4_1717
; %bb.1710:                             ;   in Loop: Header=BB4_1629 Depth=2
	v_bfrev_b32_e32 v16, 1
	s_mov_b32 s28, exec_lo
	v_cmpx_ne_u16_e32 0x80, v18
	s_cbranch_execz .LBB4_1716
; %bb.1711:                             ;   in Loop: Header=BB4_1629 Depth=2
	v_and_b32_e32 v19, 0x7f, v103
	v_mov_b32_e32 v16, 0x7f800001
	s_mov_b32 s29, exec_lo
	s_delay_alu instid0(VALU_DEP_2)
	v_cmpx_ne_u32_e32 0x7f, v19
	s_cbranch_execz .LBB4_1715
; %bb.1712:                             ;   in Loop: Header=BB4_1629 Depth=2
	v_dual_lshrrev_b32 v16, 3, v19 :: v_dual_bitop2_b32 v64, 7, v18 bitop3:0x40
	s_mov_b32 s40, exec_lo
	v_cmpx_gt_u32_e32 8, v19
; %bb.1713:                             ;   in Loop: Header=BB4_1629 Depth=2
	s_delay_alu instid0(VALU_DEP_2) | instskip(NEXT) | instid1(VALU_DEP_1)
	v_clz_i32_u32_e32 v16, v64
	v_min_u32_e32 v16, 32, v16
	s_delay_alu instid0(VALU_DEP_1) | instskip(NEXT) | instid1(VALU_DEP_1)
	v_subrev_nc_u32_e32 v18, 28, v16
	v_lshlrev_b64_e32 v[18:19], v18, v[64:65]
	s_delay_alu instid0(VALU_DEP_1)
	v_dual_sub_nc_u32 v16, 29, v16 :: v_dual_bitop2_b32 v64, 7, v18 bitop3:0x40
; %bb.1714:                             ;   in Loop: Header=BB4_1629 Depth=2
	s_or_b32 exec_lo, exec_lo, s40
	s_delay_alu instid0(VALU_DEP_1) | instskip(NEXT) | instid1(VALU_DEP_2)
	v_dual_lshlrev_b32 v18, 24, v103 :: v_dual_lshlrev_b32 v19, 20, v64
	v_lshl_add_u32 v16, v16, 23, 0x3c000000
	s_delay_alu instid0(VALU_DEP_2) | instskip(NEXT) | instid1(VALU_DEP_1)
	v_and_b32_e32 v18, 0x80000000, v18
	v_or3_b32 v16, v19, v18, v16
.LBB4_1715:                             ;   in Loop: Header=BB4_1629 Depth=2
	s_or_b32 exec_lo, exec_lo, s29
.LBB4_1716:                             ;   in Loop: Header=BB4_1629 Depth=2
	s_delay_alu instid0(SALU_CYCLE_1)
	s_or_b32 exec_lo, exec_lo, s28
.LBB4_1717:                             ;   in Loop: Header=BB4_1629 Depth=2
	s_delay_alu instid0(SALU_CYCLE_1) | instskip(NEXT) | instid1(VALU_DEP_1)
	s_or_b32 exec_lo, exec_lo, s10
	v_mul_f32_e32 v16, v17, v16
                                        ; implicit-def: $vgpr103
	s_mov_b32 s10, exec_lo
	s_delay_alu instid0(VALU_DEP_1) | instskip(SKIP_1) | instid1(VALU_DEP_2)
	v_and_b32_e32 v64, 0x7f800000, v16
	v_lshrrev_b32_e32 v17, 24, v16
	v_cmpx_ne_u64_e32 0x7f800000, v[64:65]
	s_xor_b32 s28, exec_lo, s10
	s_cbranch_execz .LBB4_1735
; %bb.1718:                             ;   in Loop: Header=BB4_1629 Depth=2
	v_and_b32_e32 v64, 0x7fffffff, v16
	v_and_b32_e32 v75, 0x80, v17
                                        ; implicit-def: $vgpr103
	s_mov_b32 s10, exec_lo
	s_delay_alu instid0(VALU_DEP_2)
	v_cmpx_gt_u64_e32 0x43e00001, v[64:65]
	s_xor_b32 s29, exec_lo, s10
	s_cbranch_execz .LBB4_1732
; %bb.1719:                             ;   in Loop: Header=BB4_1629 Depth=2
	v_mov_b32_e32 v103, 0
	s_mov_b32 s40, exec_lo
	v_cmpx_ne_u32_e32 0, v16
	s_cbranch_execz .LBB4_1731
; %bb.1720:                             ;   in Loop: Header=BB4_1629 Depth=2
	v_bfe_u32 v103, v16, 23, 8
	v_and_b32_e32 v18, 0x7fffff, v16
	s_delay_alu instid0(VALU_DEP_2) | instskip(NEXT) | instid1(VALU_DEP_2)
	v_cmp_gt_u32_e32 vcc_lo, 0x7a, v103
	v_or_b32_e32 v19, 0x800000, v18
	v_sub_nc_u32_e32 v17, 0x79, v103
	s_delay_alu instid0(VALU_DEP_1) | instskip(SKIP_1) | instid1(VALU_DEP_2)
	v_cndmask_b32_e32 v17, 0, v17, vcc_lo
	v_cmp_eq_u32_e32 vcc_lo, 0, v103
	v_cndmask_b32_e64 v76, v17, 0x78, vcc_lo
	s_delay_alu instid0(VALU_DEP_1) | instskip(SKIP_1) | instid1(VALU_DEP_2)
	v_dual_cndmask_b32 v64, v19, v18, vcc_lo :: v_dual_add_nc_u32 v16, 20, v76
	v_add_nc_u32_e32 v77, 19, v76
	v_lshlrev_b64_e64 v[16:17], v16, -1
	s_delay_alu instid0(VALU_DEP_2) | instskip(NEXT) | instid1(VALU_DEP_2)
	v_lshlrev_b64_e64 v[18:19], v77, 1
	v_bfi_b32 v79, v17, 0, 0
	s_delay_alu instid0(VALU_DEP_3) | instskip(SKIP_1) | instid1(VALU_DEP_2)
	v_bfi_b32 v78, v16, 0, v64
	v_lshrrev_b64 v[16:17], v76, v[64:65]
	v_cmp_eq_u64_e64 s10, v[78:79], v[18:19]
	s_delay_alu instid0(VALU_DEP_2)
	v_mov_b64_e32 v[18:19], v[16:17]
	s_and_saveexec_b32 s41, s10
; %bb.1721:                             ;   in Loop: Header=BB4_1629 Depth=2
	v_bfe_u32 v64, v16, 20, 1
	s_delay_alu instid0(VALU_DEP_1) | instskip(NEXT) | instid1(VALU_DEP_1)
	v_add_nc_u64_e32 v[18:19], v[16:17], v[64:65]
	v_add_nc_u64_e32 v[18:19], -1, v[18:19]
; %bb.1722:                             ;   in Loop: Header=BB4_1629 Depth=2
	s_or_b32 exec_lo, exec_lo, s41
	v_add_nc_u32_e32 v17, 0xffffff81, v103
	v_lshrrev_b32_e32 v19, 23, v16
	s_mov_b32 s10, exec_lo
	s_delay_alu instid0(VALU_DEP_2) | instskip(NEXT) | instid1(VALU_DEP_1)
	v_cndmask_b32_e64 v17, v17, 0xffffff82, vcc_lo
	v_add3_u32 v19, v76, v17, v19
	v_and_b32_e32 v17, 0xfffff, v18
                                        ; implicit-def: $vgpr18
	s_delay_alu instid0(VALU_DEP_1) | instskip(NEXT) | instid1(VALU_DEP_1)
	v_dual_add_nc_u32 v103, 6, v19 :: v_dual_add_nc_u32 v64, v17, v16
                                        ; implicit-def: $vgpr16_vgpr17
	v_cmpx_ne_u32_e32 0, v103
	s_xor_b32 s10, exec_lo, s10
; %bb.1723:                             ;   in Loop: Header=BB4_1629 Depth=2
	s_delay_alu instid0(VALU_DEP_2) | instskip(SKIP_1) | instid1(VALU_DEP_1)
	v_cmp_lt_u64_e32 vcc_lo, 0xffffff, v[64:65]
	v_add_nc_u32_e32 v16, 7, v19
	v_cndmask_b32_e32 v18, v103, v16, vcc_lo
	v_cndmask_b32_e64 v16, 0, 1, vcc_lo
	s_delay_alu instid0(VALU_DEP_1)
	v_lshrrev_b64 v[16:17], v16, v[64:65]
; %bb.1724:                             ;   in Loop: Header=BB4_1629 Depth=2
	s_and_not1_saveexec_b32 s10, s10
; %bb.1725:                             ;   in Loop: Header=BB4_1629 Depth=2
	v_mov_b64_e32 v[16:17], v[64:65]
	v_bfe_u32 v18, v64, 23, 1
; %bb.1726:                             ;   in Loop: Header=BB4_1629 Depth=2
	s_or_b32 exec_lo, exec_lo, s10
	s_delay_alu instid0(VALU_DEP_2) | instskip(NEXT) | instid1(VALU_DEP_2)
	v_lshrrev_b64 v[16:17], 20, v[16:17]
	v_cmp_gt_i32_e32 vcc_lo, 16, v18
	v_cmp_ne_u32_e64 s10, 0, v18
                                        ; implicit-def: $vgpr103
	s_delay_alu instid0(VALU_DEP_3) | instskip(NEXT) | instid1(VALU_DEP_1)
	v_dual_cndmask_b32 v17, 0, v17 :: v_dual_cndmask_b32 v16, 7, v16
	v_cmp_ne_u64_e32 vcc_lo, 0, v[16:17]
	s_or_b32 s10, s10, vcc_lo
	s_delay_alu instid0(SALU_CYCLE_1) | instskip(NEXT) | instid1(SALU_CYCLE_1)
	s_and_saveexec_b32 s41, s10
	s_xor_b32 s10, exec_lo, s41
; %bb.1727:                             ;   in Loop: Header=BB4_1629 Depth=2
	v_min_i32_e32 v17, 15, v18
	s_delay_alu instid0(VALU_DEP_1) | instskip(NEXT) | instid1(VALU_DEP_1)
	v_lshl_or_b32 v17, v17, 3, v75
                                        ; implicit-def: $vgpr75
	v_and_or_b32 v103, v16, 7, v17
; %bb.1728:                             ;   in Loop: Header=BB4_1629 Depth=2
	s_and_not1_saveexec_b32 s10, s10
; %bb.1729:                             ;   in Loop: Header=BB4_1629 Depth=2
	v_mov_b32_e32 v103, v75
; %bb.1730:                             ;   in Loop: Header=BB4_1629 Depth=2
	s_or_b32 exec_lo, exec_lo, s10
.LBB4_1731:                             ;   in Loop: Header=BB4_1629 Depth=2
	s_delay_alu instid0(SALU_CYCLE_1)
	s_or_b32 exec_lo, exec_lo, s40
                                        ; implicit-def: $vgpr75
.LBB4_1732:                             ;   in Loop: Header=BB4_1629 Depth=2
	s_and_not1_saveexec_b32 s10, s29
; %bb.1733:                             ;   in Loop: Header=BB4_1629 Depth=2
	v_or_b32_e32 v103, 0x7e, v75
; %bb.1734:                             ;   in Loop: Header=BB4_1629 Depth=2
	s_or_b32 exec_lo, exec_lo, s10
                                        ; implicit-def: $vgpr17
.LBB4_1735:                             ;   in Loop: Header=BB4_1629 Depth=2
	s_and_not1_saveexec_b32 s10, s28
; %bb.1736:                             ;   in Loop: Header=BB4_1629 Depth=2
	v_or_b32_e32 v103, 0x7f, v17
; %bb.1737:                             ;   in Loop: Header=BB4_1629 Depth=2
	s_or_b32 exec_lo, exec_lo, s10
	v_and_b32_e32 v18, 0xff, v74
	v_dual_mov_b32 v16, 0 :: v_dual_mov_b32 v17, 0
	s_mov_b32 s10, exec_lo
	s_delay_alu instid0(VALU_DEP_2)
	v_cmpx_ne_u16_e32 0, v18
	s_cbranch_execz .LBB4_1745
; %bb.1738:                             ;   in Loop: Header=BB4_1629 Depth=2
	v_bfrev_b32_e32 v17, 1
	s_mov_b32 s28, exec_lo
	v_cmpx_ne_u16_e32 0x80, v18
	s_cbranch_execz .LBB4_1744
; %bb.1739:                             ;   in Loop: Header=BB4_1629 Depth=2
	v_and_b32_e32 v19, 0x7f, v74
	v_mov_b32_e32 v17, 0x7f800001
	s_mov_b32 s29, exec_lo
	s_delay_alu instid0(VALU_DEP_2)
	v_cmpx_ne_u32_e32 0x7f, v19
	s_cbranch_execz .LBB4_1743
; %bb.1740:                             ;   in Loop: Header=BB4_1629 Depth=2
	v_dual_lshrrev_b32 v17, 3, v19 :: v_dual_bitop2_b32 v64, 7, v18 bitop3:0x40
	s_mov_b32 s40, exec_lo
	v_cmpx_gt_u32_e32 8, v19
; %bb.1741:                             ;   in Loop: Header=BB4_1629 Depth=2
	s_delay_alu instid0(VALU_DEP_2) | instskip(NEXT) | instid1(VALU_DEP_1)
	v_clz_i32_u32_e32 v17, v64
	v_min_u32_e32 v17, 32, v17
	s_delay_alu instid0(VALU_DEP_1) | instskip(NEXT) | instid1(VALU_DEP_1)
	v_subrev_nc_u32_e32 v18, 28, v17
	v_lshlrev_b64_e32 v[18:19], v18, v[64:65]
	s_delay_alu instid0(VALU_DEP_1)
	v_dual_sub_nc_u32 v17, 29, v17 :: v_dual_bitop2_b32 v64, 7, v18 bitop3:0x40
; %bb.1742:                             ;   in Loop: Header=BB4_1629 Depth=2
	s_or_b32 exec_lo, exec_lo, s40
	s_delay_alu instid0(VALU_DEP_1) | instskip(NEXT) | instid1(VALU_DEP_2)
	v_dual_lshlrev_b32 v18, 24, v74 :: v_dual_lshlrev_b32 v19, 20, v64
	v_lshl_add_u32 v17, v17, 23, 0x3c000000
	s_delay_alu instid0(VALU_DEP_2) | instskip(NEXT) | instid1(VALU_DEP_1)
	v_and_b32_e32 v18, 0x80000000, v18
	v_or3_b32 v17, v19, v18, v17
.LBB4_1743:                             ;   in Loop: Header=BB4_1629 Depth=2
	s_or_b32 exec_lo, exec_lo, s29
.LBB4_1744:                             ;   in Loop: Header=BB4_1629 Depth=2
	s_delay_alu instid0(SALU_CYCLE_1)
	s_or_b32 exec_lo, exec_lo, s28
.LBB4_1745:                             ;   in Loop: Header=BB4_1629 Depth=2
	s_delay_alu instid0(SALU_CYCLE_1) | instskip(SKIP_3) | instid1(VALU_DEP_1)
	s_or_b32 exec_lo, exec_lo, s10
	s_wait_loadcnt_dscnt 0xc0c
	v_and_b32_e32 v18, 0xff, v114
	s_mov_b32 s10, exec_lo
	v_cmpx_ne_u16_e32 0, v18
	s_cbranch_execz .LBB4_1753
; %bb.1746:                             ;   in Loop: Header=BB4_1629 Depth=2
	v_bfrev_b32_e32 v16, 1
	s_mov_b32 s28, exec_lo
	v_cmpx_ne_u16_e32 0x80, v18
	s_cbranch_execz .LBB4_1752
; %bb.1747:                             ;   in Loop: Header=BB4_1629 Depth=2
	v_and_b32_e32 v19, 0x7f, v114
	v_mov_b32_e32 v16, 0x7f800001
	s_mov_b32 s29, exec_lo
	s_delay_alu instid0(VALU_DEP_2)
	v_cmpx_ne_u32_e32 0x7f, v19
	s_cbranch_execz .LBB4_1751
; %bb.1748:                             ;   in Loop: Header=BB4_1629 Depth=2
	v_dual_lshrrev_b32 v16, 3, v19 :: v_dual_bitop2_b32 v64, 7, v18 bitop3:0x40
	s_mov_b32 s40, exec_lo
	v_cmpx_gt_u32_e32 8, v19
; %bb.1749:                             ;   in Loop: Header=BB4_1629 Depth=2
	s_delay_alu instid0(VALU_DEP_2) | instskip(NEXT) | instid1(VALU_DEP_1)
	v_clz_i32_u32_e32 v16, v64
	v_min_u32_e32 v16, 32, v16
	s_delay_alu instid0(VALU_DEP_1) | instskip(NEXT) | instid1(VALU_DEP_1)
	v_subrev_nc_u32_e32 v18, 28, v16
	v_lshlrev_b64_e32 v[18:19], v18, v[64:65]
	s_delay_alu instid0(VALU_DEP_1)
	v_dual_sub_nc_u32 v16, 29, v16 :: v_dual_bitop2_b32 v64, 7, v18 bitop3:0x40
; %bb.1750:                             ;   in Loop: Header=BB4_1629 Depth=2
	s_or_b32 exec_lo, exec_lo, s40
	s_delay_alu instid0(VALU_DEP_1) | instskip(NEXT) | instid1(VALU_DEP_2)
	v_dual_lshlrev_b32 v18, 24, v114 :: v_dual_lshlrev_b32 v19, 20, v64
	v_lshl_add_u32 v16, v16, 23, 0x3c000000
	s_delay_alu instid0(VALU_DEP_2) | instskip(NEXT) | instid1(VALU_DEP_1)
	v_and_b32_e32 v18, 0x80000000, v18
	v_or3_b32 v16, v19, v18, v16
.LBB4_1751:                             ;   in Loop: Header=BB4_1629 Depth=2
	s_or_b32 exec_lo, exec_lo, s29
.LBB4_1752:                             ;   in Loop: Header=BB4_1629 Depth=2
	s_delay_alu instid0(SALU_CYCLE_1)
	s_or_b32 exec_lo, exec_lo, s28
.LBB4_1753:                             ;   in Loop: Header=BB4_1629 Depth=2
	s_delay_alu instid0(SALU_CYCLE_1) | instskip(NEXT) | instid1(VALU_DEP_1)
	s_or_b32 exec_lo, exec_lo, s10
	v_mul_f32_e32 v16, v17, v16
                                        ; implicit-def: $vgpr114
	s_mov_b32 s10, exec_lo
	s_delay_alu instid0(VALU_DEP_1) | instskip(SKIP_1) | instid1(VALU_DEP_2)
	v_and_b32_e32 v64, 0x7f800000, v16
	v_lshrrev_b32_e32 v17, 24, v16
	v_cmpx_ne_u64_e32 0x7f800000, v[64:65]
	s_xor_b32 s28, exec_lo, s10
	s_cbranch_execz .LBB4_1771
; %bb.1754:                             ;   in Loop: Header=BB4_1629 Depth=2
	v_and_b32_e32 v64, 0x7fffffff, v16
	v_and_b32_e32 v74, 0x80, v17
                                        ; implicit-def: $vgpr114
	s_mov_b32 s10, exec_lo
	s_delay_alu instid0(VALU_DEP_2)
	v_cmpx_gt_u64_e32 0x43e00001, v[64:65]
	s_xor_b32 s29, exec_lo, s10
	s_cbranch_execz .LBB4_1768
; %bb.1755:                             ;   in Loop: Header=BB4_1629 Depth=2
	v_mov_b32_e32 v114, 0
	s_mov_b32 s40, exec_lo
	v_cmpx_ne_u32_e32 0, v16
	s_cbranch_execz .LBB4_1767
; %bb.1756:                             ;   in Loop: Header=BB4_1629 Depth=2
	v_bfe_u32 v114, v16, 23, 8
	v_and_b32_e32 v18, 0x7fffff, v16
	s_delay_alu instid0(VALU_DEP_2) | instskip(SKIP_1) | instid1(VALU_DEP_3)
	v_sub_nc_u32_e32 v17, 0x79, v114
	v_cmp_gt_u32_e32 vcc_lo, 0x7a, v114
	v_or_b32_e32 v19, 0x800000, v18
	s_delay_alu instid0(VALU_DEP_3) | instskip(SKIP_1) | instid1(VALU_DEP_2)
	v_cndmask_b32_e32 v17, 0, v17, vcc_lo
	v_cmp_eq_u32_e32 vcc_lo, 0, v114
	v_cndmask_b32_e64 v75, v17, 0x78, vcc_lo
	s_delay_alu instid0(VALU_DEP_1) | instskip(SKIP_1) | instid1(VALU_DEP_2)
	v_dual_cndmask_b32 v64, v19, v18, vcc_lo :: v_dual_add_nc_u32 v76, 19, v75
	v_add_nc_u32_e32 v16, 20, v75
	v_lshlrev_b64_e64 v[18:19], v76, 1
	s_delay_alu instid0(VALU_DEP_2) | instskip(NEXT) | instid1(VALU_DEP_1)
	v_lshlrev_b64_e64 v[16:17], v16, -1
	v_bfi_b32 v77, v17, 0, 0
	s_delay_alu instid0(VALU_DEP_2) | instskip(SKIP_1) | instid1(VALU_DEP_2)
	v_bfi_b32 v76, v16, 0, v64
	v_lshrrev_b64 v[16:17], v75, v[64:65]
	v_cmp_eq_u64_e64 s10, v[76:77], v[18:19]
	s_delay_alu instid0(VALU_DEP_2)
	v_mov_b64_e32 v[18:19], v[16:17]
	s_and_saveexec_b32 s41, s10
; %bb.1757:                             ;   in Loop: Header=BB4_1629 Depth=2
	v_bfe_u32 v64, v16, 20, 1
	s_delay_alu instid0(VALU_DEP_1) | instskip(NEXT) | instid1(VALU_DEP_1)
	v_add_nc_u64_e32 v[18:19], v[16:17], v[64:65]
	v_add_nc_u64_e32 v[18:19], -1, v[18:19]
; %bb.1758:                             ;   in Loop: Header=BB4_1629 Depth=2
	s_or_b32 exec_lo, exec_lo, s41
	v_add_nc_u32_e32 v17, 0xffffff81, v114
	v_lshrrev_b32_e32 v19, 23, v16
	s_mov_b32 s10, exec_lo
	s_delay_alu instid0(VALU_DEP_2) | instskip(NEXT) | instid1(VALU_DEP_1)
	v_cndmask_b32_e64 v17, v17, 0xffffff82, vcc_lo
	v_add3_u32 v19, v75, v17, v19
	v_and_b32_e32 v17, 0xfffff, v18
                                        ; implicit-def: $vgpr18
	s_delay_alu instid0(VALU_DEP_1) | instskip(NEXT) | instid1(VALU_DEP_1)
	v_dual_add_nc_u32 v114, 6, v19 :: v_dual_add_nc_u32 v64, v17, v16
                                        ; implicit-def: $vgpr16_vgpr17
	v_cmpx_ne_u32_e32 0, v114
	s_xor_b32 s10, exec_lo, s10
; %bb.1759:                             ;   in Loop: Header=BB4_1629 Depth=2
	s_delay_alu instid0(VALU_DEP_2) | instskip(SKIP_1) | instid1(VALU_DEP_1)
	v_cmp_lt_u64_e32 vcc_lo, 0xffffff, v[64:65]
	v_add_nc_u32_e32 v16, 7, v19
	v_cndmask_b32_e32 v18, v114, v16, vcc_lo
	v_cndmask_b32_e64 v16, 0, 1, vcc_lo
	s_delay_alu instid0(VALU_DEP_1)
	v_lshrrev_b64 v[16:17], v16, v[64:65]
; %bb.1760:                             ;   in Loop: Header=BB4_1629 Depth=2
	s_and_not1_saveexec_b32 s10, s10
; %bb.1761:                             ;   in Loop: Header=BB4_1629 Depth=2
	v_mov_b64_e32 v[16:17], v[64:65]
	v_bfe_u32 v18, v64, 23, 1
; %bb.1762:                             ;   in Loop: Header=BB4_1629 Depth=2
	s_or_b32 exec_lo, exec_lo, s10
	s_delay_alu instid0(VALU_DEP_2) | instskip(NEXT) | instid1(VALU_DEP_2)
	v_lshrrev_b64 v[16:17], 20, v[16:17]
	v_cmp_gt_i32_e32 vcc_lo, 16, v18
	v_cmp_ne_u32_e64 s10, 0, v18
                                        ; implicit-def: $vgpr114
	s_delay_alu instid0(VALU_DEP_3) | instskip(NEXT) | instid1(VALU_DEP_1)
	v_dual_cndmask_b32 v17, 0, v17 :: v_dual_cndmask_b32 v16, 7, v16
	v_cmp_ne_u64_e32 vcc_lo, 0, v[16:17]
	s_or_b32 s10, s10, vcc_lo
	s_delay_alu instid0(SALU_CYCLE_1) | instskip(NEXT) | instid1(SALU_CYCLE_1)
	s_and_saveexec_b32 s41, s10
	s_xor_b32 s10, exec_lo, s41
; %bb.1763:                             ;   in Loop: Header=BB4_1629 Depth=2
	v_min_i32_e32 v17, 15, v18
	s_delay_alu instid0(VALU_DEP_1) | instskip(NEXT) | instid1(VALU_DEP_1)
	v_lshl_or_b32 v17, v17, 3, v74
                                        ; implicit-def: $vgpr74
	v_and_or_b32 v114, v16, 7, v17
; %bb.1764:                             ;   in Loop: Header=BB4_1629 Depth=2
	s_and_not1_saveexec_b32 s10, s10
; %bb.1765:                             ;   in Loop: Header=BB4_1629 Depth=2
	v_mov_b32_e32 v114, v74
; %bb.1766:                             ;   in Loop: Header=BB4_1629 Depth=2
	s_or_b32 exec_lo, exec_lo, s10
.LBB4_1767:                             ;   in Loop: Header=BB4_1629 Depth=2
	s_delay_alu instid0(SALU_CYCLE_1)
	s_or_b32 exec_lo, exec_lo, s40
                                        ; implicit-def: $vgpr74
.LBB4_1768:                             ;   in Loop: Header=BB4_1629 Depth=2
	s_and_not1_saveexec_b32 s10, s29
; %bb.1769:                             ;   in Loop: Header=BB4_1629 Depth=2
	v_or_b32_e32 v114, 0x7e, v74
; %bb.1770:                             ;   in Loop: Header=BB4_1629 Depth=2
	s_or_b32 exec_lo, exec_lo, s10
                                        ; implicit-def: $vgpr17
.LBB4_1771:                             ;   in Loop: Header=BB4_1629 Depth=2
	s_and_not1_saveexec_b32 s10, s28
; %bb.1772:                             ;   in Loop: Header=BB4_1629 Depth=2
	v_or_b32_e32 v114, 0x7f, v17
; %bb.1773:                             ;   in Loop: Header=BB4_1629 Depth=2
	s_or_b32 exec_lo, exec_lo, s10
	v_and_b32_e32 v18, 0xff, v73
	v_dual_mov_b32 v16, 0 :: v_dual_mov_b32 v17, 0
	s_mov_b32 s10, exec_lo
	s_delay_alu instid0(VALU_DEP_2)
	v_cmpx_ne_u16_e32 0, v18
	s_cbranch_execz .LBB4_1781
; %bb.1774:                             ;   in Loop: Header=BB4_1629 Depth=2
	v_bfrev_b32_e32 v17, 1
	s_mov_b32 s28, exec_lo
	v_cmpx_ne_u16_e32 0x80, v18
	s_cbranch_execz .LBB4_1780
; %bb.1775:                             ;   in Loop: Header=BB4_1629 Depth=2
	v_and_b32_e32 v19, 0x7f, v73
	v_mov_b32_e32 v17, 0x7f800001
	s_mov_b32 s29, exec_lo
	s_delay_alu instid0(VALU_DEP_2)
	v_cmpx_ne_u32_e32 0x7f, v19
	s_cbranch_execz .LBB4_1779
; %bb.1776:                             ;   in Loop: Header=BB4_1629 Depth=2
	v_dual_lshrrev_b32 v17, 3, v19 :: v_dual_bitop2_b32 v64, 7, v18 bitop3:0x40
	s_mov_b32 s40, exec_lo
	v_cmpx_gt_u32_e32 8, v19
; %bb.1777:                             ;   in Loop: Header=BB4_1629 Depth=2
	s_delay_alu instid0(VALU_DEP_2) | instskip(NEXT) | instid1(VALU_DEP_1)
	v_clz_i32_u32_e32 v17, v64
	v_min_u32_e32 v17, 32, v17
	s_delay_alu instid0(VALU_DEP_1) | instskip(NEXT) | instid1(VALU_DEP_1)
	v_subrev_nc_u32_e32 v18, 28, v17
	v_lshlrev_b64_e32 v[18:19], v18, v[64:65]
	s_delay_alu instid0(VALU_DEP_1)
	v_dual_sub_nc_u32 v17, 29, v17 :: v_dual_bitop2_b32 v64, 7, v18 bitop3:0x40
; %bb.1778:                             ;   in Loop: Header=BB4_1629 Depth=2
	s_or_b32 exec_lo, exec_lo, s40
	s_delay_alu instid0(VALU_DEP_1) | instskip(NEXT) | instid1(VALU_DEP_2)
	v_dual_lshlrev_b32 v18, 24, v73 :: v_dual_lshlrev_b32 v19, 20, v64
	v_lshl_add_u32 v17, v17, 23, 0x3c000000
	s_delay_alu instid0(VALU_DEP_2) | instskip(NEXT) | instid1(VALU_DEP_1)
	v_and_b32_e32 v18, 0x80000000, v18
	v_or3_b32 v17, v19, v18, v17
.LBB4_1779:                             ;   in Loop: Header=BB4_1629 Depth=2
	s_or_b32 exec_lo, exec_lo, s29
.LBB4_1780:                             ;   in Loop: Header=BB4_1629 Depth=2
	s_delay_alu instid0(SALU_CYCLE_1)
	s_or_b32 exec_lo, exec_lo, s28
.LBB4_1781:                             ;   in Loop: Header=BB4_1629 Depth=2
	s_delay_alu instid0(SALU_CYCLE_1) | instskip(SKIP_3) | instid1(VALU_DEP_1)
	s_or_b32 exec_lo, exec_lo, s10
	s_wait_loadcnt_dscnt 0xb0b
	v_and_b32_e32 v18, 0xff, v117
	s_mov_b32 s10, exec_lo
	v_cmpx_ne_u16_e32 0, v18
	s_cbranch_execz .LBB4_1789
; %bb.1782:                             ;   in Loop: Header=BB4_1629 Depth=2
	v_bfrev_b32_e32 v16, 1
	s_mov_b32 s28, exec_lo
	v_cmpx_ne_u16_e32 0x80, v18
	s_cbranch_execz .LBB4_1788
; %bb.1783:                             ;   in Loop: Header=BB4_1629 Depth=2
	v_and_b32_e32 v19, 0x7f, v117
	v_mov_b32_e32 v16, 0x7f800001
	s_mov_b32 s29, exec_lo
	s_delay_alu instid0(VALU_DEP_2)
	v_cmpx_ne_u32_e32 0x7f, v19
	s_cbranch_execz .LBB4_1787
; %bb.1784:                             ;   in Loop: Header=BB4_1629 Depth=2
	v_dual_lshrrev_b32 v16, 3, v19 :: v_dual_bitop2_b32 v64, 7, v18 bitop3:0x40
	s_mov_b32 s40, exec_lo
	v_cmpx_gt_u32_e32 8, v19
; %bb.1785:                             ;   in Loop: Header=BB4_1629 Depth=2
	s_delay_alu instid0(VALU_DEP_2) | instskip(NEXT) | instid1(VALU_DEP_1)
	v_clz_i32_u32_e32 v16, v64
	v_min_u32_e32 v16, 32, v16
	s_delay_alu instid0(VALU_DEP_1) | instskip(NEXT) | instid1(VALU_DEP_1)
	v_subrev_nc_u32_e32 v18, 28, v16
	v_lshlrev_b64_e32 v[18:19], v18, v[64:65]
	s_delay_alu instid0(VALU_DEP_1)
	v_dual_sub_nc_u32 v16, 29, v16 :: v_dual_bitop2_b32 v64, 7, v18 bitop3:0x40
; %bb.1786:                             ;   in Loop: Header=BB4_1629 Depth=2
	s_or_b32 exec_lo, exec_lo, s40
	s_delay_alu instid0(VALU_DEP_1) | instskip(NEXT) | instid1(VALU_DEP_2)
	v_dual_lshlrev_b32 v18, 24, v117 :: v_dual_lshlrev_b32 v19, 20, v64
	v_lshl_add_u32 v16, v16, 23, 0x3c000000
	s_delay_alu instid0(VALU_DEP_2) | instskip(NEXT) | instid1(VALU_DEP_1)
	v_and_b32_e32 v18, 0x80000000, v18
	v_or3_b32 v16, v19, v18, v16
.LBB4_1787:                             ;   in Loop: Header=BB4_1629 Depth=2
	s_or_b32 exec_lo, exec_lo, s29
.LBB4_1788:                             ;   in Loop: Header=BB4_1629 Depth=2
	s_delay_alu instid0(SALU_CYCLE_1)
	s_or_b32 exec_lo, exec_lo, s28
.LBB4_1789:                             ;   in Loop: Header=BB4_1629 Depth=2
	s_delay_alu instid0(SALU_CYCLE_1) | instskip(NEXT) | instid1(VALU_DEP_1)
	s_or_b32 exec_lo, exec_lo, s10
	v_mul_f32_e32 v16, v17, v16
                                        ; implicit-def: $vgpr117
	s_mov_b32 s10, exec_lo
	s_delay_alu instid0(VALU_DEP_1) | instskip(SKIP_1) | instid1(VALU_DEP_2)
	v_and_b32_e32 v64, 0x7f800000, v16
	v_lshrrev_b32_e32 v17, 24, v16
	v_cmpx_ne_u64_e32 0x7f800000, v[64:65]
	s_xor_b32 s28, exec_lo, s10
	s_cbranch_execz .LBB4_1807
; %bb.1790:                             ;   in Loop: Header=BB4_1629 Depth=2
	v_and_b32_e32 v64, 0x7fffffff, v16
	v_and_b32_e32 v73, 0x80, v17
                                        ; implicit-def: $vgpr117
	s_mov_b32 s10, exec_lo
	s_delay_alu instid0(VALU_DEP_2)
	v_cmpx_gt_u64_e32 0x43e00001, v[64:65]
	s_xor_b32 s29, exec_lo, s10
	s_cbranch_execz .LBB4_1804
; %bb.1791:                             ;   in Loop: Header=BB4_1629 Depth=2
	v_mov_b32_e32 v117, 0
	s_mov_b32 s40, exec_lo
	v_cmpx_ne_u32_e32 0, v16
	s_cbranch_execz .LBB4_1803
; %bb.1792:                             ;   in Loop: Header=BB4_1629 Depth=2
	v_bfe_u32 v117, v16, 23, 8
	v_and_b32_e32 v18, 0x7fffff, v16
	s_delay_alu instid0(VALU_DEP_2) | instskip(NEXT) | instid1(VALU_DEP_2)
	v_cmp_gt_u32_e32 vcc_lo, 0x7a, v117
	v_or_b32_e32 v19, 0x800000, v18
	v_sub_nc_u32_e32 v17, 0x79, v117
	s_delay_alu instid0(VALU_DEP_1) | instskip(SKIP_1) | instid1(VALU_DEP_2)
	v_cndmask_b32_e32 v17, 0, v17, vcc_lo
	v_cmp_eq_u32_e32 vcc_lo, 0, v117
	v_cndmask_b32_e64 v74, v17, 0x78, vcc_lo
	v_cndmask_b32_e32 v64, v19, v18, vcc_lo
	s_delay_alu instid0(VALU_DEP_2) | instskip(NEXT) | instid1(VALU_DEP_1)
	v_dual_add_nc_u32 v16, 20, v74 :: v_dual_add_nc_u32 v75, 19, v74
	v_lshlrev_b64_e64 v[16:17], v16, -1
	s_delay_alu instid0(VALU_DEP_2) | instskip(NEXT) | instid1(VALU_DEP_2)
	v_lshlrev_b64_e64 v[18:19], v75, 1
	v_bfi_b32 v77, v17, 0, 0
	s_delay_alu instid0(VALU_DEP_3) | instskip(SKIP_1) | instid1(VALU_DEP_2)
	v_bfi_b32 v76, v16, 0, v64
	v_lshrrev_b64 v[16:17], v74, v[64:65]
	v_cmp_eq_u64_e64 s10, v[76:77], v[18:19]
	s_delay_alu instid0(VALU_DEP_2)
	v_mov_b64_e32 v[18:19], v[16:17]
	s_and_saveexec_b32 s41, s10
; %bb.1793:                             ;   in Loop: Header=BB4_1629 Depth=2
	v_bfe_u32 v64, v16, 20, 1
	s_delay_alu instid0(VALU_DEP_1) | instskip(NEXT) | instid1(VALU_DEP_1)
	v_add_nc_u64_e32 v[18:19], v[16:17], v[64:65]
	v_add_nc_u64_e32 v[18:19], -1, v[18:19]
; %bb.1794:                             ;   in Loop: Header=BB4_1629 Depth=2
	s_or_b32 exec_lo, exec_lo, s41
	v_add_nc_u32_e32 v17, 0xffffff81, v117
	v_lshrrev_b32_e32 v19, 23, v16
	s_mov_b32 s10, exec_lo
	s_delay_alu instid0(VALU_DEP_2) | instskip(NEXT) | instid1(VALU_DEP_1)
	v_cndmask_b32_e64 v17, v17, 0xffffff82, vcc_lo
	v_add3_u32 v19, v74, v17, v19
	v_and_b32_e32 v17, 0xfffff, v18
                                        ; implicit-def: $vgpr18
	s_delay_alu instid0(VALU_DEP_1) | instskip(NEXT) | instid1(VALU_DEP_1)
	v_dual_add_nc_u32 v117, 6, v19 :: v_dual_add_nc_u32 v64, v17, v16
                                        ; implicit-def: $vgpr16_vgpr17
	v_cmpx_ne_u32_e32 0, v117
	s_xor_b32 s10, exec_lo, s10
; %bb.1795:                             ;   in Loop: Header=BB4_1629 Depth=2
	s_delay_alu instid0(VALU_DEP_2) | instskip(SKIP_1) | instid1(VALU_DEP_1)
	v_cmp_lt_u64_e32 vcc_lo, 0xffffff, v[64:65]
	v_add_nc_u32_e32 v16, 7, v19
	v_cndmask_b32_e32 v18, v117, v16, vcc_lo
	v_cndmask_b32_e64 v16, 0, 1, vcc_lo
	s_delay_alu instid0(VALU_DEP_1)
	v_lshrrev_b64 v[16:17], v16, v[64:65]
; %bb.1796:                             ;   in Loop: Header=BB4_1629 Depth=2
	s_and_not1_saveexec_b32 s10, s10
; %bb.1797:                             ;   in Loop: Header=BB4_1629 Depth=2
	v_mov_b64_e32 v[16:17], v[64:65]
	v_bfe_u32 v18, v64, 23, 1
; %bb.1798:                             ;   in Loop: Header=BB4_1629 Depth=2
	s_or_b32 exec_lo, exec_lo, s10
	s_delay_alu instid0(VALU_DEP_2) | instskip(NEXT) | instid1(VALU_DEP_2)
	v_lshrrev_b64 v[16:17], 20, v[16:17]
	v_cmp_gt_i32_e32 vcc_lo, 16, v18
	v_cmp_ne_u32_e64 s10, 0, v18
                                        ; implicit-def: $vgpr117
	s_delay_alu instid0(VALU_DEP_3) | instskip(NEXT) | instid1(VALU_DEP_1)
	v_dual_cndmask_b32 v17, 0, v17 :: v_dual_cndmask_b32 v16, 7, v16
	v_cmp_ne_u64_e32 vcc_lo, 0, v[16:17]
	s_or_b32 s10, s10, vcc_lo
	s_delay_alu instid0(SALU_CYCLE_1) | instskip(NEXT) | instid1(SALU_CYCLE_1)
	s_and_saveexec_b32 s41, s10
	s_xor_b32 s10, exec_lo, s41
; %bb.1799:                             ;   in Loop: Header=BB4_1629 Depth=2
	v_min_i32_e32 v17, 15, v18
	s_delay_alu instid0(VALU_DEP_1) | instskip(NEXT) | instid1(VALU_DEP_1)
	v_lshl_or_b32 v17, v17, 3, v73
                                        ; implicit-def: $vgpr73
	v_and_or_b32 v117, v16, 7, v17
; %bb.1800:                             ;   in Loop: Header=BB4_1629 Depth=2
	s_and_not1_saveexec_b32 s10, s10
; %bb.1801:                             ;   in Loop: Header=BB4_1629 Depth=2
	v_mov_b32_e32 v117, v73
; %bb.1802:                             ;   in Loop: Header=BB4_1629 Depth=2
	s_or_b32 exec_lo, exec_lo, s10
.LBB4_1803:                             ;   in Loop: Header=BB4_1629 Depth=2
	s_delay_alu instid0(SALU_CYCLE_1)
	s_or_b32 exec_lo, exec_lo, s40
                                        ; implicit-def: $vgpr73
.LBB4_1804:                             ;   in Loop: Header=BB4_1629 Depth=2
	s_and_not1_saveexec_b32 s10, s29
; %bb.1805:                             ;   in Loop: Header=BB4_1629 Depth=2
	v_or_b32_e32 v117, 0x7e, v73
; %bb.1806:                             ;   in Loop: Header=BB4_1629 Depth=2
	s_or_b32 exec_lo, exec_lo, s10
                                        ; implicit-def: $vgpr17
.LBB4_1807:                             ;   in Loop: Header=BB4_1629 Depth=2
	s_and_not1_saveexec_b32 s10, s28
; %bb.1808:                             ;   in Loop: Header=BB4_1629 Depth=2
	v_or_b32_e32 v117, 0x7f, v17
; %bb.1809:                             ;   in Loop: Header=BB4_1629 Depth=2
	s_or_b32 exec_lo, exec_lo, s10
	v_and_b32_e32 v18, 0xff, v72
	v_dual_mov_b32 v16, 0 :: v_dual_mov_b32 v17, 0
	s_mov_b32 s10, exec_lo
	s_delay_alu instid0(VALU_DEP_2)
	v_cmpx_ne_u16_e32 0, v18
	s_cbranch_execz .LBB4_1817
; %bb.1810:                             ;   in Loop: Header=BB4_1629 Depth=2
	v_bfrev_b32_e32 v17, 1
	s_mov_b32 s28, exec_lo
	v_cmpx_ne_u16_e32 0x80, v18
	s_cbranch_execz .LBB4_1816
; %bb.1811:                             ;   in Loop: Header=BB4_1629 Depth=2
	v_and_b32_e32 v19, 0x7f, v72
	v_mov_b32_e32 v17, 0x7f800001
	s_mov_b32 s29, exec_lo
	s_delay_alu instid0(VALU_DEP_2)
	v_cmpx_ne_u32_e32 0x7f, v19
	s_cbranch_execz .LBB4_1815
; %bb.1812:                             ;   in Loop: Header=BB4_1629 Depth=2
	v_dual_lshrrev_b32 v17, 3, v19 :: v_dual_bitop2_b32 v64, 7, v18 bitop3:0x40
	s_mov_b32 s40, exec_lo
	v_cmpx_gt_u32_e32 8, v19
; %bb.1813:                             ;   in Loop: Header=BB4_1629 Depth=2
	s_delay_alu instid0(VALU_DEP_2) | instskip(NEXT) | instid1(VALU_DEP_1)
	v_clz_i32_u32_e32 v17, v64
	v_min_u32_e32 v17, 32, v17
	s_delay_alu instid0(VALU_DEP_1) | instskip(NEXT) | instid1(VALU_DEP_1)
	v_subrev_nc_u32_e32 v18, 28, v17
	v_lshlrev_b64_e32 v[18:19], v18, v[64:65]
	s_delay_alu instid0(VALU_DEP_1)
	v_dual_sub_nc_u32 v17, 29, v17 :: v_dual_bitop2_b32 v64, 7, v18 bitop3:0x40
; %bb.1814:                             ;   in Loop: Header=BB4_1629 Depth=2
	s_or_b32 exec_lo, exec_lo, s40
	v_lshlrev_b32_e32 v18, 24, v72
	s_delay_alu instid0(VALU_DEP_2) | instskip(NEXT) | instid1(VALU_DEP_3)
	v_lshlrev_b32_e32 v19, 20, v64
	v_lshl_add_u32 v17, v17, 23, 0x3c000000
	s_delay_alu instid0(VALU_DEP_3) | instskip(NEXT) | instid1(VALU_DEP_1)
	v_and_b32_e32 v18, 0x80000000, v18
	v_or3_b32 v17, v19, v18, v17
.LBB4_1815:                             ;   in Loop: Header=BB4_1629 Depth=2
	s_or_b32 exec_lo, exec_lo, s29
.LBB4_1816:                             ;   in Loop: Header=BB4_1629 Depth=2
	s_delay_alu instid0(SALU_CYCLE_1)
	s_or_b32 exec_lo, exec_lo, s28
.LBB4_1817:                             ;   in Loop: Header=BB4_1629 Depth=2
	s_delay_alu instid0(SALU_CYCLE_1) | instskip(SKIP_3) | instid1(VALU_DEP_1)
	s_or_b32 exec_lo, exec_lo, s10
	s_wait_loadcnt_dscnt 0xa0a
	v_and_b32_e32 v18, 0xff, v46
	s_mov_b32 s10, exec_lo
	v_cmpx_ne_u16_e32 0, v18
	s_cbranch_execz .LBB4_1825
; %bb.1818:                             ;   in Loop: Header=BB4_1629 Depth=2
	v_bfrev_b32_e32 v16, 1
	s_mov_b32 s28, exec_lo
	v_cmpx_ne_u16_e32 0x80, v18
	s_cbranch_execz .LBB4_1824
; %bb.1819:                             ;   in Loop: Header=BB4_1629 Depth=2
	v_and_b32_e32 v19, 0x7f, v46
	v_mov_b32_e32 v16, 0x7f800001
	s_mov_b32 s29, exec_lo
	s_delay_alu instid0(VALU_DEP_2)
	v_cmpx_ne_u32_e32 0x7f, v19
	s_cbranch_execz .LBB4_1823
; %bb.1820:                             ;   in Loop: Header=BB4_1629 Depth=2
	v_dual_lshrrev_b32 v16, 3, v19 :: v_dual_bitop2_b32 v64, 7, v18 bitop3:0x40
	s_mov_b32 s40, exec_lo
	v_cmpx_gt_u32_e32 8, v19
; %bb.1821:                             ;   in Loop: Header=BB4_1629 Depth=2
	s_delay_alu instid0(VALU_DEP_2) | instskip(NEXT) | instid1(VALU_DEP_1)
	v_clz_i32_u32_e32 v16, v64
	v_min_u32_e32 v16, 32, v16
	s_delay_alu instid0(VALU_DEP_1) | instskip(NEXT) | instid1(VALU_DEP_1)
	v_subrev_nc_u32_e32 v18, 28, v16
	v_lshlrev_b64_e32 v[18:19], v18, v[64:65]
	s_delay_alu instid0(VALU_DEP_1)
	v_dual_sub_nc_u32 v16, 29, v16 :: v_dual_bitop2_b32 v64, 7, v18 bitop3:0x40
; %bb.1822:                             ;   in Loop: Header=BB4_1629 Depth=2
	s_or_b32 exec_lo, exec_lo, s40
	s_delay_alu instid0(VALU_DEP_1) | instskip(NEXT) | instid1(VALU_DEP_2)
	v_dual_lshlrev_b32 v18, 24, v46 :: v_dual_lshlrev_b32 v19, 20, v64
	v_lshl_add_u32 v16, v16, 23, 0x3c000000
	s_delay_alu instid0(VALU_DEP_2) | instskip(NEXT) | instid1(VALU_DEP_1)
	v_and_b32_e32 v18, 0x80000000, v18
	v_or3_b32 v16, v19, v18, v16
.LBB4_1823:                             ;   in Loop: Header=BB4_1629 Depth=2
	s_or_b32 exec_lo, exec_lo, s29
.LBB4_1824:                             ;   in Loop: Header=BB4_1629 Depth=2
	s_delay_alu instid0(SALU_CYCLE_1)
	s_or_b32 exec_lo, exec_lo, s28
.LBB4_1825:                             ;   in Loop: Header=BB4_1629 Depth=2
	s_delay_alu instid0(SALU_CYCLE_1) | instskip(NEXT) | instid1(VALU_DEP_1)
	s_or_b32 exec_lo, exec_lo, s10
	v_mul_f32_e32 v16, v17, v16
                                        ; implicit-def: $vgpr46
	s_mov_b32 s10, exec_lo
	s_delay_alu instid0(VALU_DEP_1) | instskip(SKIP_1) | instid1(VALU_DEP_2)
	v_and_b32_e32 v64, 0x7f800000, v16
	v_lshrrev_b32_e32 v17, 24, v16
	v_cmpx_ne_u64_e32 0x7f800000, v[64:65]
	s_xor_b32 s28, exec_lo, s10
	s_cbranch_execz .LBB4_1843
; %bb.1826:                             ;   in Loop: Header=BB4_1629 Depth=2
	v_and_b32_e32 v64, 0x7fffffff, v16
	v_and_b32_e32 v72, 0x80, v17
                                        ; implicit-def: $vgpr46
	s_mov_b32 s10, exec_lo
	s_delay_alu instid0(VALU_DEP_2)
	v_cmpx_gt_u64_e32 0x43e00001, v[64:65]
	s_xor_b32 s29, exec_lo, s10
	s_cbranch_execz .LBB4_1840
; %bb.1827:                             ;   in Loop: Header=BB4_1629 Depth=2
	v_mov_b32_e32 v46, 0
	s_mov_b32 s40, exec_lo
	v_cmpx_ne_u32_e32 0, v16
	s_cbranch_execz .LBB4_1839
; %bb.1828:                             ;   in Loop: Header=BB4_1629 Depth=2
	v_bfe_u32 v46, v16, 23, 8
	v_and_b32_e32 v18, 0x7fffff, v16
	s_delay_alu instid0(VALU_DEP_2) | instskip(SKIP_1) | instid1(VALU_DEP_3)
	v_sub_nc_u32_e32 v17, 0x79, v46
	v_cmp_gt_u32_e32 vcc_lo, 0x7a, v46
	v_or_b32_e32 v19, 0x800000, v18
	s_delay_alu instid0(VALU_DEP_3) | instskip(SKIP_1) | instid1(VALU_DEP_3)
	v_cndmask_b32_e32 v17, 0, v17, vcc_lo
	v_cmp_eq_u32_e32 vcc_lo, 0, v46
	v_cndmask_b32_e32 v64, v19, v18, vcc_lo
	s_delay_alu instid0(VALU_DEP_3) | instskip(NEXT) | instid1(VALU_DEP_1)
	v_cndmask_b32_e64 v73, v17, 0x78, vcc_lo
	v_dual_add_nc_u32 v16, 20, v73 :: v_dual_add_nc_u32 v74, 19, v73
	s_delay_alu instid0(VALU_DEP_1) | instskip(NEXT) | instid1(VALU_DEP_2)
	v_lshlrev_b64_e64 v[16:17], v16, -1
	v_lshlrev_b64_e64 v[18:19], v74, 1
	s_delay_alu instid0(VALU_DEP_2) | instskip(NEXT) | instid1(VALU_DEP_3)
	v_bfi_b32 v75, v17, 0, 0
	v_bfi_b32 v74, v16, 0, v64
	v_lshrrev_b64 v[16:17], v73, v[64:65]
	s_delay_alu instid0(VALU_DEP_2) | instskip(NEXT) | instid1(VALU_DEP_2)
	v_cmp_eq_u64_e64 s10, v[74:75], v[18:19]
	v_mov_b64_e32 v[18:19], v[16:17]
	s_and_saveexec_b32 s41, s10
; %bb.1829:                             ;   in Loop: Header=BB4_1629 Depth=2
	v_bfe_u32 v64, v16, 20, 1
	s_delay_alu instid0(VALU_DEP_1) | instskip(NEXT) | instid1(VALU_DEP_1)
	v_add_nc_u64_e32 v[18:19], v[16:17], v[64:65]
	v_add_nc_u64_e32 v[18:19], -1, v[18:19]
; %bb.1830:                             ;   in Loop: Header=BB4_1629 Depth=2
	s_or_b32 exec_lo, exec_lo, s41
	v_add_nc_u32_e32 v17, 0xffffff81, v46
	v_lshrrev_b32_e32 v19, 23, v16
	s_mov_b32 s10, exec_lo
	s_delay_alu instid0(VALU_DEP_2) | instskip(NEXT) | instid1(VALU_DEP_1)
	v_cndmask_b32_e64 v17, v17, 0xffffff82, vcc_lo
	v_add3_u32 v19, v73, v17, v19
	v_and_b32_e32 v17, 0xfffff, v18
                                        ; implicit-def: $vgpr18
	s_delay_alu instid0(VALU_DEP_1) | instskip(NEXT) | instid1(VALU_DEP_1)
	v_dual_add_nc_u32 v46, 6, v19 :: v_dual_add_nc_u32 v64, v17, v16
                                        ; implicit-def: $vgpr16_vgpr17
	v_cmpx_ne_u32_e32 0, v46
	s_xor_b32 s10, exec_lo, s10
; %bb.1831:                             ;   in Loop: Header=BB4_1629 Depth=2
	s_delay_alu instid0(VALU_DEP_2) | instskip(SKIP_1) | instid1(VALU_DEP_1)
	v_cmp_lt_u64_e32 vcc_lo, 0xffffff, v[64:65]
	v_add_nc_u32_e32 v16, 7, v19
	v_cndmask_b32_e32 v18, v46, v16, vcc_lo
	v_cndmask_b32_e64 v16, 0, 1, vcc_lo
	s_delay_alu instid0(VALU_DEP_1)
	v_lshrrev_b64 v[16:17], v16, v[64:65]
; %bb.1832:                             ;   in Loop: Header=BB4_1629 Depth=2
	s_and_not1_saveexec_b32 s10, s10
; %bb.1833:                             ;   in Loop: Header=BB4_1629 Depth=2
	v_mov_b64_e32 v[16:17], v[64:65]
	v_bfe_u32 v18, v64, 23, 1
; %bb.1834:                             ;   in Loop: Header=BB4_1629 Depth=2
	s_or_b32 exec_lo, exec_lo, s10
	s_delay_alu instid0(VALU_DEP_2) | instskip(NEXT) | instid1(VALU_DEP_2)
	v_lshrrev_b64 v[16:17], 20, v[16:17]
	v_cmp_gt_i32_e32 vcc_lo, 16, v18
	v_cmp_ne_u32_e64 s10, 0, v18
                                        ; implicit-def: $vgpr46
	s_delay_alu instid0(VALU_DEP_3) | instskip(NEXT) | instid1(VALU_DEP_1)
	v_dual_cndmask_b32 v17, 0, v17 :: v_dual_cndmask_b32 v16, 7, v16
	v_cmp_ne_u64_e32 vcc_lo, 0, v[16:17]
	s_or_b32 s10, s10, vcc_lo
	s_delay_alu instid0(SALU_CYCLE_1) | instskip(NEXT) | instid1(SALU_CYCLE_1)
	s_and_saveexec_b32 s41, s10
	s_xor_b32 s10, exec_lo, s41
; %bb.1835:                             ;   in Loop: Header=BB4_1629 Depth=2
	v_min_i32_e32 v17, 15, v18
	s_delay_alu instid0(VALU_DEP_1) | instskip(NEXT) | instid1(VALU_DEP_1)
	v_lshl_or_b32 v17, v17, 3, v72
                                        ; implicit-def: $vgpr72
	v_and_or_b32 v46, v16, 7, v17
; %bb.1836:                             ;   in Loop: Header=BB4_1629 Depth=2
	s_and_not1_saveexec_b32 s10, s10
; %bb.1837:                             ;   in Loop: Header=BB4_1629 Depth=2
	v_mov_b32_e32 v46, v72
; %bb.1838:                             ;   in Loop: Header=BB4_1629 Depth=2
	s_or_b32 exec_lo, exec_lo, s10
.LBB4_1839:                             ;   in Loop: Header=BB4_1629 Depth=2
	s_delay_alu instid0(SALU_CYCLE_1)
	s_or_b32 exec_lo, exec_lo, s40
                                        ; implicit-def: $vgpr72
.LBB4_1840:                             ;   in Loop: Header=BB4_1629 Depth=2
	s_and_not1_saveexec_b32 s10, s29
; %bb.1841:                             ;   in Loop: Header=BB4_1629 Depth=2
	v_or_b32_e32 v46, 0x7e, v72
; %bb.1842:                             ;   in Loop: Header=BB4_1629 Depth=2
	s_or_b32 exec_lo, exec_lo, s10
                                        ; implicit-def: $vgpr17
.LBB4_1843:                             ;   in Loop: Header=BB4_1629 Depth=2
	s_and_not1_saveexec_b32 s10, s28
; %bb.1844:                             ;   in Loop: Header=BB4_1629 Depth=2
	v_or_b32_e32 v46, 0x7f, v17
; %bb.1845:                             ;   in Loop: Header=BB4_1629 Depth=2
	s_or_b32 exec_lo, exec_lo, s10
	v_and_b32_e32 v18, 0xff, v63
	v_dual_mov_b32 v16, 0 :: v_dual_mov_b32 v17, 0
	s_mov_b32 s10, exec_lo
	s_delay_alu instid0(VALU_DEP_2)
	v_cmpx_ne_u16_e32 0, v18
	s_cbranch_execz .LBB4_1853
; %bb.1846:                             ;   in Loop: Header=BB4_1629 Depth=2
	v_bfrev_b32_e32 v17, 1
	s_mov_b32 s28, exec_lo
	v_cmpx_ne_u16_e32 0x80, v18
	s_cbranch_execz .LBB4_1852
; %bb.1847:                             ;   in Loop: Header=BB4_1629 Depth=2
	v_and_b32_e32 v19, 0x7f, v63
	v_mov_b32_e32 v17, 0x7f800001
	s_mov_b32 s29, exec_lo
	s_delay_alu instid0(VALU_DEP_2)
	v_cmpx_ne_u32_e32 0x7f, v19
	s_cbranch_execz .LBB4_1851
; %bb.1848:                             ;   in Loop: Header=BB4_1629 Depth=2
	v_dual_lshrrev_b32 v17, 3, v19 :: v_dual_bitop2_b32 v64, 7, v18 bitop3:0x40
	s_mov_b32 s40, exec_lo
	v_cmpx_gt_u32_e32 8, v19
; %bb.1849:                             ;   in Loop: Header=BB4_1629 Depth=2
	s_delay_alu instid0(VALU_DEP_2) | instskip(NEXT) | instid1(VALU_DEP_1)
	v_clz_i32_u32_e32 v17, v64
	v_min_u32_e32 v17, 32, v17
	s_delay_alu instid0(VALU_DEP_1) | instskip(NEXT) | instid1(VALU_DEP_1)
	v_subrev_nc_u32_e32 v18, 28, v17
	v_lshlrev_b64_e32 v[18:19], v18, v[64:65]
	s_delay_alu instid0(VALU_DEP_1)
	v_dual_sub_nc_u32 v17, 29, v17 :: v_dual_bitop2_b32 v64, 7, v18 bitop3:0x40
; %bb.1850:                             ;   in Loop: Header=BB4_1629 Depth=2
	s_or_b32 exec_lo, exec_lo, s40
	s_delay_alu instid0(VALU_DEP_1) | instskip(NEXT) | instid1(VALU_DEP_2)
	v_dual_lshlrev_b32 v18, 24, v63 :: v_dual_lshlrev_b32 v19, 20, v64
	v_lshl_add_u32 v17, v17, 23, 0x3c000000
	s_delay_alu instid0(VALU_DEP_2) | instskip(NEXT) | instid1(VALU_DEP_1)
	v_and_b32_e32 v18, 0x80000000, v18
	v_or3_b32 v17, v19, v18, v17
.LBB4_1851:                             ;   in Loop: Header=BB4_1629 Depth=2
	s_or_b32 exec_lo, exec_lo, s29
.LBB4_1852:                             ;   in Loop: Header=BB4_1629 Depth=2
	s_delay_alu instid0(SALU_CYCLE_1)
	s_or_b32 exec_lo, exec_lo, s28
.LBB4_1853:                             ;   in Loop: Header=BB4_1629 Depth=2
	s_delay_alu instid0(SALU_CYCLE_1) | instskip(SKIP_3) | instid1(VALU_DEP_1)
	s_or_b32 exec_lo, exec_lo, s10
	s_wait_loadcnt_dscnt 0x909
	v_and_b32_e32 v18, 0xff, v57
	s_mov_b32 s10, exec_lo
	v_cmpx_ne_u16_e32 0, v18
	s_cbranch_execz .LBB4_1861
; %bb.1854:                             ;   in Loop: Header=BB4_1629 Depth=2
	v_bfrev_b32_e32 v16, 1
	s_mov_b32 s28, exec_lo
	v_cmpx_ne_u16_e32 0x80, v18
	s_cbranch_execz .LBB4_1860
; %bb.1855:                             ;   in Loop: Header=BB4_1629 Depth=2
	v_and_b32_e32 v19, 0x7f, v57
	v_mov_b32_e32 v16, 0x7f800001
	s_mov_b32 s29, exec_lo
	s_delay_alu instid0(VALU_DEP_2)
	v_cmpx_ne_u32_e32 0x7f, v19
	s_cbranch_execz .LBB4_1859
; %bb.1856:                             ;   in Loop: Header=BB4_1629 Depth=2
	v_dual_lshrrev_b32 v16, 3, v19 :: v_dual_bitop2_b32 v64, 7, v18 bitop3:0x40
	s_mov_b32 s40, exec_lo
	v_cmpx_gt_u32_e32 8, v19
; %bb.1857:                             ;   in Loop: Header=BB4_1629 Depth=2
	s_delay_alu instid0(VALU_DEP_2) | instskip(NEXT) | instid1(VALU_DEP_1)
	v_clz_i32_u32_e32 v16, v64
	v_min_u32_e32 v16, 32, v16
	s_delay_alu instid0(VALU_DEP_1) | instskip(NEXT) | instid1(VALU_DEP_1)
	v_subrev_nc_u32_e32 v18, 28, v16
	v_lshlrev_b64_e32 v[18:19], v18, v[64:65]
	s_delay_alu instid0(VALU_DEP_1)
	v_dual_sub_nc_u32 v16, 29, v16 :: v_dual_bitop2_b32 v64, 7, v18 bitop3:0x40
; %bb.1858:                             ;   in Loop: Header=BB4_1629 Depth=2
	s_or_b32 exec_lo, exec_lo, s40
	s_delay_alu instid0(VALU_DEP_1) | instskip(NEXT) | instid1(VALU_DEP_2)
	v_dual_lshlrev_b32 v18, 24, v57 :: v_dual_lshlrev_b32 v19, 20, v64
	v_lshl_add_u32 v16, v16, 23, 0x3c000000
	s_delay_alu instid0(VALU_DEP_2) | instskip(NEXT) | instid1(VALU_DEP_1)
	v_and_b32_e32 v18, 0x80000000, v18
	v_or3_b32 v16, v19, v18, v16
.LBB4_1859:                             ;   in Loop: Header=BB4_1629 Depth=2
	s_or_b32 exec_lo, exec_lo, s29
.LBB4_1860:                             ;   in Loop: Header=BB4_1629 Depth=2
	s_delay_alu instid0(SALU_CYCLE_1)
	s_or_b32 exec_lo, exec_lo, s28
.LBB4_1861:                             ;   in Loop: Header=BB4_1629 Depth=2
	s_delay_alu instid0(SALU_CYCLE_1) | instskip(NEXT) | instid1(VALU_DEP_1)
	s_or_b32 exec_lo, exec_lo, s10
	v_mul_f32_e32 v16, v17, v16
                                        ; implicit-def: $vgpr57
	s_mov_b32 s10, exec_lo
	s_delay_alu instid0(VALU_DEP_1) | instskip(SKIP_1) | instid1(VALU_DEP_2)
	v_and_b32_e32 v64, 0x7f800000, v16
	v_lshrrev_b32_e32 v17, 24, v16
	v_cmpx_ne_u64_e32 0x7f800000, v[64:65]
	s_xor_b32 s28, exec_lo, s10
	s_cbranch_execz .LBB4_1879
; %bb.1862:                             ;   in Loop: Header=BB4_1629 Depth=2
	v_and_b32_e32 v64, 0x7fffffff, v16
	v_and_b32_e32 v63, 0x80, v17
                                        ; implicit-def: $vgpr57
	s_mov_b32 s10, exec_lo
	s_delay_alu instid0(VALU_DEP_2)
	v_cmpx_gt_u64_e32 0x43e00001, v[64:65]
	s_xor_b32 s29, exec_lo, s10
	s_cbranch_execz .LBB4_1876
; %bb.1863:                             ;   in Loop: Header=BB4_1629 Depth=2
	v_mov_b32_e32 v57, 0
	s_mov_b32 s40, exec_lo
	v_cmpx_ne_u32_e32 0, v16
	s_cbranch_execz .LBB4_1875
; %bb.1864:                             ;   in Loop: Header=BB4_1629 Depth=2
	v_bfe_u32 v57, v16, 23, 8
	v_and_b32_e32 v18, 0x7fffff, v16
	s_delay_alu instid0(VALU_DEP_2) | instskip(NEXT) | instid1(VALU_DEP_2)
	v_cmp_gt_u32_e32 vcc_lo, 0x7a, v57
	v_or_b32_e32 v19, 0x800000, v18
	v_sub_nc_u32_e32 v17, 0x79, v57
	s_delay_alu instid0(VALU_DEP_1) | instskip(SKIP_1) | instid1(VALU_DEP_2)
	v_cndmask_b32_e32 v17, 0, v17, vcc_lo
	v_cmp_eq_u32_e32 vcc_lo, 0, v57
	v_cndmask_b32_e64 v72, v17, 0x78, vcc_lo
	s_delay_alu instid0(VALU_DEP_1) | instskip(SKIP_1) | instid1(VALU_DEP_2)
	v_dual_cndmask_b32 v64, v19, v18, vcc_lo :: v_dual_add_nc_u32 v16, 20, v72
	v_add_nc_u32_e32 v73, 19, v72
	v_lshlrev_b64_e64 v[16:17], v16, -1
	s_delay_alu instid0(VALU_DEP_2) | instskip(NEXT) | instid1(VALU_DEP_2)
	v_lshlrev_b64_e64 v[18:19], v73, 1
	v_bfi_b32 v75, v17, 0, 0
	s_delay_alu instid0(VALU_DEP_3) | instskip(SKIP_1) | instid1(VALU_DEP_2)
	v_bfi_b32 v74, v16, 0, v64
	v_lshrrev_b64 v[16:17], v72, v[64:65]
	v_cmp_eq_u64_e64 s10, v[74:75], v[18:19]
	s_delay_alu instid0(VALU_DEP_2)
	v_mov_b64_e32 v[18:19], v[16:17]
	s_and_saveexec_b32 s41, s10
; %bb.1865:                             ;   in Loop: Header=BB4_1629 Depth=2
	v_bfe_u32 v64, v16, 20, 1
	s_delay_alu instid0(VALU_DEP_1) | instskip(NEXT) | instid1(VALU_DEP_1)
	v_add_nc_u64_e32 v[18:19], v[16:17], v[64:65]
	v_add_nc_u64_e32 v[18:19], -1, v[18:19]
; %bb.1866:                             ;   in Loop: Header=BB4_1629 Depth=2
	s_or_b32 exec_lo, exec_lo, s41
	v_add_nc_u32_e32 v17, 0xffffff81, v57
	v_lshrrev_b32_e32 v19, 23, v16
	s_mov_b32 s10, exec_lo
	s_delay_alu instid0(VALU_DEP_2) | instskip(NEXT) | instid1(VALU_DEP_1)
	v_cndmask_b32_e64 v17, v17, 0xffffff82, vcc_lo
	v_add3_u32 v19, v72, v17, v19
	v_and_b32_e32 v17, 0xfffff, v18
                                        ; implicit-def: $vgpr18
	s_delay_alu instid0(VALU_DEP_1) | instskip(NEXT) | instid1(VALU_DEP_1)
	v_dual_add_nc_u32 v57, 6, v19 :: v_dual_add_nc_u32 v64, v17, v16
                                        ; implicit-def: $vgpr16_vgpr17
	v_cmpx_ne_u32_e32 0, v57
	s_xor_b32 s10, exec_lo, s10
; %bb.1867:                             ;   in Loop: Header=BB4_1629 Depth=2
	s_delay_alu instid0(VALU_DEP_2) | instskip(SKIP_1) | instid1(VALU_DEP_1)
	v_cmp_lt_u64_e32 vcc_lo, 0xffffff, v[64:65]
	v_add_nc_u32_e32 v16, 7, v19
	v_cndmask_b32_e32 v18, v57, v16, vcc_lo
	v_cndmask_b32_e64 v16, 0, 1, vcc_lo
	s_delay_alu instid0(VALU_DEP_1)
	v_lshrrev_b64 v[16:17], v16, v[64:65]
; %bb.1868:                             ;   in Loop: Header=BB4_1629 Depth=2
	s_and_not1_saveexec_b32 s10, s10
; %bb.1869:                             ;   in Loop: Header=BB4_1629 Depth=2
	v_mov_b64_e32 v[16:17], v[64:65]
	v_bfe_u32 v18, v64, 23, 1
; %bb.1870:                             ;   in Loop: Header=BB4_1629 Depth=2
	s_or_b32 exec_lo, exec_lo, s10
	s_delay_alu instid0(VALU_DEP_2) | instskip(NEXT) | instid1(VALU_DEP_2)
	v_lshrrev_b64 v[16:17], 20, v[16:17]
	v_cmp_gt_i32_e32 vcc_lo, 16, v18
	v_cmp_ne_u32_e64 s10, 0, v18
                                        ; implicit-def: $vgpr57
	s_delay_alu instid0(VALU_DEP_3) | instskip(NEXT) | instid1(VALU_DEP_1)
	v_dual_cndmask_b32 v17, 0, v17 :: v_dual_cndmask_b32 v16, 7, v16
	v_cmp_ne_u64_e32 vcc_lo, 0, v[16:17]
	s_or_b32 s10, s10, vcc_lo
	s_delay_alu instid0(SALU_CYCLE_1) | instskip(NEXT) | instid1(SALU_CYCLE_1)
	s_and_saveexec_b32 s41, s10
	s_xor_b32 s10, exec_lo, s41
; %bb.1871:                             ;   in Loop: Header=BB4_1629 Depth=2
	v_min_i32_e32 v17, 15, v18
	s_delay_alu instid0(VALU_DEP_1) | instskip(NEXT) | instid1(VALU_DEP_1)
	v_lshl_or_b32 v17, v17, 3, v63
                                        ; implicit-def: $vgpr63
	v_and_or_b32 v57, v16, 7, v17
; %bb.1872:                             ;   in Loop: Header=BB4_1629 Depth=2
	s_and_not1_saveexec_b32 s10, s10
; %bb.1873:                             ;   in Loop: Header=BB4_1629 Depth=2
	v_mov_b32_e32 v57, v63
; %bb.1874:                             ;   in Loop: Header=BB4_1629 Depth=2
	s_or_b32 exec_lo, exec_lo, s10
.LBB4_1875:                             ;   in Loop: Header=BB4_1629 Depth=2
	s_delay_alu instid0(SALU_CYCLE_1)
	s_or_b32 exec_lo, exec_lo, s40
                                        ; implicit-def: $vgpr63
.LBB4_1876:                             ;   in Loop: Header=BB4_1629 Depth=2
	s_and_not1_saveexec_b32 s10, s29
; %bb.1877:                             ;   in Loop: Header=BB4_1629 Depth=2
	v_or_b32_e32 v57, 0x7e, v63
; %bb.1878:                             ;   in Loop: Header=BB4_1629 Depth=2
	s_or_b32 exec_lo, exec_lo, s10
                                        ; implicit-def: $vgpr17
.LBB4_1879:                             ;   in Loop: Header=BB4_1629 Depth=2
	s_and_not1_saveexec_b32 s10, s28
; %bb.1880:                             ;   in Loop: Header=BB4_1629 Depth=2
	v_or_b32_e32 v57, 0x7f, v17
; %bb.1881:                             ;   in Loop: Header=BB4_1629 Depth=2
	s_or_b32 exec_lo, exec_lo, s10
	v_and_b32_e32 v18, 0xff, v62
	v_dual_mov_b32 v16, 0 :: v_dual_mov_b32 v17, 0
	s_mov_b32 s10, exec_lo
	s_delay_alu instid0(VALU_DEP_2)
	v_cmpx_ne_u16_e32 0, v18
	s_cbranch_execz .LBB4_1889
; %bb.1882:                             ;   in Loop: Header=BB4_1629 Depth=2
	v_bfrev_b32_e32 v17, 1
	s_mov_b32 s28, exec_lo
	v_cmpx_ne_u16_e32 0x80, v18
	s_cbranch_execz .LBB4_1888
; %bb.1883:                             ;   in Loop: Header=BB4_1629 Depth=2
	v_and_b32_e32 v19, 0x7f, v62
	v_mov_b32_e32 v17, 0x7f800001
	s_mov_b32 s29, exec_lo
	s_delay_alu instid0(VALU_DEP_2)
	v_cmpx_ne_u32_e32 0x7f, v19
	s_cbranch_execz .LBB4_1887
; %bb.1884:                             ;   in Loop: Header=BB4_1629 Depth=2
	v_dual_lshrrev_b32 v17, 3, v19 :: v_dual_bitop2_b32 v64, 7, v18 bitop3:0x40
	s_mov_b32 s40, exec_lo
	v_cmpx_gt_u32_e32 8, v19
; %bb.1885:                             ;   in Loop: Header=BB4_1629 Depth=2
	s_delay_alu instid0(VALU_DEP_2) | instskip(NEXT) | instid1(VALU_DEP_1)
	v_clz_i32_u32_e32 v17, v64
	v_min_u32_e32 v17, 32, v17
	s_delay_alu instid0(VALU_DEP_1) | instskip(NEXT) | instid1(VALU_DEP_1)
	v_subrev_nc_u32_e32 v18, 28, v17
	v_lshlrev_b64_e32 v[18:19], v18, v[64:65]
	s_delay_alu instid0(VALU_DEP_1)
	v_dual_sub_nc_u32 v17, 29, v17 :: v_dual_bitop2_b32 v64, 7, v18 bitop3:0x40
; %bb.1886:                             ;   in Loop: Header=BB4_1629 Depth=2
	s_or_b32 exec_lo, exec_lo, s40
	s_delay_alu instid0(VALU_DEP_1) | instskip(NEXT) | instid1(VALU_DEP_2)
	v_dual_lshlrev_b32 v18, 24, v62 :: v_dual_lshlrev_b32 v19, 20, v64
	v_lshl_add_u32 v17, v17, 23, 0x3c000000
	s_delay_alu instid0(VALU_DEP_2) | instskip(NEXT) | instid1(VALU_DEP_1)
	v_and_b32_e32 v18, 0x80000000, v18
	v_or3_b32 v17, v19, v18, v17
.LBB4_1887:                             ;   in Loop: Header=BB4_1629 Depth=2
	s_or_b32 exec_lo, exec_lo, s29
.LBB4_1888:                             ;   in Loop: Header=BB4_1629 Depth=2
	s_delay_alu instid0(SALU_CYCLE_1)
	s_or_b32 exec_lo, exec_lo, s28
.LBB4_1889:                             ;   in Loop: Header=BB4_1629 Depth=2
	s_delay_alu instid0(SALU_CYCLE_1) | instskip(SKIP_3) | instid1(VALU_DEP_1)
	s_or_b32 exec_lo, exec_lo, s10
	s_wait_loadcnt_dscnt 0x808
	v_and_b32_e32 v18, 0xff, v60
	s_mov_b32 s10, exec_lo
	v_cmpx_ne_u16_e32 0, v18
	s_cbranch_execz .LBB4_1897
; %bb.1890:                             ;   in Loop: Header=BB4_1629 Depth=2
	v_bfrev_b32_e32 v16, 1
	s_mov_b32 s28, exec_lo
	v_cmpx_ne_u16_e32 0x80, v18
	s_cbranch_execz .LBB4_1896
; %bb.1891:                             ;   in Loop: Header=BB4_1629 Depth=2
	v_and_b32_e32 v19, 0x7f, v60
	v_mov_b32_e32 v16, 0x7f800001
	s_mov_b32 s29, exec_lo
	s_delay_alu instid0(VALU_DEP_2)
	v_cmpx_ne_u32_e32 0x7f, v19
	s_cbranch_execz .LBB4_1895
; %bb.1892:                             ;   in Loop: Header=BB4_1629 Depth=2
	v_dual_lshrrev_b32 v16, 3, v19 :: v_dual_bitop2_b32 v64, 7, v18 bitop3:0x40
	s_mov_b32 s40, exec_lo
	v_cmpx_gt_u32_e32 8, v19
; %bb.1893:                             ;   in Loop: Header=BB4_1629 Depth=2
	s_delay_alu instid0(VALU_DEP_2) | instskip(NEXT) | instid1(VALU_DEP_1)
	v_clz_i32_u32_e32 v16, v64
	v_min_u32_e32 v16, 32, v16
	s_delay_alu instid0(VALU_DEP_1) | instskip(NEXT) | instid1(VALU_DEP_1)
	v_subrev_nc_u32_e32 v18, 28, v16
	v_lshlrev_b64_e32 v[18:19], v18, v[64:65]
	s_delay_alu instid0(VALU_DEP_1)
	v_dual_sub_nc_u32 v16, 29, v16 :: v_dual_bitop2_b32 v64, 7, v18 bitop3:0x40
; %bb.1894:                             ;   in Loop: Header=BB4_1629 Depth=2
	s_or_b32 exec_lo, exec_lo, s40
	v_lshlrev_b32_e32 v18, 24, v60
	s_delay_alu instid0(VALU_DEP_2) | instskip(NEXT) | instid1(VALU_DEP_3)
	v_lshlrev_b32_e32 v19, 20, v64
	v_lshl_add_u32 v16, v16, 23, 0x3c000000
	s_delay_alu instid0(VALU_DEP_3) | instskip(NEXT) | instid1(VALU_DEP_1)
	v_and_b32_e32 v18, 0x80000000, v18
	v_or3_b32 v16, v19, v18, v16
.LBB4_1895:                             ;   in Loop: Header=BB4_1629 Depth=2
	s_or_b32 exec_lo, exec_lo, s29
.LBB4_1896:                             ;   in Loop: Header=BB4_1629 Depth=2
	s_delay_alu instid0(SALU_CYCLE_1)
	s_or_b32 exec_lo, exec_lo, s28
.LBB4_1897:                             ;   in Loop: Header=BB4_1629 Depth=2
	s_delay_alu instid0(SALU_CYCLE_1) | instskip(NEXT) | instid1(VALU_DEP_1)
	s_or_b32 exec_lo, exec_lo, s10
	v_mul_f32_e32 v16, v17, v16
                                        ; implicit-def: $vgpr60
	s_mov_b32 s10, exec_lo
	s_delay_alu instid0(VALU_DEP_1) | instskip(SKIP_1) | instid1(VALU_DEP_2)
	v_and_b32_e32 v64, 0x7f800000, v16
	v_lshrrev_b32_e32 v17, 24, v16
	v_cmpx_ne_u64_e32 0x7f800000, v[64:65]
	s_xor_b32 s28, exec_lo, s10
	s_cbranch_execz .LBB4_1915
; %bb.1898:                             ;   in Loop: Header=BB4_1629 Depth=2
	v_and_b32_e32 v64, 0x7fffffff, v16
	v_and_b32_e32 v62, 0x80, v17
                                        ; implicit-def: $vgpr60
	s_mov_b32 s10, exec_lo
	s_delay_alu instid0(VALU_DEP_2)
	v_cmpx_gt_u64_e32 0x43e00001, v[64:65]
	s_xor_b32 s29, exec_lo, s10
	s_cbranch_execz .LBB4_1912
; %bb.1899:                             ;   in Loop: Header=BB4_1629 Depth=2
	v_mov_b32_e32 v60, 0
	s_mov_b32 s40, exec_lo
	v_cmpx_ne_u32_e32 0, v16
	s_cbranch_execz .LBB4_1911
; %bb.1900:                             ;   in Loop: Header=BB4_1629 Depth=2
	v_bfe_u32 v60, v16, 23, 8
	v_and_b32_e32 v18, 0x7fffff, v16
	s_delay_alu instid0(VALU_DEP_2) | instskip(NEXT) | instid1(VALU_DEP_2)
	v_cmp_gt_u32_e32 vcc_lo, 0x7a, v60
	v_or_b32_e32 v19, 0x800000, v18
	v_sub_nc_u32_e32 v17, 0x79, v60
	s_delay_alu instid0(VALU_DEP_1) | instskip(SKIP_1) | instid1(VALU_DEP_2)
	v_cndmask_b32_e32 v17, 0, v17, vcc_lo
	v_cmp_eq_u32_e32 vcc_lo, 0, v60
	v_cndmask_b32_e64 v63, v17, 0x78, vcc_lo
	s_delay_alu instid0(VALU_DEP_1) | instskip(SKIP_1) | instid1(VALU_DEP_2)
	v_dual_cndmask_b32 v64, v19, v18, vcc_lo :: v_dual_add_nc_u32 v16, 20, v63
	v_add_nc_u32_e32 v72, 19, v63
	v_lshlrev_b64_e64 v[16:17], v16, -1
	s_delay_alu instid0(VALU_DEP_2) | instskip(NEXT) | instid1(VALU_DEP_2)
	v_lshlrev_b64_e64 v[18:19], v72, 1
	v_bfi_b32 v73, v17, 0, 0
	s_delay_alu instid0(VALU_DEP_3) | instskip(SKIP_1) | instid1(VALU_DEP_2)
	v_bfi_b32 v72, v16, 0, v64
	v_lshrrev_b64 v[16:17], v63, v[64:65]
	v_cmp_eq_u64_e64 s10, v[72:73], v[18:19]
	s_delay_alu instid0(VALU_DEP_2)
	v_mov_b64_e32 v[18:19], v[16:17]
	s_and_saveexec_b32 s41, s10
; %bb.1901:                             ;   in Loop: Header=BB4_1629 Depth=2
	v_bfe_u32 v64, v16, 20, 1
	s_delay_alu instid0(VALU_DEP_1) | instskip(NEXT) | instid1(VALU_DEP_1)
	v_add_nc_u64_e32 v[18:19], v[16:17], v[64:65]
	v_add_nc_u64_e32 v[18:19], -1, v[18:19]
; %bb.1902:                             ;   in Loop: Header=BB4_1629 Depth=2
	s_or_b32 exec_lo, exec_lo, s41
	v_add_nc_u32_e32 v17, 0xffffff81, v60
	v_lshrrev_b32_e32 v19, 23, v16
	s_mov_b32 s10, exec_lo
	s_delay_alu instid0(VALU_DEP_2) | instskip(NEXT) | instid1(VALU_DEP_1)
	v_cndmask_b32_e64 v17, v17, 0xffffff82, vcc_lo
	v_add3_u32 v19, v63, v17, v19
	v_and_b32_e32 v17, 0xfffff, v18
                                        ; implicit-def: $vgpr18
	s_delay_alu instid0(VALU_DEP_1) | instskip(NEXT) | instid1(VALU_DEP_1)
	v_dual_add_nc_u32 v60, 6, v19 :: v_dual_add_nc_u32 v64, v17, v16
                                        ; implicit-def: $vgpr16_vgpr17
	v_cmpx_ne_u32_e32 0, v60
	s_xor_b32 s10, exec_lo, s10
; %bb.1903:                             ;   in Loop: Header=BB4_1629 Depth=2
	s_delay_alu instid0(VALU_DEP_2) | instskip(SKIP_1) | instid1(VALU_DEP_1)
	v_cmp_lt_u64_e32 vcc_lo, 0xffffff, v[64:65]
	v_add_nc_u32_e32 v16, 7, v19
	v_cndmask_b32_e32 v18, v60, v16, vcc_lo
	v_cndmask_b32_e64 v16, 0, 1, vcc_lo
	s_delay_alu instid0(VALU_DEP_1)
	v_lshrrev_b64 v[16:17], v16, v[64:65]
; %bb.1904:                             ;   in Loop: Header=BB4_1629 Depth=2
	s_and_not1_saveexec_b32 s10, s10
; %bb.1905:                             ;   in Loop: Header=BB4_1629 Depth=2
	v_mov_b64_e32 v[16:17], v[64:65]
	v_bfe_u32 v18, v64, 23, 1
; %bb.1906:                             ;   in Loop: Header=BB4_1629 Depth=2
	s_or_b32 exec_lo, exec_lo, s10
	s_delay_alu instid0(VALU_DEP_2) | instskip(NEXT) | instid1(VALU_DEP_2)
	v_lshrrev_b64 v[16:17], 20, v[16:17]
	v_cmp_gt_i32_e32 vcc_lo, 16, v18
	v_cmp_ne_u32_e64 s10, 0, v18
                                        ; implicit-def: $vgpr60
	s_delay_alu instid0(VALU_DEP_3) | instskip(NEXT) | instid1(VALU_DEP_1)
	v_dual_cndmask_b32 v17, 0, v17 :: v_dual_cndmask_b32 v16, 7, v16
	v_cmp_ne_u64_e32 vcc_lo, 0, v[16:17]
	s_or_b32 s10, s10, vcc_lo
	s_delay_alu instid0(SALU_CYCLE_1) | instskip(NEXT) | instid1(SALU_CYCLE_1)
	s_and_saveexec_b32 s41, s10
	s_xor_b32 s10, exec_lo, s41
; %bb.1907:                             ;   in Loop: Header=BB4_1629 Depth=2
	v_min_i32_e32 v17, 15, v18
	s_delay_alu instid0(VALU_DEP_1) | instskip(NEXT) | instid1(VALU_DEP_1)
	v_lshl_or_b32 v17, v17, 3, v62
                                        ; implicit-def: $vgpr62
	v_and_or_b32 v60, v16, 7, v17
; %bb.1908:                             ;   in Loop: Header=BB4_1629 Depth=2
	s_and_not1_saveexec_b32 s10, s10
; %bb.1909:                             ;   in Loop: Header=BB4_1629 Depth=2
	v_mov_b32_e32 v60, v62
; %bb.1910:                             ;   in Loop: Header=BB4_1629 Depth=2
	s_or_b32 exec_lo, exec_lo, s10
.LBB4_1911:                             ;   in Loop: Header=BB4_1629 Depth=2
	s_delay_alu instid0(SALU_CYCLE_1)
	s_or_b32 exec_lo, exec_lo, s40
                                        ; implicit-def: $vgpr62
.LBB4_1912:                             ;   in Loop: Header=BB4_1629 Depth=2
	s_and_not1_saveexec_b32 s10, s29
; %bb.1913:                             ;   in Loop: Header=BB4_1629 Depth=2
	v_or_b32_e32 v60, 0x7e, v62
; %bb.1914:                             ;   in Loop: Header=BB4_1629 Depth=2
	s_or_b32 exec_lo, exec_lo, s10
                                        ; implicit-def: $vgpr17
.LBB4_1915:                             ;   in Loop: Header=BB4_1629 Depth=2
	s_and_not1_saveexec_b32 s10, s28
; %bb.1916:                             ;   in Loop: Header=BB4_1629 Depth=2
	v_or_b32_e32 v60, 0x7f, v17
; %bb.1917:                             ;   in Loop: Header=BB4_1629 Depth=2
	s_or_b32 exec_lo, exec_lo, s10
	v_and_b32_e32 v18, 0xff, v61
	v_dual_mov_b32 v16, 0 :: v_dual_mov_b32 v17, 0
	s_mov_b32 s10, exec_lo
	s_delay_alu instid0(VALU_DEP_2)
	v_cmpx_ne_u16_e32 0, v18
	s_cbranch_execz .LBB4_1925
; %bb.1918:                             ;   in Loop: Header=BB4_1629 Depth=2
	v_bfrev_b32_e32 v17, 1
	s_mov_b32 s28, exec_lo
	v_cmpx_ne_u16_e32 0x80, v18
	s_cbranch_execz .LBB4_1924
; %bb.1919:                             ;   in Loop: Header=BB4_1629 Depth=2
	v_and_b32_e32 v19, 0x7f, v61
	v_mov_b32_e32 v17, 0x7f800001
	s_mov_b32 s29, exec_lo
	s_delay_alu instid0(VALU_DEP_2)
	v_cmpx_ne_u32_e32 0x7f, v19
	s_cbranch_execz .LBB4_1923
; %bb.1920:                             ;   in Loop: Header=BB4_1629 Depth=2
	v_dual_lshrrev_b32 v17, 3, v19 :: v_dual_bitop2_b32 v64, 7, v18 bitop3:0x40
	s_mov_b32 s40, exec_lo
	v_cmpx_gt_u32_e32 8, v19
; %bb.1921:                             ;   in Loop: Header=BB4_1629 Depth=2
	s_delay_alu instid0(VALU_DEP_2) | instskip(NEXT) | instid1(VALU_DEP_1)
	v_clz_i32_u32_e32 v17, v64
	v_min_u32_e32 v17, 32, v17
	s_delay_alu instid0(VALU_DEP_1) | instskip(NEXT) | instid1(VALU_DEP_1)
	v_subrev_nc_u32_e32 v18, 28, v17
	v_lshlrev_b64_e32 v[18:19], v18, v[64:65]
	s_delay_alu instid0(VALU_DEP_1)
	v_dual_sub_nc_u32 v17, 29, v17 :: v_dual_bitop2_b32 v64, 7, v18 bitop3:0x40
; %bb.1922:                             ;   in Loop: Header=BB4_1629 Depth=2
	s_or_b32 exec_lo, exec_lo, s40
	s_delay_alu instid0(VALU_DEP_1) | instskip(NEXT) | instid1(VALU_DEP_2)
	v_dual_lshlrev_b32 v18, 24, v61 :: v_dual_lshlrev_b32 v19, 20, v64
	v_lshl_add_u32 v17, v17, 23, 0x3c000000
	s_delay_alu instid0(VALU_DEP_2) | instskip(NEXT) | instid1(VALU_DEP_1)
	v_and_b32_e32 v18, 0x80000000, v18
	v_or3_b32 v17, v19, v18, v17
.LBB4_1923:                             ;   in Loop: Header=BB4_1629 Depth=2
	s_or_b32 exec_lo, exec_lo, s29
.LBB4_1924:                             ;   in Loop: Header=BB4_1629 Depth=2
	s_delay_alu instid0(SALU_CYCLE_1)
	s_or_b32 exec_lo, exec_lo, s28
.LBB4_1925:                             ;   in Loop: Header=BB4_1629 Depth=2
	s_delay_alu instid0(SALU_CYCLE_1) | instskip(SKIP_3) | instid1(VALU_DEP_1)
	s_or_b32 exec_lo, exec_lo, s10
	s_wait_loadcnt_dscnt 0x707
	v_and_b32_e32 v18, 0xff, v59
	s_mov_b32 s10, exec_lo
	v_cmpx_ne_u16_e32 0, v18
	s_cbranch_execz .LBB4_1933
; %bb.1926:                             ;   in Loop: Header=BB4_1629 Depth=2
	v_bfrev_b32_e32 v16, 1
	s_mov_b32 s28, exec_lo
	v_cmpx_ne_u16_e32 0x80, v18
	s_cbranch_execz .LBB4_1932
; %bb.1927:                             ;   in Loop: Header=BB4_1629 Depth=2
	v_and_b32_e32 v19, 0x7f, v59
	v_mov_b32_e32 v16, 0x7f800001
	s_mov_b32 s29, exec_lo
	s_delay_alu instid0(VALU_DEP_2)
	v_cmpx_ne_u32_e32 0x7f, v19
	s_cbranch_execz .LBB4_1931
; %bb.1928:                             ;   in Loop: Header=BB4_1629 Depth=2
	v_dual_lshrrev_b32 v16, 3, v19 :: v_dual_bitop2_b32 v64, 7, v18 bitop3:0x40
	s_mov_b32 s40, exec_lo
	v_cmpx_gt_u32_e32 8, v19
; %bb.1929:                             ;   in Loop: Header=BB4_1629 Depth=2
	s_delay_alu instid0(VALU_DEP_2) | instskip(NEXT) | instid1(VALU_DEP_1)
	v_clz_i32_u32_e32 v16, v64
	v_min_u32_e32 v16, 32, v16
	s_delay_alu instid0(VALU_DEP_1) | instskip(NEXT) | instid1(VALU_DEP_1)
	v_subrev_nc_u32_e32 v18, 28, v16
	v_lshlrev_b64_e32 v[18:19], v18, v[64:65]
	s_delay_alu instid0(VALU_DEP_1)
	v_dual_sub_nc_u32 v16, 29, v16 :: v_dual_bitop2_b32 v64, 7, v18 bitop3:0x40
; %bb.1930:                             ;   in Loop: Header=BB4_1629 Depth=2
	s_or_b32 exec_lo, exec_lo, s40
	s_delay_alu instid0(VALU_DEP_1) | instskip(NEXT) | instid1(VALU_DEP_2)
	v_dual_lshlrev_b32 v18, 24, v59 :: v_dual_lshlrev_b32 v19, 20, v64
	v_lshl_add_u32 v16, v16, 23, 0x3c000000
	s_delay_alu instid0(VALU_DEP_2) | instskip(NEXT) | instid1(VALU_DEP_1)
	v_and_b32_e32 v18, 0x80000000, v18
	v_or3_b32 v16, v19, v18, v16
.LBB4_1931:                             ;   in Loop: Header=BB4_1629 Depth=2
	s_or_b32 exec_lo, exec_lo, s29
.LBB4_1932:                             ;   in Loop: Header=BB4_1629 Depth=2
	s_delay_alu instid0(SALU_CYCLE_1)
	s_or_b32 exec_lo, exec_lo, s28
.LBB4_1933:                             ;   in Loop: Header=BB4_1629 Depth=2
	s_delay_alu instid0(SALU_CYCLE_1) | instskip(NEXT) | instid1(VALU_DEP_1)
	s_or_b32 exec_lo, exec_lo, s10
	v_mul_f32_e32 v16, v17, v16
                                        ; implicit-def: $vgpr59
	s_mov_b32 s10, exec_lo
	s_delay_alu instid0(VALU_DEP_1) | instskip(SKIP_1) | instid1(VALU_DEP_2)
	v_and_b32_e32 v64, 0x7f800000, v16
	v_lshrrev_b32_e32 v17, 24, v16
	v_cmpx_ne_u64_e32 0x7f800000, v[64:65]
	s_xor_b32 s28, exec_lo, s10
	s_cbranch_execz .LBB4_1951
; %bb.1934:                             ;   in Loop: Header=BB4_1629 Depth=2
	v_and_b32_e32 v64, 0x7fffffff, v16
	v_and_b32_e32 v61, 0x80, v17
                                        ; implicit-def: $vgpr59
	s_mov_b32 s10, exec_lo
	s_delay_alu instid0(VALU_DEP_2)
	v_cmpx_gt_u64_e32 0x43e00001, v[64:65]
	s_xor_b32 s29, exec_lo, s10
	s_cbranch_execz .LBB4_1948
; %bb.1935:                             ;   in Loop: Header=BB4_1629 Depth=2
	v_mov_b32_e32 v59, 0
	s_mov_b32 s40, exec_lo
	v_cmpx_ne_u32_e32 0, v16
	s_cbranch_execz .LBB4_1947
; %bb.1936:                             ;   in Loop: Header=BB4_1629 Depth=2
	v_bfe_u32 v59, v16, 23, 8
	v_and_b32_e32 v18, 0x7fffff, v16
	s_delay_alu instid0(VALU_DEP_2) | instskip(NEXT) | instid1(VALU_DEP_2)
	v_cmp_gt_u32_e32 vcc_lo, 0x7a, v59
	v_or_b32_e32 v19, 0x800000, v18
	v_sub_nc_u32_e32 v17, 0x79, v59
	s_delay_alu instid0(VALU_DEP_1) | instskip(SKIP_1) | instid1(VALU_DEP_2)
	v_cndmask_b32_e32 v17, 0, v17, vcc_lo
	v_cmp_eq_u32_e32 vcc_lo, 0, v59
	v_cndmask_b32_e64 v62, v17, 0x78, vcc_lo
	v_cndmask_b32_e32 v64, v19, v18, vcc_lo
	s_delay_alu instid0(VALU_DEP_2) | instskip(NEXT) | instid1(VALU_DEP_1)
	v_dual_add_nc_u32 v16, 20, v62 :: v_dual_add_nc_u32 v63, 19, v62
	v_lshlrev_b64_e64 v[16:17], v16, -1
	s_delay_alu instid0(VALU_DEP_2) | instskip(NEXT) | instid1(VALU_DEP_2)
	v_lshlrev_b64_e64 v[18:19], v63, 1
	v_bfi_b32 v73, v17, 0, 0
	s_delay_alu instid0(VALU_DEP_3) | instskip(SKIP_1) | instid1(VALU_DEP_2)
	v_bfi_b32 v72, v16, 0, v64
	v_lshrrev_b64 v[16:17], v62, v[64:65]
	v_cmp_eq_u64_e64 s10, v[72:73], v[18:19]
	s_delay_alu instid0(VALU_DEP_2)
	v_mov_b64_e32 v[18:19], v[16:17]
	s_and_saveexec_b32 s41, s10
; %bb.1937:                             ;   in Loop: Header=BB4_1629 Depth=2
	v_bfe_u32 v64, v16, 20, 1
	s_delay_alu instid0(VALU_DEP_1) | instskip(NEXT) | instid1(VALU_DEP_1)
	v_add_nc_u64_e32 v[18:19], v[16:17], v[64:65]
	v_add_nc_u64_e32 v[18:19], -1, v[18:19]
; %bb.1938:                             ;   in Loop: Header=BB4_1629 Depth=2
	s_or_b32 exec_lo, exec_lo, s41
	v_add_nc_u32_e32 v17, 0xffffff81, v59
	v_lshrrev_b32_e32 v19, 23, v16
	s_mov_b32 s10, exec_lo
	s_delay_alu instid0(VALU_DEP_2) | instskip(NEXT) | instid1(VALU_DEP_1)
	v_cndmask_b32_e64 v17, v17, 0xffffff82, vcc_lo
	v_add3_u32 v19, v62, v17, v19
	v_and_b32_e32 v17, 0xfffff, v18
                                        ; implicit-def: $vgpr18
	s_delay_alu instid0(VALU_DEP_1) | instskip(NEXT) | instid1(VALU_DEP_1)
	v_dual_add_nc_u32 v59, 6, v19 :: v_dual_add_nc_u32 v64, v17, v16
                                        ; implicit-def: $vgpr16_vgpr17
	v_cmpx_ne_u32_e32 0, v59
	s_xor_b32 s10, exec_lo, s10
; %bb.1939:                             ;   in Loop: Header=BB4_1629 Depth=2
	s_delay_alu instid0(VALU_DEP_2) | instskip(SKIP_1) | instid1(VALU_DEP_1)
	v_cmp_lt_u64_e32 vcc_lo, 0xffffff, v[64:65]
	v_add_nc_u32_e32 v16, 7, v19
	v_cndmask_b32_e32 v18, v59, v16, vcc_lo
	v_cndmask_b32_e64 v16, 0, 1, vcc_lo
	s_delay_alu instid0(VALU_DEP_1)
	v_lshrrev_b64 v[16:17], v16, v[64:65]
; %bb.1940:                             ;   in Loop: Header=BB4_1629 Depth=2
	s_and_not1_saveexec_b32 s10, s10
; %bb.1941:                             ;   in Loop: Header=BB4_1629 Depth=2
	v_mov_b64_e32 v[16:17], v[64:65]
	v_bfe_u32 v18, v64, 23, 1
; %bb.1942:                             ;   in Loop: Header=BB4_1629 Depth=2
	s_or_b32 exec_lo, exec_lo, s10
	s_delay_alu instid0(VALU_DEP_2) | instskip(NEXT) | instid1(VALU_DEP_2)
	v_lshrrev_b64 v[16:17], 20, v[16:17]
	v_cmp_gt_i32_e32 vcc_lo, 16, v18
	v_cmp_ne_u32_e64 s10, 0, v18
                                        ; implicit-def: $vgpr59
	s_delay_alu instid0(VALU_DEP_3) | instskip(NEXT) | instid1(VALU_DEP_1)
	v_dual_cndmask_b32 v17, 0, v17 :: v_dual_cndmask_b32 v16, 7, v16
	v_cmp_ne_u64_e32 vcc_lo, 0, v[16:17]
	s_or_b32 s10, s10, vcc_lo
	s_delay_alu instid0(SALU_CYCLE_1) | instskip(NEXT) | instid1(SALU_CYCLE_1)
	s_and_saveexec_b32 s41, s10
	s_xor_b32 s10, exec_lo, s41
; %bb.1943:                             ;   in Loop: Header=BB4_1629 Depth=2
	v_min_i32_e32 v17, 15, v18
	s_delay_alu instid0(VALU_DEP_1) | instskip(NEXT) | instid1(VALU_DEP_1)
	v_lshl_or_b32 v17, v17, 3, v61
                                        ; implicit-def: $vgpr61
	v_and_or_b32 v59, v16, 7, v17
; %bb.1944:                             ;   in Loop: Header=BB4_1629 Depth=2
	s_and_not1_saveexec_b32 s10, s10
; %bb.1945:                             ;   in Loop: Header=BB4_1629 Depth=2
	v_mov_b32_e32 v59, v61
; %bb.1946:                             ;   in Loop: Header=BB4_1629 Depth=2
	s_or_b32 exec_lo, exec_lo, s10
.LBB4_1947:                             ;   in Loop: Header=BB4_1629 Depth=2
	s_delay_alu instid0(SALU_CYCLE_1)
	s_or_b32 exec_lo, exec_lo, s40
                                        ; implicit-def: $vgpr61
.LBB4_1948:                             ;   in Loop: Header=BB4_1629 Depth=2
	s_and_not1_saveexec_b32 s10, s29
; %bb.1949:                             ;   in Loop: Header=BB4_1629 Depth=2
	v_or_b32_e32 v59, 0x7e, v61
; %bb.1950:                             ;   in Loop: Header=BB4_1629 Depth=2
	s_or_b32 exec_lo, exec_lo, s10
                                        ; implicit-def: $vgpr17
.LBB4_1951:                             ;   in Loop: Header=BB4_1629 Depth=2
	s_and_not1_saveexec_b32 s10, s28
; %bb.1952:                             ;   in Loop: Header=BB4_1629 Depth=2
	v_or_b32_e32 v59, 0x7f, v17
; %bb.1953:                             ;   in Loop: Header=BB4_1629 Depth=2
	s_or_b32 exec_lo, exec_lo, s10
	v_and_b32_e32 v18, 0xff, v58
	v_dual_mov_b32 v16, 0 :: v_dual_mov_b32 v17, 0
	s_mov_b32 s10, exec_lo
	s_delay_alu instid0(VALU_DEP_2)
	v_cmpx_ne_u16_e32 0, v18
	s_cbranch_execz .LBB4_1961
; %bb.1954:                             ;   in Loop: Header=BB4_1629 Depth=2
	v_bfrev_b32_e32 v17, 1
	s_mov_b32 s28, exec_lo
	v_cmpx_ne_u16_e32 0x80, v18
	s_cbranch_execz .LBB4_1960
; %bb.1955:                             ;   in Loop: Header=BB4_1629 Depth=2
	v_and_b32_e32 v19, 0x7f, v58
	v_mov_b32_e32 v17, 0x7f800001
	s_mov_b32 s29, exec_lo
	s_delay_alu instid0(VALU_DEP_2)
	v_cmpx_ne_u32_e32 0x7f, v19
	s_cbranch_execz .LBB4_1959
; %bb.1956:                             ;   in Loop: Header=BB4_1629 Depth=2
	v_dual_lshrrev_b32 v17, 3, v19 :: v_dual_bitop2_b32 v64, 7, v18 bitop3:0x40
	s_mov_b32 s40, exec_lo
	v_cmpx_gt_u32_e32 8, v19
; %bb.1957:                             ;   in Loop: Header=BB4_1629 Depth=2
	s_delay_alu instid0(VALU_DEP_2) | instskip(NEXT) | instid1(VALU_DEP_1)
	v_clz_i32_u32_e32 v17, v64
	v_min_u32_e32 v17, 32, v17
	s_delay_alu instid0(VALU_DEP_1) | instskip(NEXT) | instid1(VALU_DEP_1)
	v_subrev_nc_u32_e32 v18, 28, v17
	v_lshlrev_b64_e32 v[18:19], v18, v[64:65]
	s_delay_alu instid0(VALU_DEP_1)
	v_dual_sub_nc_u32 v17, 29, v17 :: v_dual_bitop2_b32 v64, 7, v18 bitop3:0x40
; %bb.1958:                             ;   in Loop: Header=BB4_1629 Depth=2
	s_or_b32 exec_lo, exec_lo, s40
	s_delay_alu instid0(VALU_DEP_1) | instskip(NEXT) | instid1(VALU_DEP_2)
	v_dual_lshlrev_b32 v18, 24, v58 :: v_dual_lshlrev_b32 v19, 20, v64
	v_lshl_add_u32 v17, v17, 23, 0x3c000000
	s_delay_alu instid0(VALU_DEP_2) | instskip(NEXT) | instid1(VALU_DEP_1)
	v_and_b32_e32 v18, 0x80000000, v18
	v_or3_b32 v17, v19, v18, v17
.LBB4_1959:                             ;   in Loop: Header=BB4_1629 Depth=2
	s_or_b32 exec_lo, exec_lo, s29
.LBB4_1960:                             ;   in Loop: Header=BB4_1629 Depth=2
	s_delay_alu instid0(SALU_CYCLE_1)
	s_or_b32 exec_lo, exec_lo, s28
.LBB4_1961:                             ;   in Loop: Header=BB4_1629 Depth=2
	s_delay_alu instid0(SALU_CYCLE_1) | instskip(SKIP_3) | instid1(VALU_DEP_1)
	s_or_b32 exec_lo, exec_lo, s10
	s_wait_loadcnt_dscnt 0x606
	v_and_b32_e32 v18, 0xff, v56
	s_mov_b32 s10, exec_lo
	v_cmpx_ne_u16_e32 0, v18
	s_cbranch_execz .LBB4_1969
; %bb.1962:                             ;   in Loop: Header=BB4_1629 Depth=2
	v_bfrev_b32_e32 v16, 1
	s_mov_b32 s28, exec_lo
	v_cmpx_ne_u16_e32 0x80, v18
	s_cbranch_execz .LBB4_1968
; %bb.1963:                             ;   in Loop: Header=BB4_1629 Depth=2
	v_and_b32_e32 v19, 0x7f, v56
	v_mov_b32_e32 v16, 0x7f800001
	s_mov_b32 s29, exec_lo
	s_delay_alu instid0(VALU_DEP_2)
	v_cmpx_ne_u32_e32 0x7f, v19
	s_cbranch_execz .LBB4_1967
; %bb.1964:                             ;   in Loop: Header=BB4_1629 Depth=2
	v_dual_lshrrev_b32 v16, 3, v19 :: v_dual_bitop2_b32 v64, 7, v18 bitop3:0x40
	s_mov_b32 s40, exec_lo
	v_cmpx_gt_u32_e32 8, v19
; %bb.1965:                             ;   in Loop: Header=BB4_1629 Depth=2
	s_delay_alu instid0(VALU_DEP_2) | instskip(NEXT) | instid1(VALU_DEP_1)
	v_clz_i32_u32_e32 v16, v64
	v_min_u32_e32 v16, 32, v16
	s_delay_alu instid0(VALU_DEP_1) | instskip(NEXT) | instid1(VALU_DEP_1)
	v_subrev_nc_u32_e32 v18, 28, v16
	v_lshlrev_b64_e32 v[18:19], v18, v[64:65]
	s_delay_alu instid0(VALU_DEP_1)
	v_dual_sub_nc_u32 v16, 29, v16 :: v_dual_bitop2_b32 v64, 7, v18 bitop3:0x40
; %bb.1966:                             ;   in Loop: Header=BB4_1629 Depth=2
	s_or_b32 exec_lo, exec_lo, s40
	v_lshlrev_b32_e32 v18, 24, v56
	s_delay_alu instid0(VALU_DEP_2) | instskip(NEXT) | instid1(VALU_DEP_3)
	v_lshlrev_b32_e32 v19, 20, v64
	v_lshl_add_u32 v16, v16, 23, 0x3c000000
	s_delay_alu instid0(VALU_DEP_3) | instskip(NEXT) | instid1(VALU_DEP_1)
	v_and_b32_e32 v18, 0x80000000, v18
	v_or3_b32 v16, v19, v18, v16
.LBB4_1967:                             ;   in Loop: Header=BB4_1629 Depth=2
	s_or_b32 exec_lo, exec_lo, s29
.LBB4_1968:                             ;   in Loop: Header=BB4_1629 Depth=2
	s_delay_alu instid0(SALU_CYCLE_1)
	s_or_b32 exec_lo, exec_lo, s28
.LBB4_1969:                             ;   in Loop: Header=BB4_1629 Depth=2
	s_delay_alu instid0(SALU_CYCLE_1) | instskip(NEXT) | instid1(VALU_DEP_1)
	s_or_b32 exec_lo, exec_lo, s10
	v_mul_f32_e32 v16, v17, v16
                                        ; implicit-def: $vgpr56
	s_mov_b32 s10, exec_lo
	s_delay_alu instid0(VALU_DEP_1) | instskip(SKIP_1) | instid1(VALU_DEP_2)
	v_and_b32_e32 v64, 0x7f800000, v16
	v_lshrrev_b32_e32 v17, 24, v16
	v_cmpx_ne_u64_e32 0x7f800000, v[64:65]
	s_xor_b32 s28, exec_lo, s10
	s_cbranch_execz .LBB4_1987
; %bb.1970:                             ;   in Loop: Header=BB4_1629 Depth=2
	v_and_b32_e32 v64, 0x7fffffff, v16
	v_and_b32_e32 v58, 0x80, v17
                                        ; implicit-def: $vgpr56
	s_mov_b32 s10, exec_lo
	s_delay_alu instid0(VALU_DEP_2)
	v_cmpx_gt_u64_e32 0x43e00001, v[64:65]
	s_xor_b32 s29, exec_lo, s10
	s_cbranch_execz .LBB4_1984
; %bb.1971:                             ;   in Loop: Header=BB4_1629 Depth=2
	v_mov_b32_e32 v56, 0
	s_mov_b32 s40, exec_lo
	v_cmpx_ne_u32_e32 0, v16
	s_cbranch_execz .LBB4_1983
; %bb.1972:                             ;   in Loop: Header=BB4_1629 Depth=2
	v_bfe_u32 v56, v16, 23, 8
	v_and_b32_e32 v18, 0x7fffff, v16
	s_delay_alu instid0(VALU_DEP_2) | instskip(NEXT) | instid1(VALU_DEP_2)
	v_cmp_gt_u32_e32 vcc_lo, 0x7a, v56
	v_or_b32_e32 v19, 0x800000, v18
	v_sub_nc_u32_e32 v17, 0x79, v56
	s_delay_alu instid0(VALU_DEP_1) | instskip(SKIP_1) | instid1(VALU_DEP_2)
	v_cndmask_b32_e32 v17, 0, v17, vcc_lo
	v_cmp_eq_u32_e32 vcc_lo, 0, v56
	v_cndmask_b32_e64 v61, v17, 0x78, vcc_lo
	s_delay_alu instid0(VALU_DEP_1) | instskip(SKIP_1) | instid1(VALU_DEP_2)
	v_dual_cndmask_b32 v64, v19, v18, vcc_lo :: v_dual_add_nc_u32 v16, 20, v61
	v_add_nc_u32_e32 v62, 19, v61
	v_lshlrev_b64_e64 v[16:17], v16, -1
	s_delay_alu instid0(VALU_DEP_2) | instskip(NEXT) | instid1(VALU_DEP_2)
	v_lshlrev_b64_e64 v[18:19], v62, 1
	v_bfi_b32 v63, v17, 0, 0
	s_delay_alu instid0(VALU_DEP_3) | instskip(SKIP_1) | instid1(VALU_DEP_2)
	v_bfi_b32 v62, v16, 0, v64
	v_lshrrev_b64 v[16:17], v61, v[64:65]
	v_cmp_eq_u64_e64 s10, v[62:63], v[18:19]
	s_delay_alu instid0(VALU_DEP_2)
	v_mov_b64_e32 v[18:19], v[16:17]
	s_and_saveexec_b32 s41, s10
; %bb.1973:                             ;   in Loop: Header=BB4_1629 Depth=2
	v_bfe_u32 v64, v16, 20, 1
	s_delay_alu instid0(VALU_DEP_1) | instskip(NEXT) | instid1(VALU_DEP_1)
	v_add_nc_u64_e32 v[18:19], v[16:17], v[64:65]
	v_add_nc_u64_e32 v[18:19], -1, v[18:19]
; %bb.1974:                             ;   in Loop: Header=BB4_1629 Depth=2
	s_or_b32 exec_lo, exec_lo, s41
	v_add_nc_u32_e32 v17, 0xffffff81, v56
	v_lshrrev_b32_e32 v19, 23, v16
	s_mov_b32 s10, exec_lo
	s_delay_alu instid0(VALU_DEP_2) | instskip(NEXT) | instid1(VALU_DEP_1)
	v_cndmask_b32_e64 v17, v17, 0xffffff82, vcc_lo
	v_add3_u32 v19, v61, v17, v19
	v_and_b32_e32 v17, 0xfffff, v18
                                        ; implicit-def: $vgpr18
	s_delay_alu instid0(VALU_DEP_1) | instskip(NEXT) | instid1(VALU_DEP_1)
	v_dual_add_nc_u32 v56, 6, v19 :: v_dual_add_nc_u32 v64, v17, v16
                                        ; implicit-def: $vgpr16_vgpr17
	v_cmpx_ne_u32_e32 0, v56
	s_xor_b32 s10, exec_lo, s10
; %bb.1975:                             ;   in Loop: Header=BB4_1629 Depth=2
	s_delay_alu instid0(VALU_DEP_2) | instskip(SKIP_1) | instid1(VALU_DEP_1)
	v_cmp_lt_u64_e32 vcc_lo, 0xffffff, v[64:65]
	v_add_nc_u32_e32 v16, 7, v19
	v_cndmask_b32_e32 v18, v56, v16, vcc_lo
	v_cndmask_b32_e64 v16, 0, 1, vcc_lo
	s_delay_alu instid0(VALU_DEP_1)
	v_lshrrev_b64 v[16:17], v16, v[64:65]
; %bb.1976:                             ;   in Loop: Header=BB4_1629 Depth=2
	s_and_not1_saveexec_b32 s10, s10
; %bb.1977:                             ;   in Loop: Header=BB4_1629 Depth=2
	v_mov_b64_e32 v[16:17], v[64:65]
	v_bfe_u32 v18, v64, 23, 1
; %bb.1978:                             ;   in Loop: Header=BB4_1629 Depth=2
	s_or_b32 exec_lo, exec_lo, s10
	s_delay_alu instid0(VALU_DEP_2) | instskip(NEXT) | instid1(VALU_DEP_2)
	v_lshrrev_b64 v[16:17], 20, v[16:17]
	v_cmp_gt_i32_e32 vcc_lo, 16, v18
	v_cmp_ne_u32_e64 s10, 0, v18
                                        ; implicit-def: $vgpr56
	s_delay_alu instid0(VALU_DEP_3) | instskip(NEXT) | instid1(VALU_DEP_1)
	v_dual_cndmask_b32 v17, 0, v17 :: v_dual_cndmask_b32 v16, 7, v16
	v_cmp_ne_u64_e32 vcc_lo, 0, v[16:17]
	s_or_b32 s10, s10, vcc_lo
	s_delay_alu instid0(SALU_CYCLE_1) | instskip(NEXT) | instid1(SALU_CYCLE_1)
	s_and_saveexec_b32 s41, s10
	s_xor_b32 s10, exec_lo, s41
; %bb.1979:                             ;   in Loop: Header=BB4_1629 Depth=2
	v_min_i32_e32 v17, 15, v18
	s_delay_alu instid0(VALU_DEP_1) | instskip(NEXT) | instid1(VALU_DEP_1)
	v_lshl_or_b32 v17, v17, 3, v58
                                        ; implicit-def: $vgpr58
	v_and_or_b32 v56, v16, 7, v17
; %bb.1980:                             ;   in Loop: Header=BB4_1629 Depth=2
	s_and_not1_saveexec_b32 s10, s10
; %bb.1981:                             ;   in Loop: Header=BB4_1629 Depth=2
	v_mov_b32_e32 v56, v58
; %bb.1982:                             ;   in Loop: Header=BB4_1629 Depth=2
	s_or_b32 exec_lo, exec_lo, s10
.LBB4_1983:                             ;   in Loop: Header=BB4_1629 Depth=2
	s_delay_alu instid0(SALU_CYCLE_1)
	s_or_b32 exec_lo, exec_lo, s40
                                        ; implicit-def: $vgpr58
.LBB4_1984:                             ;   in Loop: Header=BB4_1629 Depth=2
	s_and_not1_saveexec_b32 s10, s29
; %bb.1985:                             ;   in Loop: Header=BB4_1629 Depth=2
	v_or_b32_e32 v56, 0x7e, v58
; %bb.1986:                             ;   in Loop: Header=BB4_1629 Depth=2
	s_or_b32 exec_lo, exec_lo, s10
                                        ; implicit-def: $vgpr17
.LBB4_1987:                             ;   in Loop: Header=BB4_1629 Depth=2
	s_and_not1_saveexec_b32 s10, s28
; %bb.1988:                             ;   in Loop: Header=BB4_1629 Depth=2
	v_or_b32_e32 v56, 0x7f, v17
; %bb.1989:                             ;   in Loop: Header=BB4_1629 Depth=2
	s_or_b32 exec_lo, exec_lo, s10
	v_and_b32_e32 v18, 0xff, v47
	v_dual_mov_b32 v16, 0 :: v_dual_mov_b32 v17, 0
	s_mov_b32 s10, exec_lo
	s_delay_alu instid0(VALU_DEP_2)
	v_cmpx_ne_u16_e32 0, v18
	s_cbranch_execz .LBB4_1997
; %bb.1990:                             ;   in Loop: Header=BB4_1629 Depth=2
	v_bfrev_b32_e32 v17, 1
	s_mov_b32 s28, exec_lo
	v_cmpx_ne_u16_e32 0x80, v18
	s_cbranch_execz .LBB4_1996
; %bb.1991:                             ;   in Loop: Header=BB4_1629 Depth=2
	v_and_b32_e32 v19, 0x7f, v47
	v_mov_b32_e32 v17, 0x7f800001
	s_mov_b32 s29, exec_lo
	s_delay_alu instid0(VALU_DEP_2)
	v_cmpx_ne_u32_e32 0x7f, v19
	s_cbranch_execz .LBB4_1995
; %bb.1992:                             ;   in Loop: Header=BB4_1629 Depth=2
	v_dual_lshrrev_b32 v17, 3, v19 :: v_dual_bitop2_b32 v64, 7, v18 bitop3:0x40
	s_mov_b32 s40, exec_lo
	v_cmpx_gt_u32_e32 8, v19
; %bb.1993:                             ;   in Loop: Header=BB4_1629 Depth=2
	s_delay_alu instid0(VALU_DEP_2) | instskip(NEXT) | instid1(VALU_DEP_1)
	v_clz_i32_u32_e32 v17, v64
	v_min_u32_e32 v17, 32, v17
	s_delay_alu instid0(VALU_DEP_1) | instskip(NEXT) | instid1(VALU_DEP_1)
	v_subrev_nc_u32_e32 v18, 28, v17
	v_lshlrev_b64_e32 v[18:19], v18, v[64:65]
	s_delay_alu instid0(VALU_DEP_1)
	v_dual_sub_nc_u32 v17, 29, v17 :: v_dual_bitop2_b32 v64, 7, v18 bitop3:0x40
; %bb.1994:                             ;   in Loop: Header=BB4_1629 Depth=2
	s_or_b32 exec_lo, exec_lo, s40
	s_delay_alu instid0(VALU_DEP_1) | instskip(NEXT) | instid1(VALU_DEP_2)
	v_dual_lshlrev_b32 v18, 24, v47 :: v_dual_lshlrev_b32 v19, 20, v64
	v_lshl_add_u32 v17, v17, 23, 0x3c000000
	s_delay_alu instid0(VALU_DEP_2) | instskip(NEXT) | instid1(VALU_DEP_1)
	v_and_b32_e32 v18, 0x80000000, v18
	v_or3_b32 v17, v19, v18, v17
.LBB4_1995:                             ;   in Loop: Header=BB4_1629 Depth=2
	s_or_b32 exec_lo, exec_lo, s29
.LBB4_1996:                             ;   in Loop: Header=BB4_1629 Depth=2
	s_delay_alu instid0(SALU_CYCLE_1)
	s_or_b32 exec_lo, exec_lo, s28
.LBB4_1997:                             ;   in Loop: Header=BB4_1629 Depth=2
	s_delay_alu instid0(SALU_CYCLE_1) | instskip(SKIP_3) | instid1(VALU_DEP_1)
	s_or_b32 exec_lo, exec_lo, s10
	s_wait_loadcnt_dscnt 0x505
	v_and_b32_e32 v18, 0xff, v119
	s_mov_b32 s10, exec_lo
	v_cmpx_ne_u16_e32 0, v18
	s_cbranch_execz .LBB4_2005
; %bb.1998:                             ;   in Loop: Header=BB4_1629 Depth=2
	v_bfrev_b32_e32 v16, 1
	s_mov_b32 s28, exec_lo
	v_cmpx_ne_u16_e32 0x80, v18
	s_cbranch_execz .LBB4_2004
; %bb.1999:                             ;   in Loop: Header=BB4_1629 Depth=2
	v_and_b32_e32 v19, 0x7f, v119
	v_mov_b32_e32 v16, 0x7f800001
	s_mov_b32 s29, exec_lo
	s_delay_alu instid0(VALU_DEP_2)
	v_cmpx_ne_u32_e32 0x7f, v19
	s_cbranch_execz .LBB4_2003
; %bb.2000:                             ;   in Loop: Header=BB4_1629 Depth=2
	v_dual_lshrrev_b32 v16, 3, v19 :: v_dual_bitop2_b32 v64, 7, v18 bitop3:0x40
	s_mov_b32 s40, exec_lo
	v_cmpx_gt_u32_e32 8, v19
; %bb.2001:                             ;   in Loop: Header=BB4_1629 Depth=2
	s_delay_alu instid0(VALU_DEP_2) | instskip(NEXT) | instid1(VALU_DEP_1)
	v_clz_i32_u32_e32 v16, v64
	v_min_u32_e32 v16, 32, v16
	s_delay_alu instid0(VALU_DEP_1) | instskip(NEXT) | instid1(VALU_DEP_1)
	v_subrev_nc_u32_e32 v18, 28, v16
	v_lshlrev_b64_e32 v[18:19], v18, v[64:65]
	s_delay_alu instid0(VALU_DEP_1)
	v_dual_sub_nc_u32 v16, 29, v16 :: v_dual_bitop2_b32 v64, 7, v18 bitop3:0x40
; %bb.2002:                             ;   in Loop: Header=BB4_1629 Depth=2
	s_or_b32 exec_lo, exec_lo, s40
	s_delay_alu instid0(VALU_DEP_1) | instskip(NEXT) | instid1(VALU_DEP_2)
	v_dual_lshlrev_b32 v18, 24, v119 :: v_dual_lshlrev_b32 v19, 20, v64
	v_lshl_add_u32 v16, v16, 23, 0x3c000000
	s_delay_alu instid0(VALU_DEP_2) | instskip(NEXT) | instid1(VALU_DEP_1)
	v_and_b32_e32 v18, 0x80000000, v18
	v_or3_b32 v16, v19, v18, v16
.LBB4_2003:                             ;   in Loop: Header=BB4_1629 Depth=2
	s_or_b32 exec_lo, exec_lo, s29
.LBB4_2004:                             ;   in Loop: Header=BB4_1629 Depth=2
	s_delay_alu instid0(SALU_CYCLE_1)
	s_or_b32 exec_lo, exec_lo, s28
.LBB4_2005:                             ;   in Loop: Header=BB4_1629 Depth=2
	s_delay_alu instid0(SALU_CYCLE_1) | instskip(NEXT) | instid1(VALU_DEP_1)
	s_or_b32 exec_lo, exec_lo, s10
	v_mul_f32_e32 v16, v17, v16
                                        ; implicit-def: $vgpr119
	s_mov_b32 s10, exec_lo
	s_delay_alu instid0(VALU_DEP_1) | instskip(SKIP_1) | instid1(VALU_DEP_2)
	v_and_b32_e32 v64, 0x7f800000, v16
	v_lshrrev_b32_e32 v17, 24, v16
	v_cmpx_ne_u64_e32 0x7f800000, v[64:65]
	s_xor_b32 s28, exec_lo, s10
	s_cbranch_execz .LBB4_2023
; %bb.2006:                             ;   in Loop: Header=BB4_1629 Depth=2
	v_and_b32_e32 v64, 0x7fffffff, v16
	v_and_b32_e32 v47, 0x80, v17
                                        ; implicit-def: $vgpr119
	s_mov_b32 s10, exec_lo
	s_delay_alu instid0(VALU_DEP_2)
	v_cmpx_gt_u64_e32 0x43e00001, v[64:65]
	s_xor_b32 s29, exec_lo, s10
	s_cbranch_execz .LBB4_2020
; %bb.2007:                             ;   in Loop: Header=BB4_1629 Depth=2
	v_mov_b32_e32 v119, 0
	s_mov_b32 s40, exec_lo
	v_cmpx_ne_u32_e32 0, v16
	s_cbranch_execz .LBB4_2019
; %bb.2008:                             ;   in Loop: Header=BB4_1629 Depth=2
	v_bfe_u32 v119, v16, 23, 8
	v_and_b32_e32 v18, 0x7fffff, v16
	s_delay_alu instid0(VALU_DEP_2) | instskip(NEXT) | instid1(VALU_DEP_2)
	v_cmp_gt_u32_e32 vcc_lo, 0x7a, v119
	v_or_b32_e32 v19, 0x800000, v18
	v_sub_nc_u32_e32 v17, 0x79, v119
	s_delay_alu instid0(VALU_DEP_1) | instskip(SKIP_1) | instid1(VALU_DEP_2)
	v_cndmask_b32_e32 v17, 0, v17, vcc_lo
	v_cmp_eq_u32_e32 vcc_lo, 0, v119
	v_cndmask_b32_e64 v58, v17, 0x78, vcc_lo
	v_cndmask_b32_e32 v64, v19, v18, vcc_lo
	s_delay_alu instid0(VALU_DEP_2) | instskip(NEXT) | instid1(VALU_DEP_1)
	v_dual_add_nc_u32 v16, 20, v58 :: v_dual_add_nc_u32 v61, 19, v58
	v_lshlrev_b64_e64 v[16:17], v16, -1
	s_delay_alu instid0(VALU_DEP_2) | instskip(NEXT) | instid1(VALU_DEP_2)
	v_lshlrev_b64_e64 v[18:19], v61, 1
	v_bfi_b32 v63, v17, 0, 0
	s_delay_alu instid0(VALU_DEP_3) | instskip(SKIP_1) | instid1(VALU_DEP_2)
	v_bfi_b32 v62, v16, 0, v64
	v_lshrrev_b64 v[16:17], v58, v[64:65]
	v_cmp_eq_u64_e64 s10, v[62:63], v[18:19]
	s_delay_alu instid0(VALU_DEP_2)
	v_mov_b64_e32 v[18:19], v[16:17]
	s_and_saveexec_b32 s41, s10
; %bb.2009:                             ;   in Loop: Header=BB4_1629 Depth=2
	v_bfe_u32 v64, v16, 20, 1
	s_delay_alu instid0(VALU_DEP_1) | instskip(NEXT) | instid1(VALU_DEP_1)
	v_add_nc_u64_e32 v[18:19], v[16:17], v[64:65]
	v_add_nc_u64_e32 v[18:19], -1, v[18:19]
; %bb.2010:                             ;   in Loop: Header=BB4_1629 Depth=2
	s_or_b32 exec_lo, exec_lo, s41
	v_add_nc_u32_e32 v17, 0xffffff81, v119
	v_lshrrev_b32_e32 v19, 23, v16
	s_mov_b32 s10, exec_lo
	s_delay_alu instid0(VALU_DEP_2) | instskip(NEXT) | instid1(VALU_DEP_1)
	v_cndmask_b32_e64 v17, v17, 0xffffff82, vcc_lo
	v_add3_u32 v19, v58, v17, v19
	v_and_b32_e32 v17, 0xfffff, v18
                                        ; implicit-def: $vgpr18
	s_delay_alu instid0(VALU_DEP_1) | instskip(NEXT) | instid1(VALU_DEP_1)
	v_dual_add_nc_u32 v119, 6, v19 :: v_dual_add_nc_u32 v64, v17, v16
                                        ; implicit-def: $vgpr16_vgpr17
	v_cmpx_ne_u32_e32 0, v119
	s_xor_b32 s10, exec_lo, s10
; %bb.2011:                             ;   in Loop: Header=BB4_1629 Depth=2
	s_delay_alu instid0(VALU_DEP_2) | instskip(SKIP_1) | instid1(VALU_DEP_1)
	v_cmp_lt_u64_e32 vcc_lo, 0xffffff, v[64:65]
	v_add_nc_u32_e32 v16, 7, v19
	v_cndmask_b32_e32 v18, v119, v16, vcc_lo
	v_cndmask_b32_e64 v16, 0, 1, vcc_lo
	s_delay_alu instid0(VALU_DEP_1)
	v_lshrrev_b64 v[16:17], v16, v[64:65]
; %bb.2012:                             ;   in Loop: Header=BB4_1629 Depth=2
	s_and_not1_saveexec_b32 s10, s10
; %bb.2013:                             ;   in Loop: Header=BB4_1629 Depth=2
	v_mov_b64_e32 v[16:17], v[64:65]
	v_bfe_u32 v18, v64, 23, 1
; %bb.2014:                             ;   in Loop: Header=BB4_1629 Depth=2
	s_or_b32 exec_lo, exec_lo, s10
	s_delay_alu instid0(VALU_DEP_2) | instskip(NEXT) | instid1(VALU_DEP_2)
	v_lshrrev_b64 v[16:17], 20, v[16:17]
	v_cmp_gt_i32_e32 vcc_lo, 16, v18
	v_cmp_ne_u32_e64 s10, 0, v18
                                        ; implicit-def: $vgpr119
	s_delay_alu instid0(VALU_DEP_3) | instskip(NEXT) | instid1(VALU_DEP_1)
	v_dual_cndmask_b32 v17, 0, v17 :: v_dual_cndmask_b32 v16, 7, v16
	v_cmp_ne_u64_e32 vcc_lo, 0, v[16:17]
	s_or_b32 s10, s10, vcc_lo
	s_delay_alu instid0(SALU_CYCLE_1) | instskip(NEXT) | instid1(SALU_CYCLE_1)
	s_and_saveexec_b32 s41, s10
	s_xor_b32 s10, exec_lo, s41
; %bb.2015:                             ;   in Loop: Header=BB4_1629 Depth=2
	v_min_i32_e32 v17, 15, v18
	s_delay_alu instid0(VALU_DEP_1) | instskip(NEXT) | instid1(VALU_DEP_1)
	v_lshl_or_b32 v17, v17, 3, v47
                                        ; implicit-def: $vgpr47
	v_and_or_b32 v119, v16, 7, v17
; %bb.2016:                             ;   in Loop: Header=BB4_1629 Depth=2
	s_and_not1_saveexec_b32 s10, s10
; %bb.2017:                             ;   in Loop: Header=BB4_1629 Depth=2
	v_mov_b32_e32 v119, v47
; %bb.2018:                             ;   in Loop: Header=BB4_1629 Depth=2
	s_or_b32 exec_lo, exec_lo, s10
.LBB4_2019:                             ;   in Loop: Header=BB4_1629 Depth=2
	s_delay_alu instid0(SALU_CYCLE_1)
	s_or_b32 exec_lo, exec_lo, s40
                                        ; implicit-def: $vgpr47
.LBB4_2020:                             ;   in Loop: Header=BB4_1629 Depth=2
	s_and_not1_saveexec_b32 s10, s29
; %bb.2021:                             ;   in Loop: Header=BB4_1629 Depth=2
	v_or_b32_e32 v119, 0x7e, v47
; %bb.2022:                             ;   in Loop: Header=BB4_1629 Depth=2
	s_or_b32 exec_lo, exec_lo, s10
                                        ; implicit-def: $vgpr17
.LBB4_2023:                             ;   in Loop: Header=BB4_1629 Depth=2
	s_and_not1_saveexec_b32 s10, s28
; %bb.2024:                             ;   in Loop: Header=BB4_1629 Depth=2
	v_or_b32_e32 v119, 0x7f, v17
; %bb.2025:                             ;   in Loop: Header=BB4_1629 Depth=2
	s_or_b32 exec_lo, exec_lo, s10
	v_and_b32_e32 v18, 0xff, v118
	v_dual_mov_b32 v16, 0 :: v_dual_mov_b32 v17, 0
	s_mov_b32 s10, exec_lo
	s_delay_alu instid0(VALU_DEP_2)
	v_cmpx_ne_u16_e32 0, v18
	s_cbranch_execz .LBB4_2033
; %bb.2026:                             ;   in Loop: Header=BB4_1629 Depth=2
	v_bfrev_b32_e32 v17, 1
	s_mov_b32 s28, exec_lo
	v_cmpx_ne_u16_e32 0x80, v18
	s_cbranch_execz .LBB4_2032
; %bb.2027:                             ;   in Loop: Header=BB4_1629 Depth=2
	v_and_b32_e32 v19, 0x7f, v118
	v_mov_b32_e32 v17, 0x7f800001
	s_mov_b32 s29, exec_lo
	s_delay_alu instid0(VALU_DEP_2)
	v_cmpx_ne_u32_e32 0x7f, v19
	s_cbranch_execz .LBB4_2031
; %bb.2028:                             ;   in Loop: Header=BB4_1629 Depth=2
	v_dual_lshrrev_b32 v17, 3, v19 :: v_dual_bitop2_b32 v64, 7, v18 bitop3:0x40
	s_mov_b32 s40, exec_lo
	v_cmpx_gt_u32_e32 8, v19
; %bb.2029:                             ;   in Loop: Header=BB4_1629 Depth=2
	s_delay_alu instid0(VALU_DEP_2) | instskip(NEXT) | instid1(VALU_DEP_1)
	v_clz_i32_u32_e32 v17, v64
	v_min_u32_e32 v17, 32, v17
	s_delay_alu instid0(VALU_DEP_1) | instskip(NEXT) | instid1(VALU_DEP_1)
	v_subrev_nc_u32_e32 v18, 28, v17
	v_lshlrev_b64_e32 v[18:19], v18, v[64:65]
	s_delay_alu instid0(VALU_DEP_1)
	v_dual_sub_nc_u32 v17, 29, v17 :: v_dual_bitop2_b32 v64, 7, v18 bitop3:0x40
; %bb.2030:                             ;   in Loop: Header=BB4_1629 Depth=2
	s_or_b32 exec_lo, exec_lo, s40
	s_delay_alu instid0(VALU_DEP_1) | instskip(NEXT) | instid1(VALU_DEP_2)
	v_dual_lshlrev_b32 v18, 24, v118 :: v_dual_lshlrev_b32 v19, 20, v64
	v_lshl_add_u32 v17, v17, 23, 0x3c000000
	s_delay_alu instid0(VALU_DEP_2) | instskip(NEXT) | instid1(VALU_DEP_1)
	v_and_b32_e32 v18, 0x80000000, v18
	v_or3_b32 v17, v19, v18, v17
.LBB4_2031:                             ;   in Loop: Header=BB4_1629 Depth=2
	s_or_b32 exec_lo, exec_lo, s29
.LBB4_2032:                             ;   in Loop: Header=BB4_1629 Depth=2
	s_delay_alu instid0(SALU_CYCLE_1)
	s_or_b32 exec_lo, exec_lo, s28
.LBB4_2033:                             ;   in Loop: Header=BB4_1629 Depth=2
	s_delay_alu instid0(SALU_CYCLE_1) | instskip(SKIP_3) | instid1(VALU_DEP_1)
	s_or_b32 exec_lo, exec_lo, s10
	s_wait_loadcnt_dscnt 0x404
	v_and_b32_e32 v18, 0xff, v116
	s_mov_b32 s10, exec_lo
	v_cmpx_ne_u16_e32 0, v18
	s_cbranch_execz .LBB4_2041
; %bb.2034:                             ;   in Loop: Header=BB4_1629 Depth=2
	v_bfrev_b32_e32 v16, 1
	s_mov_b32 s28, exec_lo
	v_cmpx_ne_u16_e32 0x80, v18
	s_cbranch_execz .LBB4_2040
; %bb.2035:                             ;   in Loop: Header=BB4_1629 Depth=2
	v_and_b32_e32 v19, 0x7f, v116
	v_mov_b32_e32 v16, 0x7f800001
	s_mov_b32 s29, exec_lo
	s_delay_alu instid0(VALU_DEP_2)
	v_cmpx_ne_u32_e32 0x7f, v19
	s_cbranch_execz .LBB4_2039
; %bb.2036:                             ;   in Loop: Header=BB4_1629 Depth=2
	v_dual_lshrrev_b32 v16, 3, v19 :: v_dual_bitop2_b32 v64, 7, v18 bitop3:0x40
	s_mov_b32 s40, exec_lo
	v_cmpx_gt_u32_e32 8, v19
; %bb.2037:                             ;   in Loop: Header=BB4_1629 Depth=2
	s_delay_alu instid0(VALU_DEP_2) | instskip(NEXT) | instid1(VALU_DEP_1)
	v_clz_i32_u32_e32 v16, v64
	v_min_u32_e32 v16, 32, v16
	s_delay_alu instid0(VALU_DEP_1) | instskip(NEXT) | instid1(VALU_DEP_1)
	v_subrev_nc_u32_e32 v18, 28, v16
	v_lshlrev_b64_e32 v[18:19], v18, v[64:65]
	s_delay_alu instid0(VALU_DEP_1)
	v_dual_sub_nc_u32 v16, 29, v16 :: v_dual_bitop2_b32 v64, 7, v18 bitop3:0x40
; %bb.2038:                             ;   in Loop: Header=BB4_1629 Depth=2
	s_or_b32 exec_lo, exec_lo, s40
	v_lshlrev_b32_e32 v18, 24, v116
	s_delay_alu instid0(VALU_DEP_2) | instskip(NEXT) | instid1(VALU_DEP_3)
	v_lshlrev_b32_e32 v19, 20, v64
	v_lshl_add_u32 v16, v16, 23, 0x3c000000
	s_delay_alu instid0(VALU_DEP_3) | instskip(NEXT) | instid1(VALU_DEP_1)
	v_and_b32_e32 v18, 0x80000000, v18
	v_or3_b32 v16, v19, v18, v16
.LBB4_2039:                             ;   in Loop: Header=BB4_1629 Depth=2
	s_or_b32 exec_lo, exec_lo, s29
.LBB4_2040:                             ;   in Loop: Header=BB4_1629 Depth=2
	s_delay_alu instid0(SALU_CYCLE_1)
	s_or_b32 exec_lo, exec_lo, s28
.LBB4_2041:                             ;   in Loop: Header=BB4_1629 Depth=2
	s_delay_alu instid0(SALU_CYCLE_1) | instskip(NEXT) | instid1(VALU_DEP_1)
	s_or_b32 exec_lo, exec_lo, s10
	v_mul_f32_e32 v16, v17, v16
                                        ; implicit-def: $vgpr116
	s_mov_b32 s10, exec_lo
	s_delay_alu instid0(VALU_DEP_1) | instskip(SKIP_1) | instid1(VALU_DEP_2)
	v_and_b32_e32 v64, 0x7f800000, v16
	v_lshrrev_b32_e32 v17, 24, v16
	v_cmpx_ne_u64_e32 0x7f800000, v[64:65]
	s_xor_b32 s28, exec_lo, s10
	s_cbranch_execz .LBB4_2059
; %bb.2042:                             ;   in Loop: Header=BB4_1629 Depth=2
	v_and_b32_e32 v64, 0x7fffffff, v16
	v_and_b32_e32 v118, 0x80, v17
                                        ; implicit-def: $vgpr116
	s_mov_b32 s10, exec_lo
	s_delay_alu instid0(VALU_DEP_2)
	v_cmpx_gt_u64_e32 0x43e00001, v[64:65]
	s_xor_b32 s29, exec_lo, s10
	s_cbranch_execz .LBB4_2056
; %bb.2043:                             ;   in Loop: Header=BB4_1629 Depth=2
	v_mov_b32_e32 v116, 0
	s_mov_b32 s40, exec_lo
	v_cmpx_ne_u32_e32 0, v16
	s_cbranch_execz .LBB4_2055
; %bb.2044:                             ;   in Loop: Header=BB4_1629 Depth=2
	v_bfe_u32 v116, v16, 23, 8
	v_and_b32_e32 v18, 0x7fffff, v16
	s_delay_alu instid0(VALU_DEP_2) | instskip(NEXT) | instid1(VALU_DEP_2)
	v_cmp_gt_u32_e32 vcc_lo, 0x7a, v116
	v_or_b32_e32 v19, 0x800000, v18
	v_sub_nc_u32_e32 v17, 0x79, v116
	s_delay_alu instid0(VALU_DEP_1) | instskip(SKIP_1) | instid1(VALU_DEP_2)
	v_cndmask_b32_e32 v17, 0, v17, vcc_lo
	v_cmp_eq_u32_e32 vcc_lo, 0, v116
	v_cndmask_b32_e64 v47, v17, 0x78, vcc_lo
	s_delay_alu instid0(VALU_DEP_1) | instskip(SKIP_1) | instid1(VALU_DEP_2)
	v_dual_cndmask_b32 v64, v19, v18, vcc_lo :: v_dual_add_nc_u32 v16, 20, v47
	v_add_nc_u32_e32 v58, 19, v47
	v_lshlrev_b64_e64 v[16:17], v16, -1
	s_delay_alu instid0(VALU_DEP_2) | instskip(NEXT) | instid1(VALU_DEP_2)
	v_lshlrev_b64_e64 v[18:19], v58, 1
	v_bfi_b32 v63, v17, 0, 0
	s_delay_alu instid0(VALU_DEP_3) | instskip(SKIP_1) | instid1(VALU_DEP_2)
	v_bfi_b32 v62, v16, 0, v64
	v_lshrrev_b64 v[16:17], v47, v[64:65]
	v_cmp_eq_u64_e64 s10, v[62:63], v[18:19]
	s_delay_alu instid0(VALU_DEP_2)
	v_mov_b64_e32 v[18:19], v[16:17]
	s_and_saveexec_b32 s41, s10
; %bb.2045:                             ;   in Loop: Header=BB4_1629 Depth=2
	v_bfe_u32 v64, v16, 20, 1
	s_delay_alu instid0(VALU_DEP_1) | instskip(NEXT) | instid1(VALU_DEP_1)
	v_add_nc_u64_e32 v[18:19], v[16:17], v[64:65]
	v_add_nc_u64_e32 v[18:19], -1, v[18:19]
; %bb.2046:                             ;   in Loop: Header=BB4_1629 Depth=2
	s_or_b32 exec_lo, exec_lo, s41
	v_add_nc_u32_e32 v17, 0xffffff81, v116
	v_lshrrev_b32_e32 v19, 23, v16
	s_mov_b32 s10, exec_lo
	s_delay_alu instid0(VALU_DEP_2) | instskip(NEXT) | instid1(VALU_DEP_1)
	v_cndmask_b32_e64 v17, v17, 0xffffff82, vcc_lo
	v_add3_u32 v19, v47, v17, v19
	v_and_b32_e32 v17, 0xfffff, v18
                                        ; implicit-def: $vgpr18
	s_delay_alu instid0(VALU_DEP_1) | instskip(NEXT) | instid1(VALU_DEP_1)
	v_dual_add_nc_u32 v116, 6, v19 :: v_dual_add_nc_u32 v64, v17, v16
                                        ; implicit-def: $vgpr16_vgpr17
	v_cmpx_ne_u32_e32 0, v116
	s_xor_b32 s10, exec_lo, s10
; %bb.2047:                             ;   in Loop: Header=BB4_1629 Depth=2
	s_delay_alu instid0(VALU_DEP_2) | instskip(SKIP_1) | instid1(VALU_DEP_1)
	v_cmp_lt_u64_e32 vcc_lo, 0xffffff, v[64:65]
	v_add_nc_u32_e32 v16, 7, v19
	v_cndmask_b32_e32 v18, v116, v16, vcc_lo
	v_cndmask_b32_e64 v16, 0, 1, vcc_lo
	s_delay_alu instid0(VALU_DEP_1)
	v_lshrrev_b64 v[16:17], v16, v[64:65]
; %bb.2048:                             ;   in Loop: Header=BB4_1629 Depth=2
	s_and_not1_saveexec_b32 s10, s10
; %bb.2049:                             ;   in Loop: Header=BB4_1629 Depth=2
	v_mov_b64_e32 v[16:17], v[64:65]
	v_bfe_u32 v18, v64, 23, 1
; %bb.2050:                             ;   in Loop: Header=BB4_1629 Depth=2
	s_or_b32 exec_lo, exec_lo, s10
	s_delay_alu instid0(VALU_DEP_2) | instskip(NEXT) | instid1(VALU_DEP_2)
	v_lshrrev_b64 v[16:17], 20, v[16:17]
	v_cmp_gt_i32_e32 vcc_lo, 16, v18
	v_cmp_ne_u32_e64 s10, 0, v18
                                        ; implicit-def: $vgpr116
	s_delay_alu instid0(VALU_DEP_3) | instskip(NEXT) | instid1(VALU_DEP_1)
	v_dual_cndmask_b32 v17, 0, v17 :: v_dual_cndmask_b32 v16, 7, v16
	v_cmp_ne_u64_e32 vcc_lo, 0, v[16:17]
	s_or_b32 s10, s10, vcc_lo
	s_delay_alu instid0(SALU_CYCLE_1) | instskip(NEXT) | instid1(SALU_CYCLE_1)
	s_and_saveexec_b32 s41, s10
	s_xor_b32 s10, exec_lo, s41
; %bb.2051:                             ;   in Loop: Header=BB4_1629 Depth=2
	v_min_i32_e32 v17, 15, v18
	s_delay_alu instid0(VALU_DEP_1) | instskip(NEXT) | instid1(VALU_DEP_1)
	v_lshl_or_b32 v17, v17, 3, v118
                                        ; implicit-def: $vgpr118
	v_and_or_b32 v116, v16, 7, v17
; %bb.2052:                             ;   in Loop: Header=BB4_1629 Depth=2
	s_and_not1_saveexec_b32 s10, s10
; %bb.2053:                             ;   in Loop: Header=BB4_1629 Depth=2
	v_mov_b32_e32 v116, v118
; %bb.2054:                             ;   in Loop: Header=BB4_1629 Depth=2
	s_or_b32 exec_lo, exec_lo, s10
.LBB4_2055:                             ;   in Loop: Header=BB4_1629 Depth=2
	s_delay_alu instid0(SALU_CYCLE_1)
	s_or_b32 exec_lo, exec_lo, s40
                                        ; implicit-def: $vgpr118
.LBB4_2056:                             ;   in Loop: Header=BB4_1629 Depth=2
	s_and_not1_saveexec_b32 s10, s29
; %bb.2057:                             ;   in Loop: Header=BB4_1629 Depth=2
	v_or_b32_e32 v116, 0x7e, v118
; %bb.2058:                             ;   in Loop: Header=BB4_1629 Depth=2
	s_or_b32 exec_lo, exec_lo, s10
                                        ; implicit-def: $vgpr17
.LBB4_2059:                             ;   in Loop: Header=BB4_1629 Depth=2
	s_and_not1_saveexec_b32 s10, s28
; %bb.2060:                             ;   in Loop: Header=BB4_1629 Depth=2
	v_or_b32_e32 v116, 0x7f, v17
; %bb.2061:                             ;   in Loop: Header=BB4_1629 Depth=2
	s_or_b32 exec_lo, exec_lo, s10
	v_and_b32_e32 v18, 0xff, v115
	v_dual_mov_b32 v16, 0 :: v_dual_mov_b32 v17, 0
	s_mov_b32 s10, exec_lo
	s_delay_alu instid0(VALU_DEP_2)
	v_cmpx_ne_u16_e32 0, v18
	s_cbranch_execz .LBB4_2069
; %bb.2062:                             ;   in Loop: Header=BB4_1629 Depth=2
	v_bfrev_b32_e32 v17, 1
	s_mov_b32 s28, exec_lo
	v_cmpx_ne_u16_e32 0x80, v18
	s_cbranch_execz .LBB4_2068
; %bb.2063:                             ;   in Loop: Header=BB4_1629 Depth=2
	v_and_b32_e32 v19, 0x7f, v115
	v_mov_b32_e32 v17, 0x7f800001
	s_mov_b32 s29, exec_lo
	s_delay_alu instid0(VALU_DEP_2)
	v_cmpx_ne_u32_e32 0x7f, v19
	s_cbranch_execz .LBB4_2067
; %bb.2064:                             ;   in Loop: Header=BB4_1629 Depth=2
	v_dual_lshrrev_b32 v17, 3, v19 :: v_dual_bitop2_b32 v64, 7, v18 bitop3:0x40
	s_mov_b32 s40, exec_lo
	v_cmpx_gt_u32_e32 8, v19
; %bb.2065:                             ;   in Loop: Header=BB4_1629 Depth=2
	s_delay_alu instid0(VALU_DEP_2) | instskip(NEXT) | instid1(VALU_DEP_1)
	v_clz_i32_u32_e32 v17, v64
	v_min_u32_e32 v17, 32, v17
	s_delay_alu instid0(VALU_DEP_1) | instskip(NEXT) | instid1(VALU_DEP_1)
	v_subrev_nc_u32_e32 v18, 28, v17
	v_lshlrev_b64_e32 v[18:19], v18, v[64:65]
	s_delay_alu instid0(VALU_DEP_1)
	v_dual_sub_nc_u32 v17, 29, v17 :: v_dual_bitop2_b32 v64, 7, v18 bitop3:0x40
; %bb.2066:                             ;   in Loop: Header=BB4_1629 Depth=2
	s_or_b32 exec_lo, exec_lo, s40
	s_delay_alu instid0(VALU_DEP_1) | instskip(NEXT) | instid1(VALU_DEP_2)
	v_dual_lshlrev_b32 v18, 24, v115 :: v_dual_lshlrev_b32 v19, 20, v64
	v_lshl_add_u32 v17, v17, 23, 0x3c000000
	s_delay_alu instid0(VALU_DEP_2) | instskip(NEXT) | instid1(VALU_DEP_1)
	v_and_b32_e32 v18, 0x80000000, v18
	v_or3_b32 v17, v19, v18, v17
.LBB4_2067:                             ;   in Loop: Header=BB4_1629 Depth=2
	s_or_b32 exec_lo, exec_lo, s29
.LBB4_2068:                             ;   in Loop: Header=BB4_1629 Depth=2
	s_delay_alu instid0(SALU_CYCLE_1)
	s_or_b32 exec_lo, exec_lo, s28
.LBB4_2069:                             ;   in Loop: Header=BB4_1629 Depth=2
	s_delay_alu instid0(SALU_CYCLE_1) | instskip(SKIP_3) | instid1(VALU_DEP_1)
	s_or_b32 exec_lo, exec_lo, s10
	s_wait_loadcnt_dscnt 0x303
	v_and_b32_e32 v18, 0xff, v113
	s_mov_b32 s10, exec_lo
	v_cmpx_ne_u16_e32 0, v18
	s_cbranch_execz .LBB4_2077
; %bb.2070:                             ;   in Loop: Header=BB4_1629 Depth=2
	v_bfrev_b32_e32 v16, 1
	s_mov_b32 s28, exec_lo
	v_cmpx_ne_u16_e32 0x80, v18
	s_cbranch_execz .LBB4_2076
; %bb.2071:                             ;   in Loop: Header=BB4_1629 Depth=2
	v_and_b32_e32 v19, 0x7f, v113
	v_mov_b32_e32 v16, 0x7f800001
	s_mov_b32 s29, exec_lo
	s_delay_alu instid0(VALU_DEP_2)
	v_cmpx_ne_u32_e32 0x7f, v19
	s_cbranch_execz .LBB4_2075
; %bb.2072:                             ;   in Loop: Header=BB4_1629 Depth=2
	v_dual_lshrrev_b32 v16, 3, v19 :: v_dual_bitop2_b32 v64, 7, v18 bitop3:0x40
	s_mov_b32 s40, exec_lo
	v_cmpx_gt_u32_e32 8, v19
; %bb.2073:                             ;   in Loop: Header=BB4_1629 Depth=2
	s_delay_alu instid0(VALU_DEP_2) | instskip(NEXT) | instid1(VALU_DEP_1)
	v_clz_i32_u32_e32 v16, v64
	v_min_u32_e32 v16, 32, v16
	s_delay_alu instid0(VALU_DEP_1) | instskip(NEXT) | instid1(VALU_DEP_1)
	v_subrev_nc_u32_e32 v18, 28, v16
	v_lshlrev_b64_e32 v[18:19], v18, v[64:65]
	s_delay_alu instid0(VALU_DEP_1)
	v_dual_sub_nc_u32 v16, 29, v16 :: v_dual_bitop2_b32 v64, 7, v18 bitop3:0x40
; %bb.2074:                             ;   in Loop: Header=BB4_1629 Depth=2
	s_or_b32 exec_lo, exec_lo, s40
	s_delay_alu instid0(VALU_DEP_1) | instskip(NEXT) | instid1(VALU_DEP_2)
	v_dual_lshlrev_b32 v18, 24, v113 :: v_dual_lshlrev_b32 v19, 20, v64
	v_lshl_add_u32 v16, v16, 23, 0x3c000000
	s_delay_alu instid0(VALU_DEP_2) | instskip(NEXT) | instid1(VALU_DEP_1)
	v_and_b32_e32 v18, 0x80000000, v18
	v_or3_b32 v16, v19, v18, v16
.LBB4_2075:                             ;   in Loop: Header=BB4_1629 Depth=2
	s_or_b32 exec_lo, exec_lo, s29
.LBB4_2076:                             ;   in Loop: Header=BB4_1629 Depth=2
	s_delay_alu instid0(SALU_CYCLE_1)
	s_or_b32 exec_lo, exec_lo, s28
.LBB4_2077:                             ;   in Loop: Header=BB4_1629 Depth=2
	s_delay_alu instid0(SALU_CYCLE_1) | instskip(NEXT) | instid1(VALU_DEP_1)
	s_or_b32 exec_lo, exec_lo, s10
	v_mul_f32_e32 v16, v17, v16
                                        ; implicit-def: $vgpr113
	s_mov_b32 s10, exec_lo
	s_delay_alu instid0(VALU_DEP_1) | instskip(SKIP_1) | instid1(VALU_DEP_2)
	v_and_b32_e32 v64, 0x7f800000, v16
	v_lshrrev_b32_e32 v17, 24, v16
	v_cmpx_ne_u64_e32 0x7f800000, v[64:65]
	s_xor_b32 s28, exec_lo, s10
	s_cbranch_execz .LBB4_2095
; %bb.2078:                             ;   in Loop: Header=BB4_1629 Depth=2
	v_and_b32_e32 v64, 0x7fffffff, v16
	v_and_b32_e32 v115, 0x80, v17
                                        ; implicit-def: $vgpr113
	s_mov_b32 s10, exec_lo
	s_delay_alu instid0(VALU_DEP_2)
	v_cmpx_gt_u64_e32 0x43e00001, v[64:65]
	s_xor_b32 s29, exec_lo, s10
	s_cbranch_execz .LBB4_2092
; %bb.2079:                             ;   in Loop: Header=BB4_1629 Depth=2
	v_mov_b32_e32 v113, 0
	s_mov_b32 s40, exec_lo
	v_cmpx_ne_u32_e32 0, v16
	s_cbranch_execz .LBB4_2091
; %bb.2080:                             ;   in Loop: Header=BB4_1629 Depth=2
	v_bfe_u32 v113, v16, 23, 8
	v_and_b32_e32 v18, 0x7fffff, v16
	s_delay_alu instid0(VALU_DEP_2) | instskip(NEXT) | instid1(VALU_DEP_2)
	v_cmp_gt_u32_e32 vcc_lo, 0x7a, v113
	v_or_b32_e32 v19, 0x800000, v18
	v_sub_nc_u32_e32 v17, 0x79, v113
	s_delay_alu instid0(VALU_DEP_1) | instskip(SKIP_1) | instid1(VALU_DEP_2)
	v_cndmask_b32_e32 v17, 0, v17, vcc_lo
	v_cmp_eq_u32_e32 vcc_lo, 0, v113
	v_cndmask_b32_e64 v118, v17, 0x78, vcc_lo
	v_cndmask_b32_e32 v64, v19, v18, vcc_lo
	s_delay_alu instid0(VALU_DEP_2) | instskip(NEXT) | instid1(VALU_DEP_1)
	v_dual_add_nc_u32 v16, 20, v118 :: v_dual_add_nc_u32 v47, 19, v118
	v_lshlrev_b64_e64 v[16:17], v16, -1
	s_delay_alu instid0(VALU_DEP_2) | instskip(NEXT) | instid1(VALU_DEP_2)
	v_lshlrev_b64_e64 v[18:19], v47, 1
	v_bfi_b32 v63, v17, 0, 0
	s_delay_alu instid0(VALU_DEP_3) | instskip(SKIP_1) | instid1(VALU_DEP_2)
	v_bfi_b32 v62, v16, 0, v64
	v_lshrrev_b64 v[16:17], v118, v[64:65]
	v_cmp_eq_u64_e64 s10, v[62:63], v[18:19]
	s_delay_alu instid0(VALU_DEP_2)
	v_mov_b64_e32 v[18:19], v[16:17]
	s_and_saveexec_b32 s41, s10
; %bb.2081:                             ;   in Loop: Header=BB4_1629 Depth=2
	v_bfe_u32 v64, v16, 20, 1
	s_delay_alu instid0(VALU_DEP_1) | instskip(NEXT) | instid1(VALU_DEP_1)
	v_add_nc_u64_e32 v[18:19], v[16:17], v[64:65]
	v_add_nc_u64_e32 v[18:19], -1, v[18:19]
; %bb.2082:                             ;   in Loop: Header=BB4_1629 Depth=2
	s_or_b32 exec_lo, exec_lo, s41
	v_add_nc_u32_e32 v17, 0xffffff81, v113
	v_lshrrev_b32_e32 v19, 23, v16
	s_mov_b32 s10, exec_lo
	s_delay_alu instid0(VALU_DEP_2) | instskip(NEXT) | instid1(VALU_DEP_1)
	v_cndmask_b32_e64 v17, v17, 0xffffff82, vcc_lo
	v_add3_u32 v19, v118, v17, v19
	v_and_b32_e32 v17, 0xfffff, v18
                                        ; implicit-def: $vgpr18
	s_delay_alu instid0(VALU_DEP_1) | instskip(NEXT) | instid1(VALU_DEP_1)
	v_dual_add_nc_u32 v113, 6, v19 :: v_dual_add_nc_u32 v64, v17, v16
                                        ; implicit-def: $vgpr16_vgpr17
	v_cmpx_ne_u32_e32 0, v113
	s_xor_b32 s10, exec_lo, s10
; %bb.2083:                             ;   in Loop: Header=BB4_1629 Depth=2
	s_delay_alu instid0(VALU_DEP_2) | instskip(SKIP_1) | instid1(VALU_DEP_1)
	v_cmp_lt_u64_e32 vcc_lo, 0xffffff, v[64:65]
	v_add_nc_u32_e32 v16, 7, v19
	v_cndmask_b32_e32 v18, v113, v16, vcc_lo
	v_cndmask_b32_e64 v16, 0, 1, vcc_lo
	s_delay_alu instid0(VALU_DEP_1)
	v_lshrrev_b64 v[16:17], v16, v[64:65]
; %bb.2084:                             ;   in Loop: Header=BB4_1629 Depth=2
	s_and_not1_saveexec_b32 s10, s10
; %bb.2085:                             ;   in Loop: Header=BB4_1629 Depth=2
	v_mov_b64_e32 v[16:17], v[64:65]
	v_bfe_u32 v18, v64, 23, 1
; %bb.2086:                             ;   in Loop: Header=BB4_1629 Depth=2
	s_or_b32 exec_lo, exec_lo, s10
	s_delay_alu instid0(VALU_DEP_2) | instskip(NEXT) | instid1(VALU_DEP_2)
	v_lshrrev_b64 v[16:17], 20, v[16:17]
	v_cmp_gt_i32_e32 vcc_lo, 16, v18
	v_cmp_ne_u32_e64 s10, 0, v18
                                        ; implicit-def: $vgpr113
	s_delay_alu instid0(VALU_DEP_3) | instskip(NEXT) | instid1(VALU_DEP_1)
	v_dual_cndmask_b32 v17, 0, v17 :: v_dual_cndmask_b32 v16, 7, v16
	v_cmp_ne_u64_e32 vcc_lo, 0, v[16:17]
	s_or_b32 s10, s10, vcc_lo
	s_delay_alu instid0(SALU_CYCLE_1) | instskip(NEXT) | instid1(SALU_CYCLE_1)
	s_and_saveexec_b32 s41, s10
	s_xor_b32 s10, exec_lo, s41
; %bb.2087:                             ;   in Loop: Header=BB4_1629 Depth=2
	v_min_i32_e32 v17, 15, v18
	s_delay_alu instid0(VALU_DEP_1) | instskip(NEXT) | instid1(VALU_DEP_1)
	v_lshl_or_b32 v17, v17, 3, v115
                                        ; implicit-def: $vgpr115
	v_and_or_b32 v113, v16, 7, v17
; %bb.2088:                             ;   in Loop: Header=BB4_1629 Depth=2
	s_and_not1_saveexec_b32 s10, s10
; %bb.2089:                             ;   in Loop: Header=BB4_1629 Depth=2
	v_mov_b32_e32 v113, v115
; %bb.2090:                             ;   in Loop: Header=BB4_1629 Depth=2
	s_or_b32 exec_lo, exec_lo, s10
.LBB4_2091:                             ;   in Loop: Header=BB4_1629 Depth=2
	s_delay_alu instid0(SALU_CYCLE_1)
	s_or_b32 exec_lo, exec_lo, s40
                                        ; implicit-def: $vgpr115
.LBB4_2092:                             ;   in Loop: Header=BB4_1629 Depth=2
	s_and_not1_saveexec_b32 s10, s29
; %bb.2093:                             ;   in Loop: Header=BB4_1629 Depth=2
	v_or_b32_e32 v113, 0x7e, v115
; %bb.2094:                             ;   in Loop: Header=BB4_1629 Depth=2
	s_or_b32 exec_lo, exec_lo, s10
                                        ; implicit-def: $vgpr17
.LBB4_2095:                             ;   in Loop: Header=BB4_1629 Depth=2
	s_and_not1_saveexec_b32 s10, s28
; %bb.2096:                             ;   in Loop: Header=BB4_1629 Depth=2
	v_or_b32_e32 v113, 0x7f, v17
; %bb.2097:                             ;   in Loop: Header=BB4_1629 Depth=2
	s_or_b32 exec_lo, exec_lo, s10
	v_and_b32_e32 v18, 0xff, v112
	v_dual_mov_b32 v16, 0 :: v_dual_mov_b32 v17, 0
	s_mov_b32 s10, exec_lo
	s_delay_alu instid0(VALU_DEP_2)
	v_cmpx_ne_u16_e32 0, v18
	s_cbranch_execz .LBB4_2105
; %bb.2098:                             ;   in Loop: Header=BB4_1629 Depth=2
	v_bfrev_b32_e32 v17, 1
	s_mov_b32 s28, exec_lo
	v_cmpx_ne_u16_e32 0x80, v18
	s_cbranch_execz .LBB4_2104
; %bb.2099:                             ;   in Loop: Header=BB4_1629 Depth=2
	v_and_b32_e32 v19, 0x7f, v112
	v_mov_b32_e32 v17, 0x7f800001
	s_mov_b32 s29, exec_lo
	s_delay_alu instid0(VALU_DEP_2)
	v_cmpx_ne_u32_e32 0x7f, v19
	s_cbranch_execz .LBB4_2103
; %bb.2100:                             ;   in Loop: Header=BB4_1629 Depth=2
	v_dual_lshrrev_b32 v17, 3, v19 :: v_dual_bitop2_b32 v64, 7, v18 bitop3:0x40
	s_mov_b32 s40, exec_lo
	v_cmpx_gt_u32_e32 8, v19
; %bb.2101:                             ;   in Loop: Header=BB4_1629 Depth=2
	s_delay_alu instid0(VALU_DEP_2) | instskip(NEXT) | instid1(VALU_DEP_1)
	v_clz_i32_u32_e32 v17, v64
	v_min_u32_e32 v17, 32, v17
	s_delay_alu instid0(VALU_DEP_1) | instskip(NEXT) | instid1(VALU_DEP_1)
	v_subrev_nc_u32_e32 v18, 28, v17
	v_lshlrev_b64_e32 v[18:19], v18, v[64:65]
	s_delay_alu instid0(VALU_DEP_1)
	v_dual_sub_nc_u32 v17, 29, v17 :: v_dual_bitop2_b32 v64, 7, v18 bitop3:0x40
; %bb.2102:                             ;   in Loop: Header=BB4_1629 Depth=2
	s_or_b32 exec_lo, exec_lo, s40
	v_lshlrev_b32_e32 v18, 24, v112
	s_delay_alu instid0(VALU_DEP_2) | instskip(NEXT) | instid1(VALU_DEP_3)
	v_lshlrev_b32_e32 v19, 20, v64
	v_lshl_add_u32 v17, v17, 23, 0x3c000000
	s_delay_alu instid0(VALU_DEP_3) | instskip(NEXT) | instid1(VALU_DEP_1)
	v_and_b32_e32 v18, 0x80000000, v18
	v_or3_b32 v17, v19, v18, v17
.LBB4_2103:                             ;   in Loop: Header=BB4_1629 Depth=2
	s_or_b32 exec_lo, exec_lo, s29
.LBB4_2104:                             ;   in Loop: Header=BB4_1629 Depth=2
	s_delay_alu instid0(SALU_CYCLE_1)
	s_or_b32 exec_lo, exec_lo, s28
.LBB4_2105:                             ;   in Loop: Header=BB4_1629 Depth=2
	s_delay_alu instid0(SALU_CYCLE_1) | instskip(SKIP_3) | instid1(VALU_DEP_1)
	s_or_b32 exec_lo, exec_lo, s10
	s_wait_loadcnt_dscnt 0x202
	v_and_b32_e32 v18, 0xff, v102
	s_mov_b32 s10, exec_lo
	v_cmpx_ne_u16_e32 0, v18
	s_cbranch_execz .LBB4_2113
; %bb.2106:                             ;   in Loop: Header=BB4_1629 Depth=2
	v_bfrev_b32_e32 v16, 1
	s_mov_b32 s28, exec_lo
	v_cmpx_ne_u16_e32 0x80, v18
	s_cbranch_execz .LBB4_2112
; %bb.2107:                             ;   in Loop: Header=BB4_1629 Depth=2
	v_and_b32_e32 v19, 0x7f, v102
	v_mov_b32_e32 v16, 0x7f800001
	s_mov_b32 s29, exec_lo
	s_delay_alu instid0(VALU_DEP_2)
	v_cmpx_ne_u32_e32 0x7f, v19
	s_cbranch_execz .LBB4_2111
; %bb.2108:                             ;   in Loop: Header=BB4_1629 Depth=2
	v_dual_lshrrev_b32 v16, 3, v19 :: v_dual_bitop2_b32 v64, 7, v18 bitop3:0x40
	s_mov_b32 s40, exec_lo
	v_cmpx_gt_u32_e32 8, v19
; %bb.2109:                             ;   in Loop: Header=BB4_1629 Depth=2
	s_delay_alu instid0(VALU_DEP_2) | instskip(NEXT) | instid1(VALU_DEP_1)
	v_clz_i32_u32_e32 v16, v64
	v_min_u32_e32 v16, 32, v16
	s_delay_alu instid0(VALU_DEP_1) | instskip(NEXT) | instid1(VALU_DEP_1)
	v_subrev_nc_u32_e32 v18, 28, v16
	v_lshlrev_b64_e32 v[18:19], v18, v[64:65]
	s_delay_alu instid0(VALU_DEP_1)
	v_dual_sub_nc_u32 v16, 29, v16 :: v_dual_bitop2_b32 v64, 7, v18 bitop3:0x40
; %bb.2110:                             ;   in Loop: Header=BB4_1629 Depth=2
	s_or_b32 exec_lo, exec_lo, s40
	s_delay_alu instid0(VALU_DEP_1) | instskip(NEXT) | instid1(VALU_DEP_2)
	v_dual_lshlrev_b32 v18, 24, v102 :: v_dual_lshlrev_b32 v19, 20, v64
	v_lshl_add_u32 v16, v16, 23, 0x3c000000
	s_delay_alu instid0(VALU_DEP_2) | instskip(NEXT) | instid1(VALU_DEP_1)
	v_and_b32_e32 v18, 0x80000000, v18
	v_or3_b32 v16, v19, v18, v16
.LBB4_2111:                             ;   in Loop: Header=BB4_1629 Depth=2
	s_or_b32 exec_lo, exec_lo, s29
.LBB4_2112:                             ;   in Loop: Header=BB4_1629 Depth=2
	s_delay_alu instid0(SALU_CYCLE_1)
	s_or_b32 exec_lo, exec_lo, s28
.LBB4_2113:                             ;   in Loop: Header=BB4_1629 Depth=2
	s_delay_alu instid0(SALU_CYCLE_1) | instskip(NEXT) | instid1(VALU_DEP_1)
	s_or_b32 exec_lo, exec_lo, s10
	v_mul_f32_e32 v16, v17, v16
                                        ; implicit-def: $vgpr102
	s_mov_b32 s10, exec_lo
	s_delay_alu instid0(VALU_DEP_1) | instskip(SKIP_1) | instid1(VALU_DEP_2)
	v_and_b32_e32 v64, 0x7f800000, v16
	v_lshrrev_b32_e32 v17, 24, v16
	v_cmpx_ne_u64_e32 0x7f800000, v[64:65]
	s_xor_b32 s28, exec_lo, s10
	s_cbranch_execz .LBB4_2131
; %bb.2114:                             ;   in Loop: Header=BB4_1629 Depth=2
	v_and_b32_e32 v64, 0x7fffffff, v16
	v_and_b32_e32 v112, 0x80, v17
                                        ; implicit-def: $vgpr102
	s_mov_b32 s10, exec_lo
	s_delay_alu instid0(VALU_DEP_2)
	v_cmpx_gt_u64_e32 0x43e00001, v[64:65]
	s_xor_b32 s29, exec_lo, s10
	s_cbranch_execz .LBB4_2128
; %bb.2115:                             ;   in Loop: Header=BB4_1629 Depth=2
	v_mov_b32_e32 v102, 0
	s_mov_b32 s40, exec_lo
	v_cmpx_ne_u32_e32 0, v16
	s_cbranch_execz .LBB4_2127
; %bb.2116:                             ;   in Loop: Header=BB4_1629 Depth=2
	v_bfe_u32 v102, v16, 23, 8
	v_and_b32_e32 v18, 0x7fffff, v16
	s_delay_alu instid0(VALU_DEP_2) | instskip(SKIP_1) | instid1(VALU_DEP_3)
	v_sub_nc_u32_e32 v17, 0x79, v102
	v_cmp_gt_u32_e32 vcc_lo, 0x7a, v102
	v_or_b32_e32 v19, 0x800000, v18
	s_delay_alu instid0(VALU_DEP_3) | instskip(SKIP_1) | instid1(VALU_DEP_2)
	v_cndmask_b32_e32 v17, 0, v17, vcc_lo
	v_cmp_eq_u32_e32 vcc_lo, 0, v102
	v_cndmask_b32_e64 v115, v17, 0x78, vcc_lo
	s_delay_alu instid0(VALU_DEP_1) | instskip(SKIP_1) | instid1(VALU_DEP_2)
	v_dual_cndmask_b32 v64, v19, v18, vcc_lo :: v_dual_add_nc_u32 v118, 19, v115
	v_add_nc_u32_e32 v16, 20, v115
	v_lshlrev_b64_e64 v[18:19], v118, 1
	s_delay_alu instid0(VALU_DEP_2) | instskip(NEXT) | instid1(VALU_DEP_1)
	v_lshlrev_b64_e64 v[16:17], v16, -1
	v_bfi_b32 v63, v17, 0, 0
	s_delay_alu instid0(VALU_DEP_2) | instskip(SKIP_1) | instid1(VALU_DEP_2)
	v_bfi_b32 v62, v16, 0, v64
	v_lshrrev_b64 v[16:17], v115, v[64:65]
	v_cmp_eq_u64_e64 s10, v[62:63], v[18:19]
	s_delay_alu instid0(VALU_DEP_2)
	v_mov_b64_e32 v[18:19], v[16:17]
	s_and_saveexec_b32 s41, s10
; %bb.2117:                             ;   in Loop: Header=BB4_1629 Depth=2
	v_bfe_u32 v64, v16, 20, 1
	s_delay_alu instid0(VALU_DEP_1) | instskip(NEXT) | instid1(VALU_DEP_1)
	v_add_nc_u64_e32 v[18:19], v[16:17], v[64:65]
	v_add_nc_u64_e32 v[18:19], -1, v[18:19]
; %bb.2118:                             ;   in Loop: Header=BB4_1629 Depth=2
	s_or_b32 exec_lo, exec_lo, s41
	v_add_nc_u32_e32 v17, 0xffffff81, v102
	v_lshrrev_b32_e32 v19, 23, v16
	s_mov_b32 s10, exec_lo
	s_delay_alu instid0(VALU_DEP_2) | instskip(NEXT) | instid1(VALU_DEP_1)
	v_cndmask_b32_e64 v17, v17, 0xffffff82, vcc_lo
	v_add3_u32 v19, v115, v17, v19
	v_and_b32_e32 v17, 0xfffff, v18
                                        ; implicit-def: $vgpr18
	s_delay_alu instid0(VALU_DEP_1) | instskip(NEXT) | instid1(VALU_DEP_1)
	v_dual_add_nc_u32 v102, 6, v19 :: v_dual_add_nc_u32 v64, v17, v16
                                        ; implicit-def: $vgpr16_vgpr17
	v_cmpx_ne_u32_e32 0, v102
	s_xor_b32 s10, exec_lo, s10
; %bb.2119:                             ;   in Loop: Header=BB4_1629 Depth=2
	s_delay_alu instid0(VALU_DEP_2) | instskip(SKIP_1) | instid1(VALU_DEP_1)
	v_cmp_lt_u64_e32 vcc_lo, 0xffffff, v[64:65]
	v_add_nc_u32_e32 v16, 7, v19
	v_cndmask_b32_e32 v18, v102, v16, vcc_lo
	v_cndmask_b32_e64 v16, 0, 1, vcc_lo
	s_delay_alu instid0(VALU_DEP_1)
	v_lshrrev_b64 v[16:17], v16, v[64:65]
; %bb.2120:                             ;   in Loop: Header=BB4_1629 Depth=2
	s_and_not1_saveexec_b32 s10, s10
; %bb.2121:                             ;   in Loop: Header=BB4_1629 Depth=2
	v_mov_b64_e32 v[16:17], v[64:65]
	v_bfe_u32 v18, v64, 23, 1
; %bb.2122:                             ;   in Loop: Header=BB4_1629 Depth=2
	s_or_b32 exec_lo, exec_lo, s10
	s_delay_alu instid0(VALU_DEP_2) | instskip(NEXT) | instid1(VALU_DEP_2)
	v_lshrrev_b64 v[16:17], 20, v[16:17]
	v_cmp_gt_i32_e32 vcc_lo, 16, v18
	v_cmp_ne_u32_e64 s10, 0, v18
                                        ; implicit-def: $vgpr102
	s_delay_alu instid0(VALU_DEP_3) | instskip(NEXT) | instid1(VALU_DEP_1)
	v_dual_cndmask_b32 v17, 0, v17 :: v_dual_cndmask_b32 v16, 7, v16
	v_cmp_ne_u64_e32 vcc_lo, 0, v[16:17]
	s_or_b32 s10, s10, vcc_lo
	s_delay_alu instid0(SALU_CYCLE_1) | instskip(NEXT) | instid1(SALU_CYCLE_1)
	s_and_saveexec_b32 s41, s10
	s_xor_b32 s10, exec_lo, s41
; %bb.2123:                             ;   in Loop: Header=BB4_1629 Depth=2
	v_min_i32_e32 v17, 15, v18
	s_delay_alu instid0(VALU_DEP_1) | instskip(NEXT) | instid1(VALU_DEP_1)
	v_lshl_or_b32 v17, v17, 3, v112
                                        ; implicit-def: $vgpr112
	v_and_or_b32 v102, v16, 7, v17
; %bb.2124:                             ;   in Loop: Header=BB4_1629 Depth=2
	s_and_not1_saveexec_b32 s10, s10
; %bb.2125:                             ;   in Loop: Header=BB4_1629 Depth=2
	v_mov_b32_e32 v102, v112
; %bb.2126:                             ;   in Loop: Header=BB4_1629 Depth=2
	s_or_b32 exec_lo, exec_lo, s10
.LBB4_2127:                             ;   in Loop: Header=BB4_1629 Depth=2
	s_delay_alu instid0(SALU_CYCLE_1)
	s_or_b32 exec_lo, exec_lo, s40
                                        ; implicit-def: $vgpr112
.LBB4_2128:                             ;   in Loop: Header=BB4_1629 Depth=2
	s_and_not1_saveexec_b32 s10, s29
; %bb.2129:                             ;   in Loop: Header=BB4_1629 Depth=2
	v_or_b32_e32 v102, 0x7e, v112
; %bb.2130:                             ;   in Loop: Header=BB4_1629 Depth=2
	s_or_b32 exec_lo, exec_lo, s10
                                        ; implicit-def: $vgpr17
.LBB4_2131:                             ;   in Loop: Header=BB4_1629 Depth=2
	s_and_not1_saveexec_b32 s10, s28
; %bb.2132:                             ;   in Loop: Header=BB4_1629 Depth=2
	v_or_b32_e32 v102, 0x7f, v17
; %bb.2133:                             ;   in Loop: Header=BB4_1629 Depth=2
	s_or_b32 exec_lo, exec_lo, s10
	v_and_b32_e32 v18, 0xff, v101
	v_dual_mov_b32 v16, 0 :: v_dual_mov_b32 v17, 0
	s_mov_b32 s10, exec_lo
	s_delay_alu instid0(VALU_DEP_2)
	v_cmpx_ne_u16_e32 0, v18
	s_cbranch_execz .LBB4_2141
; %bb.2134:                             ;   in Loop: Header=BB4_1629 Depth=2
	v_bfrev_b32_e32 v17, 1
	s_mov_b32 s28, exec_lo
	v_cmpx_ne_u16_e32 0x80, v18
	s_cbranch_execz .LBB4_2140
; %bb.2135:                             ;   in Loop: Header=BB4_1629 Depth=2
	v_and_b32_e32 v19, 0x7f, v101
	v_mov_b32_e32 v17, 0x7f800001
	s_mov_b32 s29, exec_lo
	s_delay_alu instid0(VALU_DEP_2)
	v_cmpx_ne_u32_e32 0x7f, v19
	s_cbranch_execz .LBB4_2139
; %bb.2136:                             ;   in Loop: Header=BB4_1629 Depth=2
	v_dual_lshrrev_b32 v17, 3, v19 :: v_dual_bitop2_b32 v64, 7, v18 bitop3:0x40
	s_mov_b32 s40, exec_lo
	v_cmpx_gt_u32_e32 8, v19
; %bb.2137:                             ;   in Loop: Header=BB4_1629 Depth=2
	s_delay_alu instid0(VALU_DEP_2) | instskip(NEXT) | instid1(VALU_DEP_1)
	v_clz_i32_u32_e32 v17, v64
	v_min_u32_e32 v17, 32, v17
	s_delay_alu instid0(VALU_DEP_1) | instskip(NEXT) | instid1(VALU_DEP_1)
	v_subrev_nc_u32_e32 v18, 28, v17
	v_lshlrev_b64_e32 v[18:19], v18, v[64:65]
	s_delay_alu instid0(VALU_DEP_1)
	v_dual_sub_nc_u32 v17, 29, v17 :: v_dual_bitop2_b32 v64, 7, v18 bitop3:0x40
; %bb.2138:                             ;   in Loop: Header=BB4_1629 Depth=2
	s_or_b32 exec_lo, exec_lo, s40
	s_delay_alu instid0(VALU_DEP_1) | instskip(NEXT) | instid1(VALU_DEP_2)
	v_dual_lshlrev_b32 v18, 24, v101 :: v_dual_lshlrev_b32 v19, 20, v64
	v_lshl_add_u32 v17, v17, 23, 0x3c000000
	s_delay_alu instid0(VALU_DEP_2) | instskip(NEXT) | instid1(VALU_DEP_1)
	v_and_b32_e32 v18, 0x80000000, v18
	v_or3_b32 v17, v19, v18, v17
.LBB4_2139:                             ;   in Loop: Header=BB4_1629 Depth=2
	s_or_b32 exec_lo, exec_lo, s29
.LBB4_2140:                             ;   in Loop: Header=BB4_1629 Depth=2
	s_delay_alu instid0(SALU_CYCLE_1)
	s_or_b32 exec_lo, exec_lo, s28
.LBB4_2141:                             ;   in Loop: Header=BB4_1629 Depth=2
	s_delay_alu instid0(SALU_CYCLE_1) | instskip(SKIP_3) | instid1(VALU_DEP_1)
	s_or_b32 exec_lo, exec_lo, s10
	s_wait_loadcnt_dscnt 0x101
	v_and_b32_e32 v18, 0xff, v99
	s_mov_b32 s10, exec_lo
	v_cmpx_ne_u16_e32 0, v18
	s_cbranch_execz .LBB4_2149
; %bb.2142:                             ;   in Loop: Header=BB4_1629 Depth=2
	v_bfrev_b32_e32 v16, 1
	s_mov_b32 s28, exec_lo
	v_cmpx_ne_u16_e32 0x80, v18
	s_cbranch_execz .LBB4_2148
; %bb.2143:                             ;   in Loop: Header=BB4_1629 Depth=2
	v_and_b32_e32 v19, 0x7f, v99
	v_mov_b32_e32 v16, 0x7f800001
	s_mov_b32 s29, exec_lo
	s_delay_alu instid0(VALU_DEP_2)
	v_cmpx_ne_u32_e32 0x7f, v19
	s_cbranch_execz .LBB4_2147
; %bb.2144:                             ;   in Loop: Header=BB4_1629 Depth=2
	v_dual_lshrrev_b32 v16, 3, v19 :: v_dual_bitop2_b32 v64, 7, v18 bitop3:0x40
	s_mov_b32 s40, exec_lo
	v_cmpx_gt_u32_e32 8, v19
; %bb.2145:                             ;   in Loop: Header=BB4_1629 Depth=2
	s_delay_alu instid0(VALU_DEP_2) | instskip(NEXT) | instid1(VALU_DEP_1)
	v_clz_i32_u32_e32 v16, v64
	v_min_u32_e32 v16, 32, v16
	s_delay_alu instid0(VALU_DEP_1) | instskip(NEXT) | instid1(VALU_DEP_1)
	v_subrev_nc_u32_e32 v18, 28, v16
	v_lshlrev_b64_e32 v[18:19], v18, v[64:65]
	s_delay_alu instid0(VALU_DEP_1)
	v_dual_sub_nc_u32 v16, 29, v16 :: v_dual_bitop2_b32 v64, 7, v18 bitop3:0x40
; %bb.2146:                             ;   in Loop: Header=BB4_1629 Depth=2
	s_or_b32 exec_lo, exec_lo, s40
	s_delay_alu instid0(VALU_DEP_1) | instskip(NEXT) | instid1(VALU_DEP_2)
	v_dual_lshlrev_b32 v18, 24, v99 :: v_dual_lshlrev_b32 v19, 20, v64
	v_lshl_add_u32 v16, v16, 23, 0x3c000000
	s_delay_alu instid0(VALU_DEP_2) | instskip(NEXT) | instid1(VALU_DEP_1)
	v_and_b32_e32 v18, 0x80000000, v18
	v_or3_b32 v16, v19, v18, v16
.LBB4_2147:                             ;   in Loop: Header=BB4_1629 Depth=2
	s_or_b32 exec_lo, exec_lo, s29
.LBB4_2148:                             ;   in Loop: Header=BB4_1629 Depth=2
	s_delay_alu instid0(SALU_CYCLE_1)
	s_or_b32 exec_lo, exec_lo, s28
.LBB4_2149:                             ;   in Loop: Header=BB4_1629 Depth=2
	s_delay_alu instid0(SALU_CYCLE_1) | instskip(NEXT) | instid1(VALU_DEP_1)
	s_or_b32 exec_lo, exec_lo, s10
	v_mul_f32_e32 v16, v17, v16
                                        ; implicit-def: $vgpr99
	s_mov_b32 s10, exec_lo
	s_delay_alu instid0(VALU_DEP_1) | instskip(SKIP_1) | instid1(VALU_DEP_2)
	v_and_b32_e32 v64, 0x7f800000, v16
	v_lshrrev_b32_e32 v17, 24, v16
	v_cmpx_ne_u64_e32 0x7f800000, v[64:65]
	s_xor_b32 s28, exec_lo, s10
	s_cbranch_execz .LBB4_2167
; %bb.2150:                             ;   in Loop: Header=BB4_1629 Depth=2
	v_and_b32_e32 v64, 0x7fffffff, v16
	v_and_b32_e32 v101, 0x80, v17
                                        ; implicit-def: $vgpr99
	s_mov_b32 s10, exec_lo
	s_delay_alu instid0(VALU_DEP_2)
	v_cmpx_gt_u64_e32 0x43e00001, v[64:65]
	s_xor_b32 s29, exec_lo, s10
	s_cbranch_execz .LBB4_2164
; %bb.2151:                             ;   in Loop: Header=BB4_1629 Depth=2
	v_mov_b32_e32 v99, 0
	s_mov_b32 s40, exec_lo
	v_cmpx_ne_u32_e32 0, v16
	s_cbranch_execz .LBB4_2163
; %bb.2152:                             ;   in Loop: Header=BB4_1629 Depth=2
	v_bfe_u32 v99, v16, 23, 8
	v_and_b32_e32 v18, 0x7fffff, v16
	s_delay_alu instid0(VALU_DEP_2) | instskip(NEXT) | instid1(VALU_DEP_2)
	v_cmp_gt_u32_e32 vcc_lo, 0x7a, v99
	v_or_b32_e32 v19, 0x800000, v18
	v_sub_nc_u32_e32 v17, 0x79, v99
	s_delay_alu instid0(VALU_DEP_1) | instskip(SKIP_1) | instid1(VALU_DEP_2)
	v_cndmask_b32_e32 v17, 0, v17, vcc_lo
	v_cmp_eq_u32_e32 vcc_lo, 0, v99
	v_cndmask_b32_e64 v112, v17, 0x78, vcc_lo
	s_delay_alu instid0(VALU_DEP_1) | instskip(SKIP_1) | instid1(VALU_DEP_2)
	v_dual_cndmask_b32 v64, v19, v18, vcc_lo :: v_dual_add_nc_u32 v16, 20, v112
	v_add_nc_u32_e32 v115, 19, v112
	v_lshlrev_b64_e64 v[16:17], v16, -1
	s_delay_alu instid0(VALU_DEP_2) | instskip(NEXT) | instid1(VALU_DEP_2)
	v_lshlrev_b64_e64 v[18:19], v115, 1
	v_bfi_b32 v63, v17, 0, 0
	s_delay_alu instid0(VALU_DEP_3) | instskip(SKIP_1) | instid1(VALU_DEP_2)
	v_bfi_b32 v62, v16, 0, v64
	v_lshrrev_b64 v[16:17], v112, v[64:65]
	v_cmp_eq_u64_e64 s10, v[62:63], v[18:19]
	s_delay_alu instid0(VALU_DEP_2)
	v_mov_b64_e32 v[18:19], v[16:17]
	s_and_saveexec_b32 s41, s10
; %bb.2153:                             ;   in Loop: Header=BB4_1629 Depth=2
	v_bfe_u32 v64, v16, 20, 1
	s_delay_alu instid0(VALU_DEP_1) | instskip(NEXT) | instid1(VALU_DEP_1)
	v_add_nc_u64_e32 v[18:19], v[16:17], v[64:65]
	v_add_nc_u64_e32 v[18:19], -1, v[18:19]
; %bb.2154:                             ;   in Loop: Header=BB4_1629 Depth=2
	s_or_b32 exec_lo, exec_lo, s41
	v_add_nc_u32_e32 v17, 0xffffff81, v99
	v_lshrrev_b32_e32 v19, 23, v16
	s_mov_b32 s10, exec_lo
	s_delay_alu instid0(VALU_DEP_2) | instskip(NEXT) | instid1(VALU_DEP_1)
	v_cndmask_b32_e64 v17, v17, 0xffffff82, vcc_lo
	v_add3_u32 v19, v112, v17, v19
	v_and_b32_e32 v17, 0xfffff, v18
                                        ; implicit-def: $vgpr18
	s_delay_alu instid0(VALU_DEP_1) | instskip(NEXT) | instid1(VALU_DEP_1)
	v_dual_add_nc_u32 v99, 6, v19 :: v_dual_add_nc_u32 v64, v17, v16
                                        ; implicit-def: $vgpr16_vgpr17
	v_cmpx_ne_u32_e32 0, v99
	s_xor_b32 s10, exec_lo, s10
; %bb.2155:                             ;   in Loop: Header=BB4_1629 Depth=2
	s_delay_alu instid0(VALU_DEP_2) | instskip(SKIP_1) | instid1(VALU_DEP_1)
	v_cmp_lt_u64_e32 vcc_lo, 0xffffff, v[64:65]
	v_add_nc_u32_e32 v16, 7, v19
	v_cndmask_b32_e32 v18, v99, v16, vcc_lo
	v_cndmask_b32_e64 v16, 0, 1, vcc_lo
	s_delay_alu instid0(VALU_DEP_1)
	v_lshrrev_b64 v[16:17], v16, v[64:65]
; %bb.2156:                             ;   in Loop: Header=BB4_1629 Depth=2
	s_and_not1_saveexec_b32 s10, s10
; %bb.2157:                             ;   in Loop: Header=BB4_1629 Depth=2
	v_mov_b64_e32 v[16:17], v[64:65]
	v_bfe_u32 v18, v64, 23, 1
; %bb.2158:                             ;   in Loop: Header=BB4_1629 Depth=2
	s_or_b32 exec_lo, exec_lo, s10
	s_delay_alu instid0(VALU_DEP_2) | instskip(NEXT) | instid1(VALU_DEP_2)
	v_lshrrev_b64 v[16:17], 20, v[16:17]
	v_cmp_gt_i32_e32 vcc_lo, 16, v18
	v_cmp_ne_u32_e64 s10, 0, v18
                                        ; implicit-def: $vgpr99
	s_delay_alu instid0(VALU_DEP_3) | instskip(NEXT) | instid1(VALU_DEP_1)
	v_dual_cndmask_b32 v17, 0, v17 :: v_dual_cndmask_b32 v16, 7, v16
	v_cmp_ne_u64_e32 vcc_lo, 0, v[16:17]
	s_or_b32 s10, s10, vcc_lo
	s_delay_alu instid0(SALU_CYCLE_1) | instskip(NEXT) | instid1(SALU_CYCLE_1)
	s_and_saveexec_b32 s41, s10
	s_xor_b32 s10, exec_lo, s41
; %bb.2159:                             ;   in Loop: Header=BB4_1629 Depth=2
	v_min_i32_e32 v17, 15, v18
	s_delay_alu instid0(VALU_DEP_1) | instskip(NEXT) | instid1(VALU_DEP_1)
	v_lshl_or_b32 v17, v17, 3, v101
                                        ; implicit-def: $vgpr101
	v_and_or_b32 v99, v16, 7, v17
; %bb.2160:                             ;   in Loop: Header=BB4_1629 Depth=2
	s_and_not1_saveexec_b32 s10, s10
; %bb.2161:                             ;   in Loop: Header=BB4_1629 Depth=2
	v_mov_b32_e32 v99, v101
; %bb.2162:                             ;   in Loop: Header=BB4_1629 Depth=2
	s_or_b32 exec_lo, exec_lo, s10
.LBB4_2163:                             ;   in Loop: Header=BB4_1629 Depth=2
	s_delay_alu instid0(SALU_CYCLE_1)
	s_or_b32 exec_lo, exec_lo, s40
                                        ; implicit-def: $vgpr101
.LBB4_2164:                             ;   in Loop: Header=BB4_1629 Depth=2
	s_and_not1_saveexec_b32 s10, s29
; %bb.2165:                             ;   in Loop: Header=BB4_1629 Depth=2
	v_or_b32_e32 v99, 0x7e, v101
; %bb.2166:                             ;   in Loop: Header=BB4_1629 Depth=2
	s_or_b32 exec_lo, exec_lo, s10
                                        ; implicit-def: $vgpr17
.LBB4_2167:                             ;   in Loop: Header=BB4_1629 Depth=2
	s_and_not1_saveexec_b32 s10, s28
; %bb.2168:                             ;   in Loop: Header=BB4_1629 Depth=2
	v_or_b32_e32 v99, 0x7f, v17
; %bb.2169:                             ;   in Loop: Header=BB4_1629 Depth=2
	s_or_b32 exec_lo, exec_lo, s10
	v_and_b32_e32 v18, 0xff, v98
	v_dual_mov_b32 v16, 0 :: v_dual_mov_b32 v17, 0
	s_mov_b32 s10, exec_lo
	s_delay_alu instid0(VALU_DEP_2)
	v_cmpx_ne_u16_e32 0, v18
	s_cbranch_execz .LBB4_2177
; %bb.2170:                             ;   in Loop: Header=BB4_1629 Depth=2
	v_bfrev_b32_e32 v17, 1
	s_mov_b32 s28, exec_lo
	v_cmpx_ne_u16_e32 0x80, v18
	s_cbranch_execz .LBB4_2176
; %bb.2171:                             ;   in Loop: Header=BB4_1629 Depth=2
	v_and_b32_e32 v19, 0x7f, v98
	v_mov_b32_e32 v17, 0x7f800001
	s_mov_b32 s29, exec_lo
	s_delay_alu instid0(VALU_DEP_2)
	v_cmpx_ne_u32_e32 0x7f, v19
	s_cbranch_execz .LBB4_2175
; %bb.2172:                             ;   in Loop: Header=BB4_1629 Depth=2
	v_dual_lshrrev_b32 v17, 3, v19 :: v_dual_bitop2_b32 v64, 7, v18 bitop3:0x40
	s_mov_b32 s40, exec_lo
	v_cmpx_gt_u32_e32 8, v19
; %bb.2173:                             ;   in Loop: Header=BB4_1629 Depth=2
	s_delay_alu instid0(VALU_DEP_2) | instskip(NEXT) | instid1(VALU_DEP_1)
	v_clz_i32_u32_e32 v17, v64
	v_min_u32_e32 v17, 32, v17
	s_delay_alu instid0(VALU_DEP_1) | instskip(NEXT) | instid1(VALU_DEP_1)
	v_subrev_nc_u32_e32 v18, 28, v17
	v_lshlrev_b64_e32 v[18:19], v18, v[64:65]
	s_delay_alu instid0(VALU_DEP_1)
	v_dual_sub_nc_u32 v17, 29, v17 :: v_dual_bitop2_b32 v64, 7, v18 bitop3:0x40
; %bb.2174:                             ;   in Loop: Header=BB4_1629 Depth=2
	s_or_b32 exec_lo, exec_lo, s40
	s_delay_alu instid0(VALU_DEP_1) | instskip(NEXT) | instid1(VALU_DEP_2)
	v_dual_lshlrev_b32 v18, 24, v98 :: v_dual_lshlrev_b32 v19, 20, v64
	v_lshl_add_u32 v17, v17, 23, 0x3c000000
	s_delay_alu instid0(VALU_DEP_2) | instskip(NEXT) | instid1(VALU_DEP_1)
	v_and_b32_e32 v18, 0x80000000, v18
	v_or3_b32 v17, v19, v18, v17
.LBB4_2175:                             ;   in Loop: Header=BB4_1629 Depth=2
	s_or_b32 exec_lo, exec_lo, s29
.LBB4_2176:                             ;   in Loop: Header=BB4_1629 Depth=2
	s_delay_alu instid0(SALU_CYCLE_1)
	s_or_b32 exec_lo, exec_lo, s28
.LBB4_2177:                             ;   in Loop: Header=BB4_1629 Depth=2
	s_delay_alu instid0(SALU_CYCLE_1) | instskip(SKIP_3) | instid1(VALU_DEP_1)
	s_or_b32 exec_lo, exec_lo, s10
	s_wait_loadcnt_dscnt 0x0
	v_and_b32_e32 v18, 0xff, v25
	s_mov_b32 s10, exec_lo
	v_cmpx_ne_u16_e32 0, v18
	s_cbranch_execz .LBB4_2185
; %bb.2178:                             ;   in Loop: Header=BB4_1629 Depth=2
	v_bfrev_b32_e32 v16, 1
	s_mov_b32 s28, exec_lo
	v_cmpx_ne_u16_e32 0x80, v18
	s_cbranch_execz .LBB4_2184
; %bb.2179:                             ;   in Loop: Header=BB4_1629 Depth=2
	v_and_b32_e32 v19, 0x7f, v25
	v_mov_b32_e32 v16, 0x7f800001
	s_mov_b32 s29, exec_lo
	s_delay_alu instid0(VALU_DEP_2)
	v_cmpx_ne_u32_e32 0x7f, v19
	s_cbranch_execz .LBB4_2183
; %bb.2180:                             ;   in Loop: Header=BB4_1629 Depth=2
	v_dual_lshrrev_b32 v16, 3, v19 :: v_dual_bitop2_b32 v64, 7, v18 bitop3:0x40
	s_mov_b32 s40, exec_lo
	v_cmpx_gt_u32_e32 8, v19
; %bb.2181:                             ;   in Loop: Header=BB4_1629 Depth=2
	s_delay_alu instid0(VALU_DEP_2) | instskip(NEXT) | instid1(VALU_DEP_1)
	v_clz_i32_u32_e32 v16, v64
	v_min_u32_e32 v16, 32, v16
	s_delay_alu instid0(VALU_DEP_1) | instskip(NEXT) | instid1(VALU_DEP_1)
	v_subrev_nc_u32_e32 v18, 28, v16
	v_lshlrev_b64_e32 v[18:19], v18, v[64:65]
	s_delay_alu instid0(VALU_DEP_1)
	v_dual_sub_nc_u32 v16, 29, v16 :: v_dual_bitop2_b32 v64, 7, v18 bitop3:0x40
; %bb.2182:                             ;   in Loop: Header=BB4_1629 Depth=2
	s_or_b32 exec_lo, exec_lo, s40
	s_delay_alu instid0(VALU_DEP_1) | instskip(NEXT) | instid1(VALU_DEP_2)
	v_dual_lshlrev_b32 v18, 24, v25 :: v_dual_lshlrev_b32 v19, 20, v64
	v_lshl_add_u32 v16, v16, 23, 0x3c000000
	s_delay_alu instid0(VALU_DEP_2) | instskip(NEXT) | instid1(VALU_DEP_1)
	v_and_b32_e32 v18, 0x80000000, v18
	v_or3_b32 v16, v19, v18, v16
.LBB4_2183:                             ;   in Loop: Header=BB4_1629 Depth=2
	s_or_b32 exec_lo, exec_lo, s29
.LBB4_2184:                             ;   in Loop: Header=BB4_1629 Depth=2
	s_delay_alu instid0(SALU_CYCLE_1)
	s_or_b32 exec_lo, exec_lo, s28
.LBB4_2185:                             ;   in Loop: Header=BB4_1629 Depth=2
	s_delay_alu instid0(SALU_CYCLE_1) | instskip(NEXT) | instid1(VALU_DEP_1)
	s_or_b32 exec_lo, exec_lo, s10
	v_mul_f32_e32 v16, v17, v16
                                        ; implicit-def: $vgpr17
	s_mov_b32 s10, exec_lo
	s_delay_alu instid0(VALU_DEP_1) | instskip(SKIP_1) | instid1(VALU_DEP_2)
	v_and_b32_e32 v64, 0x7f800000, v16
	v_lshrrev_b32_e32 v18, 24, v16
	v_cmpx_ne_u64_e32 0x7f800000, v[64:65]
	s_xor_b32 s28, exec_lo, s10
	s_cbranch_execz .LBB4_2203
; %bb.2186:                             ;   in Loop: Header=BB4_1629 Depth=2
	v_and_b32_e32 v64, 0x7fffffff, v16
	v_and_b32_e32 v25, 0x80, v18
                                        ; implicit-def: $vgpr17
	s_mov_b32 s10, exec_lo
	s_delay_alu instid0(VALU_DEP_2)
	v_cmpx_gt_u64_e32 0x43e00001, v[64:65]
	s_xor_b32 s29, exec_lo, s10
	s_cbranch_execz .LBB4_2200
; %bb.2187:                             ;   in Loop: Header=BB4_1629 Depth=2
	v_mov_b32_e32 v17, 0
	s_mov_b32 s40, exec_lo
	v_cmpx_ne_u32_e32 0, v16
	s_cbranch_execz .LBB4_2199
; %bb.2188:                             ;   in Loop: Header=BB4_1629 Depth=2
	v_bfe_u32 v98, v16, 23, 8
	v_and_b32_e32 v18, 0x7fffff, v16
	s_delay_alu instid0(VALU_DEP_2) | instskip(SKIP_1) | instid1(VALU_DEP_3)
	v_sub_nc_u32_e32 v17, 0x79, v98
	v_cmp_gt_u32_e32 vcc_lo, 0x7a, v98
	v_or_b32_e32 v19, 0x800000, v18
	s_delay_alu instid0(VALU_DEP_3) | instskip(SKIP_1) | instid1(VALU_DEP_3)
	v_cndmask_b32_e32 v17, 0, v17, vcc_lo
	v_cmp_eq_u32_e32 vcc_lo, 0, v98
	v_cndmask_b32_e32 v64, v19, v18, vcc_lo
	s_delay_alu instid0(VALU_DEP_3) | instskip(NEXT) | instid1(VALU_DEP_1)
	v_cndmask_b32_e64 v101, v17, 0x78, vcc_lo
	v_dual_add_nc_u32 v16, 20, v101 :: v_dual_add_nc_u32 v112, 19, v101
	s_delay_alu instid0(VALU_DEP_1) | instskip(NEXT) | instid1(VALU_DEP_2)
	v_lshlrev_b64_e64 v[16:17], v16, -1
	v_lshlrev_b64_e64 v[18:19], v112, 1
	s_delay_alu instid0(VALU_DEP_2) | instskip(NEXT) | instid1(VALU_DEP_3)
	v_bfi_b32 v63, v17, 0, 0
	v_bfi_b32 v62, v16, 0, v64
	v_lshrrev_b64 v[16:17], v101, v[64:65]
	s_delay_alu instid0(VALU_DEP_2) | instskip(NEXT) | instid1(VALU_DEP_2)
	v_cmp_eq_u64_e64 s10, v[62:63], v[18:19]
	v_mov_b64_e32 v[18:19], v[16:17]
	s_and_saveexec_b32 s41, s10
; %bb.2189:                             ;   in Loop: Header=BB4_1629 Depth=2
	v_bfe_u32 v64, v16, 20, 1
	s_delay_alu instid0(VALU_DEP_1) | instskip(NEXT) | instid1(VALU_DEP_1)
	v_add_nc_u64_e32 v[18:19], v[16:17], v[64:65]
	v_add_nc_u64_e32 v[18:19], -1, v[18:19]
; %bb.2190:                             ;   in Loop: Header=BB4_1629 Depth=2
	s_or_b32 exec_lo, exec_lo, s41
	v_add_nc_u32_e32 v17, 0xffffff81, v98
	v_lshrrev_b32_e32 v19, 23, v16
	s_mov_b32 s10, exec_lo
	s_delay_alu instid0(VALU_DEP_2) | instskip(NEXT) | instid1(VALU_DEP_1)
	v_cndmask_b32_e64 v17, v17, 0xffffff82, vcc_lo
	v_add3_u32 v19, v101, v17, v19
	v_and_b32_e32 v17, 0xfffff, v18
                                        ; implicit-def: $vgpr18
	s_delay_alu instid0(VALU_DEP_1) | instskip(NEXT) | instid1(VALU_DEP_1)
	v_dual_add_nc_u32 v98, 6, v19 :: v_dual_add_nc_u32 v64, v17, v16
                                        ; implicit-def: $vgpr16_vgpr17
	v_cmpx_ne_u32_e32 0, v98
	s_xor_b32 s10, exec_lo, s10
; %bb.2191:                             ;   in Loop: Header=BB4_1629 Depth=2
	s_delay_alu instid0(VALU_DEP_2) | instskip(SKIP_1) | instid1(VALU_DEP_1)
	v_cmp_lt_u64_e32 vcc_lo, 0xffffff, v[64:65]
	v_add_nc_u32_e32 v16, 7, v19
	v_cndmask_b32_e32 v18, v98, v16, vcc_lo
	v_cndmask_b32_e64 v16, 0, 1, vcc_lo
	s_delay_alu instid0(VALU_DEP_1)
	v_lshrrev_b64 v[16:17], v16, v[64:65]
; %bb.2192:                             ;   in Loop: Header=BB4_1629 Depth=2
	s_and_not1_saveexec_b32 s10, s10
; %bb.2193:                             ;   in Loop: Header=BB4_1629 Depth=2
	v_mov_b64_e32 v[16:17], v[64:65]
	v_bfe_u32 v18, v64, 23, 1
; %bb.2194:                             ;   in Loop: Header=BB4_1629 Depth=2
	s_or_b32 exec_lo, exec_lo, s10
	s_delay_alu instid0(VALU_DEP_2) | instskip(NEXT) | instid1(VALU_DEP_2)
	v_lshrrev_b64 v[16:17], 20, v[16:17]
	v_cmp_gt_i32_e32 vcc_lo, 16, v18
	v_cmp_ne_u32_e64 s10, 0, v18
	s_delay_alu instid0(VALU_DEP_3) | instskip(NEXT) | instid1(VALU_DEP_1)
	v_dual_cndmask_b32 v17, 0, v17 :: v_dual_cndmask_b32 v16, 7, v16
	v_cmp_ne_u64_e32 vcc_lo, 0, v[16:17]
                                        ; implicit-def: $vgpr17
	s_or_b32 s10, s10, vcc_lo
	s_delay_alu instid0(SALU_CYCLE_1) | instskip(NEXT) | instid1(SALU_CYCLE_1)
	s_and_saveexec_b32 s41, s10
	s_xor_b32 s10, exec_lo, s41
; %bb.2195:                             ;   in Loop: Header=BB4_1629 Depth=2
	v_min_i32_e32 v17, 15, v18
	s_delay_alu instid0(VALU_DEP_1) | instskip(NEXT) | instid1(VALU_DEP_1)
	v_lshl_or_b32 v17, v17, 3, v25
                                        ; implicit-def: $vgpr25
	v_and_or_b32 v17, v16, 7, v17
; %bb.2196:                             ;   in Loop: Header=BB4_1629 Depth=2
	s_and_not1_saveexec_b32 s10, s10
; %bb.2197:                             ;   in Loop: Header=BB4_1629 Depth=2
	v_mov_b32_e32 v17, v25
; %bb.2198:                             ;   in Loop: Header=BB4_1629 Depth=2
	s_or_b32 exec_lo, exec_lo, s10
.LBB4_2199:                             ;   in Loop: Header=BB4_1629 Depth=2
	s_delay_alu instid0(SALU_CYCLE_1)
	s_or_b32 exec_lo, exec_lo, s40
                                        ; implicit-def: $vgpr25
.LBB4_2200:                             ;   in Loop: Header=BB4_1629 Depth=2
	s_and_not1_saveexec_b32 s10, s29
; %bb.2201:                             ;   in Loop: Header=BB4_1629 Depth=2
	v_or_b32_e32 v17, 0x7e, v25
; %bb.2202:                             ;   in Loop: Header=BB4_1629 Depth=2
	s_or_b32 exec_lo, exec_lo, s10
                                        ; implicit-def: $vgpr18
.LBB4_2203:                             ;   in Loop: Header=BB4_1629 Depth=2
	s_and_not1_saveexec_b32 s10, s28
	s_cbranch_execz .LBB4_1628
; %bb.2204:                             ;   in Loop: Header=BB4_1629 Depth=2
	v_or_b32_e32 v17, 0x7f, v18
	s_branch .LBB4_1628
.LBB4_2205:                             ;   in Loop: Header=BB4_49 Depth=1
	s_or_b32 exec_lo, exec_lo, s27
.LBB4_2206:                             ;   in Loop: Header=BB4_49 Depth=1
	s_delay_alu instid0(SALU_CYCLE_1) | instskip(SKIP_1) | instid1(VALU_DEP_1)
	s_or_b32 exec_lo, exec_lo, s12
	v_and_b32_e32 v10, 0xfffffe00, v21
	v_cmp_ne_u32_e32 vcc_lo, v21, v10
	s_and_b32 exec_lo, exec_lo, vcc_lo
	s_cbranch_execz .LBB4_2246
; %bb.2207:                             ;   in Loop: Header=BB4_49 Depth=1
	v_dual_add_nc_u32 v11, v22, v24 :: v_dual_lshlrev_b32 v12, 5, v23
	s_delay_alu instid0(VALU_DEP_1) | instskip(NEXT) | instid1(VALU_DEP_1)
	v_and_b32_e32 v11, 0xffffffe0, v11
	v_sub_nc_u32_e32 v11, v22, v11
	s_delay_alu instid0(VALU_DEP_1) | instskip(SKIP_1) | instid1(VALU_DEP_1)
	v_sub_nc_u32_e32 v11, v11, v12
	v_and_b32_e32 v12, 0x1ff, v21
	v_sub_nc_u32_e32 v21, v12, v11
	s_delay_alu instid0(VALU_DEP_1)
	v_cmp_lt_i32_e32 vcc_lo, 0, v21
	s_and_b32 exec_lo, exec_lo, vcc_lo
	s_cbranch_execz .LBB4_2246
; %bb.2208:                             ;   in Loop: Header=BB4_49 Depth=1
	s_trap 2
	ds_load_b128 v[12:15], v0
	ds_load_b64 v[16:17], v0
	v_add3_u32 v18, v10, v20, v11
	s_mov_b32 s12, 0
	s_delay_alu instid0(VALU_DEP_1) | instskip(SKIP_1) | instid1(VALU_DEP_1)
	v_ashrrev_i32_e32 v19, 31, v18
	s_wait_dscnt 0x1
	v_add_nc_u64_e32 v[10:11], v[12:13], v[18:19]
	v_add_nc_u64_e32 v[12:13], v[14:15], v[18:19]
	s_wait_dscnt 0x0
	v_add_nc_u64_e32 v[14:15], v[16:17], v[18:19]
	s_branch .LBB4_2210
.LBB4_2209:                             ;   in Loop: Header=BB4_2210 Depth=2
	s_or_b32 exec_lo, exec_lo, s10
	v_sub_nc_u32_e32 v21, v21, v66
	flat_store_b8 v[14:15], v17 th:TH_STORE_NT
	v_add_nc_u64_e32 v[10:11], v[10:11], v[66:67]
	v_add_nc_u64_e32 v[12:13], v[12:13], v[66:67]
	s_wait_xcnt 0x0
	v_add_nc_u64_e32 v[14:15], v[14:15], v[66:67]
	v_cmp_gt_i32_e32 vcc_lo, 1, v21
	s_or_b32 s12, vcc_lo, s12
	s_delay_alu instid0(SALU_CYCLE_1)
	s_and_not1_b32 exec_lo, exec_lo, s12
	s_cbranch_execz .LBB4_2246
.LBB4_2210:                             ;   Parent Loop BB4_49 Depth=1
                                        ; =>  This Inner Loop Header: Depth=2
	flat_load_u8 v19, v[10:11] th:TH_LOAD_NT
	flat_load_u8 v16, v[12:13] th:TH_LOAD_NT
	v_dual_mov_b32 v17, 0 :: v_dual_mov_b32 v18, 0
	s_mov_b32 s10, exec_lo
	s_wait_loadcnt_dscnt 0x101
	s_wait_xcnt 0x0
	v_cmpx_ne_u16_e32 0, v19
	s_cbranch_execz .LBB4_2218
; %bb.2211:                             ;   in Loop: Header=BB4_2210 Depth=2
	v_bfrev_b32_e32 v18, 1
	s_mov_b32 s27, exec_lo
	v_cmpx_ne_u16_e32 0x80, v19
	s_cbranch_execz .LBB4_2217
; %bb.2212:                             ;   in Loop: Header=BB4_2210 Depth=2
	v_and_b32_e32 v22, 0xffff, v19
	v_mov_b32_e32 v18, 0x7f800001
	s_mov_b32 s28, exec_lo
	s_delay_alu instid0(VALU_DEP_2) | instskip(NEXT) | instid1(VALU_DEP_1)
	v_and_b32_e32 v20, 0x7f, v22
	v_cmpx_ne_u32_e32 0x7f, v20
	s_cbranch_execz .LBB4_2216
; %bb.2213:                             ;   in Loop: Header=BB4_2210 Depth=2
	v_dual_lshrrev_b32 v18, 3, v20 :: v_dual_bitop2_b32 v64, 7, v22 bitop3:0x40
	s_mov_b32 s29, exec_lo
	v_cmpx_gt_u32_e32 8, v20
; %bb.2214:                             ;   in Loop: Header=BB4_2210 Depth=2
	s_delay_alu instid0(VALU_DEP_2) | instskip(NEXT) | instid1(VALU_DEP_1)
	v_clz_i32_u32_e32 v18, v64
	v_min_u32_e32 v18, 32, v18
	s_delay_alu instid0(VALU_DEP_1) | instskip(SKIP_1) | instid1(VALU_DEP_2)
	v_subrev_nc_u32_e32 v20, 28, v18
	v_sub_nc_u32_e32 v18, 29, v18
	v_lshlrev_b64_e32 v[22:23], v20, v[64:65]
	s_delay_alu instid0(VALU_DEP_1)
	v_and_b32_e32 v64, 7, v22
; %bb.2215:                             ;   in Loop: Header=BB4_2210 Depth=2
	s_or_b32 exec_lo, exec_lo, s29
	s_delay_alu instid0(VALU_DEP_1) | instskip(SKIP_1) | instid1(VALU_DEP_2)
	v_dual_lshlrev_b32 v19, 24, v19 :: v_dual_lshlrev_b32 v20, 20, v64
	v_lshl_add_u32 v18, v18, 23, 0x3c000000
	v_and_b32_e32 v19, 0x80000000, v19
	s_delay_alu instid0(VALU_DEP_1)
	v_or3_b32 v18, v20, v19, v18
.LBB4_2216:                             ;   in Loop: Header=BB4_2210 Depth=2
	s_or_b32 exec_lo, exec_lo, s28
.LBB4_2217:                             ;   in Loop: Header=BB4_2210 Depth=2
	s_delay_alu instid0(SALU_CYCLE_1)
	s_or_b32 exec_lo, exec_lo, s27
.LBB4_2218:                             ;   in Loop: Header=BB4_2210 Depth=2
	s_delay_alu instid0(SALU_CYCLE_1) | instskip(SKIP_3) | instid1(VALU_DEP_1)
	s_or_b32 exec_lo, exec_lo, s10
	s_wait_loadcnt_dscnt 0x0
	v_and_b32_e32 v19, 0xff, v16
	s_mov_b32 s10, exec_lo
	v_cmpx_ne_u16_e32 0, v19
	s_cbranch_execz .LBB4_2226
; %bb.2219:                             ;   in Loop: Header=BB4_2210 Depth=2
	v_bfrev_b32_e32 v17, 1
	s_mov_b32 s27, exec_lo
	v_cmpx_ne_u16_e32 0x80, v19
	s_cbranch_execz .LBB4_2225
; %bb.2220:                             ;   in Loop: Header=BB4_2210 Depth=2
	v_and_b32_e32 v20, 0x7f, v16
	v_mov_b32_e32 v17, 0x7f800001
	s_mov_b32 s28, exec_lo
	s_delay_alu instid0(VALU_DEP_2)
	v_cmpx_ne_u32_e32 0x7f, v20
	s_cbranch_execz .LBB4_2224
; %bb.2221:                             ;   in Loop: Header=BB4_2210 Depth=2
	v_dual_lshrrev_b32 v17, 3, v20 :: v_dual_bitop2_b32 v64, 7, v19 bitop3:0x40
	s_mov_b32 s29, exec_lo
	v_cmpx_gt_u32_e32 8, v20
; %bb.2222:                             ;   in Loop: Header=BB4_2210 Depth=2
	s_delay_alu instid0(VALU_DEP_2) | instskip(NEXT) | instid1(VALU_DEP_1)
	v_clz_i32_u32_e32 v17, v64
	v_min_u32_e32 v17, 32, v17
	s_delay_alu instid0(VALU_DEP_1) | instskip(NEXT) | instid1(VALU_DEP_1)
	v_subrev_nc_u32_e32 v19, 28, v17
	v_lshlrev_b64_e32 v[22:23], v19, v[64:65]
	s_delay_alu instid0(VALU_DEP_1)
	v_dual_sub_nc_u32 v17, 29, v17 :: v_dual_bitop2_b32 v64, 7, v22 bitop3:0x40
; %bb.2223:                             ;   in Loop: Header=BB4_2210 Depth=2
	s_or_b32 exec_lo, exec_lo, s29
	v_lshlrev_b32_e32 v16, 24, v16
	s_delay_alu instid0(VALU_DEP_2) | instskip(NEXT) | instid1(VALU_DEP_3)
	v_lshlrev_b32_e32 v19, 20, v64
	v_lshl_add_u32 v17, v17, 23, 0x3c000000
	s_delay_alu instid0(VALU_DEP_3) | instskip(NEXT) | instid1(VALU_DEP_1)
	v_and_b32_e32 v16, 0x80000000, v16
	v_or3_b32 v17, v19, v16, v17
.LBB4_2224:                             ;   in Loop: Header=BB4_2210 Depth=2
	s_or_b32 exec_lo, exec_lo, s28
.LBB4_2225:                             ;   in Loop: Header=BB4_2210 Depth=2
	s_delay_alu instid0(SALU_CYCLE_1)
	s_or_b32 exec_lo, exec_lo, s27
.LBB4_2226:                             ;   in Loop: Header=BB4_2210 Depth=2
	s_delay_alu instid0(SALU_CYCLE_1) | instskip(NEXT) | instid1(VALU_DEP_1)
	s_or_b32 exec_lo, exec_lo, s10
	v_mul_f32_e32 v16, v18, v17
                                        ; implicit-def: $vgpr17
	s_mov_b32 s10, exec_lo
	s_delay_alu instid0(VALU_DEP_1) | instskip(SKIP_1) | instid1(VALU_DEP_2)
	v_and_b32_e32 v64, 0x7f800000, v16
	v_lshrrev_b32_e32 v18, 24, v16
	v_cmpx_ne_u64_e32 0x7f800000, v[64:65]
	s_xor_b32 s27, exec_lo, s10
	s_cbranch_execz .LBB4_2244
; %bb.2227:                             ;   in Loop: Header=BB4_2210 Depth=2
	v_and_b32_e32 v64, 0x7fffffff, v16
	v_and_b32_e32 v20, 0x80, v18
                                        ; implicit-def: $vgpr17
	s_mov_b32 s10, exec_lo
	s_delay_alu instid0(VALU_DEP_2)
	v_cmpx_gt_u64_e32 0x43e00001, v[64:65]
	s_xor_b32 s28, exec_lo, s10
	s_cbranch_execz .LBB4_2241
; %bb.2228:                             ;   in Loop: Header=BB4_2210 Depth=2
	v_mov_b32_e32 v17, 0
	s_mov_b32 s29, exec_lo
	v_cmpx_ne_u32_e32 0, v16
	s_cbranch_execz .LBB4_2240
; %bb.2229:                             ;   in Loop: Header=BB4_2210 Depth=2
	v_bfe_u32 v22, v16, 23, 8
	v_and_b32_e32 v18, 0x7fffff, v16
	s_delay_alu instid0(VALU_DEP_2) | instskip(SKIP_1) | instid1(VALU_DEP_3)
	v_sub_nc_u32_e32 v17, 0x79, v22
	v_cmp_gt_u32_e32 vcc_lo, 0x7a, v22
	v_or_b32_e32 v19, 0x800000, v18
	s_delay_alu instid0(VALU_DEP_3) | instskip(SKIP_1) | instid1(VALU_DEP_2)
	v_cndmask_b32_e32 v17, 0, v17, vcc_lo
	v_cmp_eq_u32_e32 vcc_lo, 0, v22
	v_cndmask_b32_e64 v23, v17, 0x78, vcc_lo
	s_delay_alu instid0(VALU_DEP_1) | instskip(SKIP_1) | instid1(VALU_DEP_2)
	v_dual_cndmask_b32 v64, v19, v18, vcc_lo :: v_dual_add_nc_u32 v24, 19, v23
	v_add_nc_u32_e32 v16, 20, v23
	v_lshlrev_b64_e64 v[18:19], v24, 1
	s_delay_alu instid0(VALU_DEP_2) | instskip(NEXT) | instid1(VALU_DEP_1)
	v_lshlrev_b64_e64 v[16:17], v16, -1
	v_bfi_b32 v25, v17, 0, 0
	s_delay_alu instid0(VALU_DEP_2) | instskip(SKIP_1) | instid1(VALU_DEP_2)
	v_bfi_b32 v24, v16, 0, v64
	v_lshrrev_b64 v[16:17], v23, v[64:65]
	v_cmp_eq_u64_e64 s10, v[24:25], v[18:19]
	s_delay_alu instid0(VALU_DEP_2)
	v_mov_b64_e32 v[18:19], v[16:17]
	s_and_saveexec_b32 s40, s10
; %bb.2230:                             ;   in Loop: Header=BB4_2210 Depth=2
	v_bfe_u32 v64, v16, 20, 1
	s_delay_alu instid0(VALU_DEP_1) | instskip(NEXT) | instid1(VALU_DEP_1)
	v_add_nc_u64_e32 v[18:19], v[16:17], v[64:65]
	v_add_nc_u64_e32 v[18:19], -1, v[18:19]
; %bb.2231:                             ;   in Loop: Header=BB4_2210 Depth=2
	s_or_b32 exec_lo, exec_lo, s40
	v_add_nc_u32_e32 v17, 0xffffff81, v22
	v_lshrrev_b32_e32 v19, 23, v16
	s_mov_b32 s10, exec_lo
	s_delay_alu instid0(VALU_DEP_2) | instskip(NEXT) | instid1(VALU_DEP_1)
	v_cndmask_b32_e64 v17, v17, 0xffffff82, vcc_lo
	v_add3_u32 v19, v23, v17, v19
	v_and_b32_e32 v17, 0xfffff, v18
                                        ; implicit-def: $vgpr18
	s_delay_alu instid0(VALU_DEP_1) | instskip(NEXT) | instid1(VALU_DEP_1)
	v_dual_add_nc_u32 v22, 6, v19 :: v_dual_add_nc_u32 v64, v17, v16
                                        ; implicit-def: $vgpr16_vgpr17
	v_cmpx_ne_u32_e32 0, v22
	s_xor_b32 s10, exec_lo, s10
; %bb.2232:                             ;   in Loop: Header=BB4_2210 Depth=2
	s_delay_alu instid0(VALU_DEP_2) | instskip(SKIP_1) | instid1(VALU_DEP_1)
	v_cmp_lt_u64_e32 vcc_lo, 0xffffff, v[64:65]
	v_add_nc_u32_e32 v16, 7, v19
	v_cndmask_b32_e32 v18, v22, v16, vcc_lo
	v_cndmask_b32_e64 v16, 0, 1, vcc_lo
	s_delay_alu instid0(VALU_DEP_1)
	v_lshrrev_b64 v[16:17], v16, v[64:65]
; %bb.2233:                             ;   in Loop: Header=BB4_2210 Depth=2
	s_and_not1_saveexec_b32 s10, s10
; %bb.2234:                             ;   in Loop: Header=BB4_2210 Depth=2
	v_mov_b64_e32 v[16:17], v[64:65]
	v_bfe_u32 v18, v64, 23, 1
; %bb.2235:                             ;   in Loop: Header=BB4_2210 Depth=2
	s_or_b32 exec_lo, exec_lo, s10
	s_delay_alu instid0(VALU_DEP_2) | instskip(NEXT) | instid1(VALU_DEP_2)
	v_lshrrev_b64 v[16:17], 20, v[16:17]
	v_cmp_gt_i32_e32 vcc_lo, 16, v18
	v_cmp_ne_u32_e64 s10, 0, v18
	s_delay_alu instid0(VALU_DEP_3) | instskip(NEXT) | instid1(VALU_DEP_1)
	v_dual_cndmask_b32 v17, 0, v17 :: v_dual_cndmask_b32 v16, 7, v16
	v_cmp_ne_u64_e32 vcc_lo, 0, v[16:17]
                                        ; implicit-def: $vgpr17
	s_or_b32 s10, s10, vcc_lo
	s_delay_alu instid0(SALU_CYCLE_1) | instskip(NEXT) | instid1(SALU_CYCLE_1)
	s_and_saveexec_b32 s40, s10
	s_xor_b32 s10, exec_lo, s40
; %bb.2236:                             ;   in Loop: Header=BB4_2210 Depth=2
	v_min_i32_e32 v17, 15, v18
	s_delay_alu instid0(VALU_DEP_1) | instskip(NEXT) | instid1(VALU_DEP_1)
	v_lshl_or_b32 v17, v17, 3, v20
                                        ; implicit-def: $vgpr20
	v_and_or_b32 v17, v16, 7, v17
; %bb.2237:                             ;   in Loop: Header=BB4_2210 Depth=2
	s_and_not1_saveexec_b32 s10, s10
; %bb.2238:                             ;   in Loop: Header=BB4_2210 Depth=2
	v_mov_b32_e32 v17, v20
; %bb.2239:                             ;   in Loop: Header=BB4_2210 Depth=2
	s_or_b32 exec_lo, exec_lo, s10
.LBB4_2240:                             ;   in Loop: Header=BB4_2210 Depth=2
	s_delay_alu instid0(SALU_CYCLE_1)
	s_or_b32 exec_lo, exec_lo, s29
                                        ; implicit-def: $vgpr20
.LBB4_2241:                             ;   in Loop: Header=BB4_2210 Depth=2
	s_and_not1_saveexec_b32 s10, s28
; %bb.2242:                             ;   in Loop: Header=BB4_2210 Depth=2
	v_or_b32_e32 v17, 0x7e, v20
; %bb.2243:                             ;   in Loop: Header=BB4_2210 Depth=2
	s_or_b32 exec_lo, exec_lo, s10
                                        ; implicit-def: $vgpr18
.LBB4_2244:                             ;   in Loop: Header=BB4_2210 Depth=2
	s_and_not1_saveexec_b32 s10, s27
	s_cbranch_execz .LBB4_2209
; %bb.2245:                             ;   in Loop: Header=BB4_2210 Depth=2
	v_or_b32_e32 v17, 0x7f, v18
	s_branch .LBB4_2209
.LBB4_2246:                             ;   in Loop: Header=BB4_49 Depth=1
	s_or_b32 exec_lo, exec_lo, s11
	v_cmp_ne_u32_e64 s10, 0, v87
	s_and_saveexec_b32 s11, s2
	s_cbranch_execz .LBB4_2265
.LBB4_2247:                             ;   in Loop: Header=BB4_49 Depth=1
	s_and_saveexec_b32 s12, s3
	s_delay_alu instid0(SALU_CYCLE_1)
	s_xor_b32 s12, exec_lo, s12
	s_cbranch_execz .LBB4_2262
; %bb.2248:                             ;   in Loop: Header=BB4_49 Depth=1
	s_and_saveexec_b32 s27, s4
	s_cbranch_execz .LBB4_2261
; %bb.2249:                             ;   in Loop: Header=BB4_49 Depth=1
	s_mov_b32 s29, exec_lo
	s_mov_b32 s28, exec_lo
	v_mbcnt_lo_u32_b32 v10, s29, 0
	global_wb scope:SCOPE_DEV
	s_wait_storecnt 0x0
	s_wait_loadcnt_dscnt 0x0
	global_inv scope:SCOPE_DEV
	v_cmpx_eq_u32_e32 0, v10
	s_cbranch_execz .LBB4_2251
; %bb.2250:                             ;   in Loop: Header=BB4_49 Depth=1
	s_bcnt1_i32_b32 s29, s29
	s_delay_alu instid0(SALU_CYCLE_1)
	v_mov_b32_e32 v64, s29
	s_wait_loadcnt 0x0
	ds_add_u64 v0, v[64:65]
	s_trap 2
.LBB4_2251:                             ;   in Loop: Header=BB4_49 Depth=1
	s_or_b32 exec_lo, exec_lo, s28
	s_trap 2
	ds_load_b64 v[10:11], v0
	s_wait_dscnt 0x0
	v_add_nc_u64_e32 v[48:49], v[48:49], v[54:55]
	s_mov_b32 s28, exec_lo
	s_delay_alu instid0(VALU_DEP_1)
	v_cmpx_lt_u64_e64 v[10:11], v[48:49]
	s_cbranch_execz .LBB4_2260
; %bb.2252:                             ;   in Loop: Header=BB4_49 Depth=1
	s_mov_b32 s29, 0
	s_mov_b32 s42, 0
                                        ; implicit-def: $sgpr40
                                        ; implicit-def: $sgpr41
	s_branch .LBB4_2254
.LBB4_2253:                             ;   in Loop: Header=BB4_2254 Depth=2
	s_or_b32 exec_lo, exec_lo, s44
	s_delay_alu instid0(SALU_CYCLE_1) | instskip(NEXT) | instid1(SALU_CYCLE_1)
	s_and_b32 s43, exec_lo, s45
	s_or_b32 s29, s43, s29
	s_and_not1_b32 s40, s40, exec_lo
	s_and_b32 s43, s41, exec_lo
	s_delay_alu instid0(SALU_CYCLE_1)
	s_or_b32 s40, s40, s43
	s_and_not1_b32 exec_lo, exec_lo, s29
	s_cbranch_execz .LBB4_2258
.LBB4_2254:                             ;   Parent Loop BB4_49 Depth=1
                                        ; =>  This Inner Loop Header: Depth=2
	s_add_co_i32 s42, s42, 1
	s_delay_alu instid0(SALU_CYCLE_1) | instskip(SKIP_1) | instid1(SALU_CYCLE_1)
	s_cmp_lg_u32 s42, 0x2710
	s_cselect_b32 s43, -1, 0
	s_and_b32 vcc_lo, exec_lo, s43
	s_cbranch_vccz .LBB4_2256
; %bb.2255:                             ;   in Loop: Header=BB4_2254 Depth=2
	s_mov_b32 s45, -1
	s_or_b32 s41, s41, exec_lo
	s_and_saveexec_b32 s44, s43
	s_cbranch_execz .LBB4_2253
	s_branch .LBB4_2257
.LBB4_2256:                             ;   in Loop: Header=BB4_2254 Depth=2
	s_trap 2
	ds_load_b64 v[10:11], v0
	s_and_not1_b32 s43, s43, exec_lo
	s_mov_b32 s42, 0
	s_wait_loadcnt_dscnt 0x0
	flat_load_b32 v10, v[10:11] scope:SCOPE_SYS
	s_wait_loadcnt_dscnt 0x0
	global_inv scope:SCOPE_SYS
	v_cmp_eq_u32_e32 vcc_lo, 0, v10
	s_and_b32 s44, vcc_lo, exec_lo
	s_delay_alu instid0(SALU_CYCLE_1)
	s_or_b32 s43, s43, s44
	s_mov_b32 s45, -1
	s_or_b32 s41, s41, exec_lo
	s_and_saveexec_b32 s44, s43
	s_cbranch_execz .LBB4_2253
.LBB4_2257:                             ;   in Loop: Header=BB4_2254 Depth=2
	s_sleep 1
	s_trap 2
	ds_load_b64 v[10:11], v0
	s_wait_dscnt 0x0
	s_and_not1_b32 s41, s41, exec_lo
	v_cmp_ge_u64_e32 vcc_lo, v[10:11], v[48:49]
	s_or_not1_b32 s45, vcc_lo, exec_lo
	s_branch .LBB4_2253
.LBB4_2258:                             ;   in Loop: Header=BB4_49 Depth=1
	s_or_b32 exec_lo, exec_lo, s29
	s_and_saveexec_b32 s29, s40
	s_delay_alu instid0(SALU_CYCLE_1)
	s_xor_b32 s29, exec_lo, s29
	s_cbranch_execz .LBB4_2260
; %bb.2259:                             ;   in Loop: Header=BB4_49 Depth=1
	ds_store_b32 v0, v43
	s_trap 2
.LBB4_2260:                             ;   in Loop: Header=BB4_49 Depth=1
	s_or_b32 exec_lo, exec_lo, s28
	;;#ASMSTART
	s_wakeup
	;;#ASMEND
.LBB4_2261:                             ;   in Loop: Header=BB4_49 Depth=1
	s_or_b32 exec_lo, exec_lo, s27
.LBB4_2262:                             ;   in Loop: Header=BB4_49 Depth=1
	s_and_not1_saveexec_b32 s12, s12
	s_cbranch_execz .LBB4_2264
; %bb.2263:                             ;   in Loop: Header=BB4_49 Depth=1
	global_wb scope:SCOPE_DEV
	s_wait_storecnt 0x0
	s_wait_loadcnt_dscnt 0x0
	global_inv scope:SCOPE_DEV
	s_barrier_signal -1
	s_barrier_wait -1
.LBB4_2264:                             ;   in Loop: Header=BB4_49 Depth=1
	s_or_b32 exec_lo, exec_lo, s12
.LBB4_2265:                             ;   in Loop: Header=BB4_49 Depth=1
	s_delay_alu instid0(SALU_CYCLE_1) | instskip(SKIP_1) | instid1(VALU_DEP_1)
	s_or_b32 exec_lo, exec_lo, s11
	v_and_b32_e32 v10, 16, v30
	v_cmp_ne_u32_e32 vcc_lo, 0, v10
	s_and_b32 s11, vcc_lo, s10
	s_delay_alu instid0(SALU_CYCLE_1)
	s_and_saveexec_b32 s10, s11
	s_cbranch_execz .LBB4_2267
; %bb.2266:                             ;   in Loop: Header=BB4_49 Depth=1
	global_wb scope:SCOPE_SYS
	s_wait_storecnt 0x0
	s_wait_loadcnt_dscnt 0x0
	global_inv scope:SCOPE_SYS
.LBB4_2267:                             ;   in Loop: Header=BB4_49 Depth=1
	s_or_b32 exec_lo, exec_lo, s10
	v_cmp_ne_u32_e32 vcc_lo, 0, v10
	s_xor_b32 s10, s7, -1
	s_delay_alu instid0(SALU_CYCLE_1) | instskip(NEXT) | instid1(SALU_CYCLE_1)
	s_and_b32 s11, vcc_lo, s10
	s_and_saveexec_b32 s10, s11
	s_cbranch_execz .LBB4_2269
; %bb.2268:                             ;   in Loop: Header=BB4_49 Depth=1
	global_wb scope:SCOPE_SYS
	s_wait_storecnt 0x0
	s_wait_loadcnt_dscnt 0x0
	flat_store_b32 v[52:53], v43 scope:SCOPE_SYS
.LBB4_2269:                             ;   in Loop: Header=BB4_49 Depth=1
	s_wait_xcnt 0x0
	s_or_b32 exec_lo, exec_lo, s10
	v_and_b32_e32 v10, 48, v30
	s_mov_b32 s10, exec_lo
	s_delay_alu instid0(VALU_DEP_1)
	v_cmpx_ne_u32_e32 0, v10
	s_cbranch_execz .LBB4_2271
; %bb.2270:                             ;   in Loop: Header=BB4_49 Depth=1
	v_add_nc_u64_e32 v[8:9], 1, v[8:9]
	global_wb scope:SCOPE_SYS
	s_wait_storecnt 0x0
	s_wait_loadcnt_dscnt 0x0
	flat_store_b64 v[32:33], v[8:9] scope:SCOPE_SYS
.LBB4_2271:                             ;   in Loop: Header=BB4_49 Depth=1
	s_wait_xcnt 0x0
	s_or_b32 exec_lo, exec_lo, s10
	v_mov_b32_e32 v10, v96
.LBB4_2272:                             ;   in Loop: Header=BB4_49 Depth=1
	s_or_b32 exec_lo, exec_lo, s26
	s_and_saveexec_b32 s11, s25
	s_cbranch_execz .LBB4_48
; %bb.2273:                             ;   in Loop: Header=BB4_49 Depth=1
	s_delay_alu instid0(VALU_DEP_1) | instskip(SKIP_2) | instid1(VALU_DEP_2)
	v_sub_nc_u32_e32 v10, v86, v10
	v_and_b32_e32 v11, 12, v30
	s_mov_b32 s12, exec_lo
	v_min_i32_e32 v10, v96, v10
	s_delay_alu instid0(VALU_DEP_2)
	v_cmpx_ne_u32_e32 0, v11
	s_cbranch_execz .LBB4_2299
; %bb.2274:                             ;   in Loop: Header=BB4_49 Depth=1
	v_and_b32_e32 v64, 8, v30
	s_wait_dscnt 0x0
	v_add_nc_u64_e32 v[12:13], 1, v[8:9]
	s_mov_b32 s25, exec_lo
	s_wait_loadcnt 0x0
	v_add_nc_u64_e32 v[14:15], v[38:39], v[64:65]
	s_delay_alu instid0(VALU_DEP_1)
	v_cmpx_lt_u64_e64 v[14:15], v[12:13]
	s_cbranch_execz .LBB4_2286
; %bb.2275:                             ;   in Loop: Header=BB4_49 Depth=1
	v_and_b32_e32 v9, 64, v30
	s_mov_b32 s26, 0
	s_mov_b32 s40, 0
                                        ; implicit-def: $sgpr27
                                        ; implicit-def: $sgpr28
                                        ; implicit-def: $sgpr29
	s_delay_alu instid0(VALU_DEP_1)
	v_cmp_eq_u32_e32 vcc_lo, 0, v9
	s_branch .LBB4_2279
.LBB4_2276:                             ;   in Loop: Header=BB4_2279 Depth=2
	s_wait_loadcnt_dscnt 0x0
	v_add_nc_u64_e32 v[14:15], v[38:39], v[64:65]
	s_or_b32 s43, s43, exec_lo
	s_delay_alu instid0(VALU_DEP_1)
	v_cmp_ge_u64_e64 s10, v[14:15], v[12:13]
	s_or_not1_b32 s42, s10, exec_lo
.LBB4_2277:                             ;   in Loop: Header=BB4_2279 Depth=2
	s_or_b32 exec_lo, exec_lo, s45
	s_delay_alu instid0(SALU_CYCLE_1)
	s_and_not1_b32 s10, s29, exec_lo
	s_and_b32 s29, s43, exec_lo
	s_and_not1_b32 s28, s28, exec_lo
	s_and_b32 s42, s42, exec_lo
	s_or_b32 s29, s10, s29
	s_or_b32 s28, s28, s42
.LBB4_2278:                             ;   in Loop: Header=BB4_2279 Depth=2
	s_or_b32 exec_lo, exec_lo, s41
	s_delay_alu instid0(SALU_CYCLE_1) | instskip(NEXT) | instid1(SALU_CYCLE_1)
	s_and_b32 s10, exec_lo, s28
	s_or_b32 s26, s10, s26
	s_and_not1_b32 s10, s27, exec_lo
	s_and_b32 s27, s29, exec_lo
	s_delay_alu instid0(SALU_CYCLE_1)
	s_or_b32 s27, s10, s27
	s_and_not1_b32 exec_lo, exec_lo, s26
	s_cbranch_execz .LBB4_2283
.LBB4_2279:                             ;   Parent Loop BB4_49 Depth=1
                                        ; =>  This Inner Loop Header: Depth=2
	s_sleep 1
	s_wait_loadcnt_dscnt 0x0
	flat_load_b64 v[38:39], v[32:33] scope:SCOPE_SYS
	s_or_b32 s29, s29, exec_lo
	s_or_b32 s28, s28, exec_lo
                                        ; implicit-def: $vgpr9
	s_wait_xcnt 0x0
	s_and_saveexec_b32 s41, vcc_lo
	s_cbranch_execz .LBB4_2278
; %bb.2280:                             ;   in Loop: Header=BB4_2279 Depth=2
	s_cmp_lt_i32 s40, 0x270f
	s_mov_b32 s42, -1
	s_cselect_b32 s44, -1, 0
	s_cmp_gt_i32 s40, 0x270e
	s_cbranch_scc0 .LBB4_2282
; %bb.2281:                             ;   in Loop: Header=BB4_2279 Depth=2
	s_trap 2
	ds_load_b64 v[14:15], v0
	s_and_not1_b32 s40, s44, exec_lo
	s_mov_b32 s43, 0
	s_wait_storecnt 0x0
	s_wait_loadcnt_dscnt 0x0
	flat_load_b32 v9, v[14:15] scope:SCOPE_SYS
	s_wait_loadcnt_dscnt 0x0
	global_inv scope:SCOPE_SYS
	v_cmp_eq_u32_e64 s10, 0, v9
	s_and_b32 s10, s10, exec_lo
	s_delay_alu instid0(SALU_CYCLE_1)
	s_or_b32 s44, s40, s10
	s_mov_b32 s40, 0
	s_and_saveexec_b32 s45, s44
	s_cbranch_execz .LBB4_2277
	s_branch .LBB4_2276
.LBB4_2282:                             ;   in Loop: Header=BB4_2279 Depth=2
	s_add_co_i32 s40, s40, 1
	s_mov_b32 s43, -1
                                        ; implicit-def: $vgpr9
	s_and_saveexec_b32 s45, s44
	s_cbranch_execz .LBB4_2277
	s_branch .LBB4_2276
.LBB4_2283:                             ;   in Loop: Header=BB4_49 Depth=1
	s_or_b32 exec_lo, exec_lo, s26
	s_xor_b32 s10, s27, -1
	s_delay_alu instid0(SALU_CYCLE_1) | instskip(NEXT) | instid1(SALU_CYCLE_1)
	s_and_saveexec_b32 s26, s10
	s_xor_b32 s10, exec_lo, s26
	s_cbranch_execz .LBB4_2285
; %bb.2284:                             ;   in Loop: Header=BB4_49 Depth=1
	v_or_b32_e32 v30, 64, v30
	s_wait_storecnt 0x0
	s_wait_loadcnt_dscnt 0x0
	ds_store_b32 v0, v9
	s_trap 2
.LBB4_2285:                             ;   in Loop: Header=BB4_49 Depth=1
	s_or_b32 exec_lo, exec_lo, s10
.LBB4_2286:                             ;   in Loop: Header=BB4_49 Depth=1
	s_delay_alu instid0(SALU_CYCLE_1) | instskip(SKIP_2) | instid1(VALU_DEP_1)
	s_or_b32 exec_lo, exec_lo, s25
	v_and_b32_e32 v9, 0x108, v30
	;;#ASMSTART
	s_wakeup
	;;#ASMEND
	v_cmp_ne_u32_e32 vcc_lo, 0x108, v9
	v_and_b32_e32 v8, 7, v8
	s_and_saveexec_b32 s10, vcc_lo
	s_delay_alu instid0(SALU_CYCLE_1)
	s_xor_b32 s10, exec_lo, s10
; %bb.2287:                             ;   in Loop: Header=BB4_49 Depth=1
	v_mov_b32_e32 v9, v65
; %bb.2288:                             ;   in Loop: Header=BB4_49 Depth=1
	s_and_not1_saveexec_b32 s10, s10
	s_cbranch_execz .LBB4_2290
; %bb.2289:                             ;   in Loop: Header=BB4_49 Depth=1
	v_mad_nc_u64_u32 v[14:15], v8, 24, v[6:7]
	v_dual_ashrrev_i32 v11, 31, v10 :: v_dual_mov_b32 v9, v65
	flat_store_b64 v[14:15], v[10:11] offset:8
.LBB4_2290:                             ;   in Loop: Header=BB4_49 Depth=1
	s_wait_xcnt 0x0
	s_or_b32 exec_lo, exec_lo, s10
	v_and_b32_e32 v11, 0x100, v30
	s_mov_b32 s10, -1
	s_mov_b32 s25, exec_lo
                                        ; implicit-def: $vgpr14_vgpr15
	s_delay_alu instid0(VALU_DEP_1)
	v_cmpx_ne_u32_e32 0, v11
	s_cbranch_execz .LBB4_2294
; %bb.2291:                             ;   in Loop: Header=BB4_49 Depth=1
	v_mad_nc_u64_u32 v[16:17], v8, 24, v[6:7]
	s_mov_b32 s26, exec_lo
                                        ; implicit-def: $vgpr14_vgpr15
	s_delay_alu instid0(VALU_DEP_1)
	v_mad_u32 v17, v9, 24, v17
	flat_load_b32 v11, v[16:17]
	s_wait_loadcnt_dscnt 0x0
	v_cmp_ne_u32_e32 vcc_lo, 1, v11
	s_wait_xcnt 0x0
	v_cmpx_eq_u32_e32 1, v11
	s_cbranch_execz .LBB4_2293
; %bb.2292:                             ;   in Loop: Header=BB4_49 Depth=1
	flat_load_b32 v14, v[16:17] offset:4 scope:SCOPE_SYS
	s_wait_loadcnt_dscnt 0x0
	v_ashrrev_i32_e32 v15, 31, v14
.LBB4_2293:                             ;   in Loop: Header=BB4_49 Depth=1
	s_wait_xcnt 0x0
	s_or_b32 exec_lo, exec_lo, s26
	s_delay_alu instid0(SALU_CYCLE_1)
	s_or_not1_b32 s10, vcc_lo, exec_lo
.LBB4_2294:                             ;   in Loop: Header=BB4_49 Depth=1
	s_or_b32 exec_lo, exec_lo, s25
	s_and_saveexec_b32 s25, s10
; %bb.2295:                             ;   in Loop: Header=BB4_49 Depth=1
	v_mul_u64_e32 v[14:15], v[8:9], v[34:35]
; %bb.2296:                             ;   in Loop: Header=BB4_49 Depth=1
	s_or_b32 exec_lo, exec_lo, s25
	v_cmp_eq_u32_e32 vcc_lo, 0, v64
	s_delay_alu instid0(VALU_DEP_2) | instskip(SKIP_3) | instid1(VALU_DEP_1)
	v_add_nc_u64_e32 v[8:9], v[36:37], v[14:15]
	v_and_b32_e32 v16, 0x2000, v30
	s_mov_b32 s10, exec_lo
	v_cndmask_b32_e32 v11, 0xc8, v44, vcc_lo
	v_add_nc_u32_e32 v11, v0, v11
	ds_store_b64 v11, v[8:9] offset:584
	v_cmpx_ne_u32_e32 0, v16
	s_cbranch_execz .LBB4_2298
; %bb.2297:                             ;   in Loop: Header=BB4_49 Depth=1
	ds_load_b64 v[8:9], v0 offset:872
	s_wait_dscnt 0x0
	v_add_nc_u64_e32 v[8:9], 1, v[8:9]
	ds_store_b64 v0, v[8:9] offset:872
.LBB4_2298:                             ;   in Loop: Header=BB4_49 Depth=1
	s_or_b32 exec_lo, exec_lo, s10
	v_mov_b64_e32 v[8:9], v[12:13]
.LBB4_2299:                             ;   in Loop: Header=BB4_49 Depth=1
	s_or_b32 exec_lo, exec_lo, s12
	s_and_saveexec_b32 s10, s2
	s_cbranch_execz .LBB4_2318
; %bb.2300:                             ;   in Loop: Header=BB4_49 Depth=1
	s_and_saveexec_b32 s12, s3
	s_delay_alu instid0(SALU_CYCLE_1)
	s_xor_b32 s12, exec_lo, s12
	s_cbranch_execz .LBB4_2315
; %bb.2301:                             ;   in Loop: Header=BB4_49 Depth=1
	s_and_saveexec_b32 s25, s4
	s_cbranch_execz .LBB4_2314
; %bb.2302:                             ;   in Loop: Header=BB4_49 Depth=1
	s_mov_b32 s27, exec_lo
	s_mov_b32 s26, exec_lo
	v_mbcnt_lo_u32_b32 v11, s27, 0
	global_wb scope:SCOPE_DEV
	s_wait_storecnt 0x0
	s_wait_loadcnt_dscnt 0x0
	global_inv scope:SCOPE_DEV
	v_cmpx_eq_u32_e32 0, v11
	s_cbranch_execz .LBB4_2304
; %bb.2303:                             ;   in Loop: Header=BB4_49 Depth=1
	s_bcnt1_i32_b32 s27, s27
	s_delay_alu instid0(SALU_CYCLE_1)
	v_mov_b32_e32 v64, s27
	s_wait_loadcnt 0x0
	ds_add_u64 v0, v[64:65]
	s_trap 2
.LBB4_2304:                             ;   in Loop: Header=BB4_49 Depth=1
	s_or_b32 exec_lo, exec_lo, s26
	s_trap 2
	ds_load_b64 v[12:13], v0
	s_wait_dscnt 0x0
	v_add_nc_u64_e32 v[48:49], v[48:49], v[54:55]
	s_mov_b32 s26, exec_lo
	s_delay_alu instid0(VALU_DEP_1)
	v_cmpx_lt_u64_e64 v[12:13], v[48:49]
	s_cbranch_execz .LBB4_2313
; %bb.2305:                             ;   in Loop: Header=BB4_49 Depth=1
	s_mov_b32 s27, 0
	s_mov_b32 s40, 0
                                        ; implicit-def: $sgpr28
                                        ; implicit-def: $sgpr29
	s_branch .LBB4_2307
.LBB4_2306:                             ;   in Loop: Header=BB4_2307 Depth=2
	s_or_b32 exec_lo, exec_lo, s42
	s_delay_alu instid0(SALU_CYCLE_1) | instskip(NEXT) | instid1(SALU_CYCLE_1)
	s_and_b32 s41, exec_lo, s43
	s_or_b32 s27, s41, s27
	s_and_not1_b32 s28, s28, exec_lo
	s_and_b32 s41, s29, exec_lo
	s_delay_alu instid0(SALU_CYCLE_1)
	s_or_b32 s28, s28, s41
	s_and_not1_b32 exec_lo, exec_lo, s27
	s_cbranch_execz .LBB4_2311
.LBB4_2307:                             ;   Parent Loop BB4_49 Depth=1
                                        ; =>  This Inner Loop Header: Depth=2
	s_add_co_i32 s40, s40, 1
	s_delay_alu instid0(SALU_CYCLE_1) | instskip(SKIP_1) | instid1(SALU_CYCLE_1)
	s_cmp_lg_u32 s40, 0x2710
	s_cselect_b32 s41, -1, 0
	s_and_b32 vcc_lo, exec_lo, s41
	s_cbranch_vccz .LBB4_2309
; %bb.2308:                             ;   in Loop: Header=BB4_2307 Depth=2
	s_mov_b32 s43, -1
	s_or_b32 s29, s29, exec_lo
	s_and_saveexec_b32 s42, s41
	s_cbranch_execz .LBB4_2306
	s_branch .LBB4_2310
.LBB4_2309:                             ;   in Loop: Header=BB4_2307 Depth=2
	s_trap 2
	ds_load_b64 v[12:13], v0
	s_and_not1_b32 s41, s41, exec_lo
	s_mov_b32 s40, 0
	s_wait_loadcnt_dscnt 0x0
	flat_load_b32 v11, v[12:13] scope:SCOPE_SYS
	s_wait_loadcnt_dscnt 0x0
	global_inv scope:SCOPE_SYS
	v_cmp_eq_u32_e32 vcc_lo, 0, v11
	s_and_b32 s42, vcc_lo, exec_lo
	s_delay_alu instid0(SALU_CYCLE_1)
	s_or_b32 s41, s41, s42
	s_mov_b32 s43, -1
	s_or_b32 s29, s29, exec_lo
	s_and_saveexec_b32 s42, s41
	s_cbranch_execz .LBB4_2306
.LBB4_2310:                             ;   in Loop: Header=BB4_2307 Depth=2
	s_sleep 1
	s_trap 2
	ds_load_b64 v[12:13], v0
	s_wait_dscnt 0x0
	s_and_not1_b32 s29, s29, exec_lo
	v_cmp_ge_u64_e32 vcc_lo, v[12:13], v[48:49]
	s_or_not1_b32 s43, vcc_lo, exec_lo
	s_branch .LBB4_2306
.LBB4_2311:                             ;   in Loop: Header=BB4_49 Depth=1
	s_or_b32 exec_lo, exec_lo, s27
	s_and_saveexec_b32 s27, s28
	s_delay_alu instid0(SALU_CYCLE_1)
	s_xor_b32 s27, exec_lo, s27
	s_cbranch_execz .LBB4_2313
; %bb.2312:                             ;   in Loop: Header=BB4_49 Depth=1
	ds_store_b32 v0, v43
	s_trap 2
.LBB4_2313:                             ;   in Loop: Header=BB4_49 Depth=1
	s_or_b32 exec_lo, exec_lo, s26
	;;#ASMSTART
	s_wakeup
	;;#ASMEND
.LBB4_2314:                             ;   in Loop: Header=BB4_49 Depth=1
	s_or_b32 exec_lo, exec_lo, s25
.LBB4_2315:                             ;   in Loop: Header=BB4_49 Depth=1
	s_and_not1_saveexec_b32 s12, s12
	s_cbranch_execz .LBB4_2317
; %bb.2316:                             ;   in Loop: Header=BB4_49 Depth=1
	global_wb scope:SCOPE_DEV
	s_wait_storecnt 0x0
	s_wait_loadcnt_dscnt 0x0
	global_inv scope:SCOPE_DEV
	s_barrier_signal -1
	s_barrier_wait -1
.LBB4_2317:                             ;   in Loop: Header=BB4_49 Depth=1
	s_or_b32 exec_lo, exec_lo, s12
.LBB4_2318:                             ;   in Loop: Header=BB4_49 Depth=1
	s_delay_alu instid0(SALU_CYCLE_1)
	s_or_b32 exec_lo, exec_lo, s10
	s_trap 2
	ds_load_b32 v11, v0
	v_cmp_lt_i32_e32 vcc_lo, 0, v10
	s_wait_dscnt 0x0
	v_readfirstlane_b32 s10, v11
	v_and_b32_e32 v11, 16, v30
	s_cmp_eq_u32 s10, 0
	s_delay_alu instid0(VALU_DEP_1) | instskip(SKIP_1) | instid1(SALU_CYCLE_1)
	v_cmp_ne_u32_e64 s10, 0, v11
	s_cselect_b32 s12, -1, 0
	s_and_b32 s12, vcc_lo, s12
	s_delay_alu instid0(SALU_CYCLE_1) | instskip(NEXT) | instid1(SALU_CYCLE_1)
	s_and_b32 s12, s10, s12
	s_and_saveexec_b32 s10, s12
	s_cbranch_execz .LBB4_2320
; %bb.2319:                             ;   in Loop: Header=BB4_49 Depth=1
	global_wb scope:SCOPE_SYS
	s_wait_loadcnt 0x0
	s_wait_storecnt 0x0
	global_inv scope:SCOPE_SYS
.LBB4_2320:                             ;   in Loop: Header=BB4_49 Depth=1
	s_or_b32 exec_lo, exec_lo, s10
	v_cmp_ne_u32_e32 vcc_lo, 0, v11
	s_xor_b32 s10, s7, -1
	s_delay_alu instid0(SALU_CYCLE_1) | instskip(NEXT) | instid1(SALU_CYCLE_1)
	s_and_b32 s12, vcc_lo, s10
	s_and_saveexec_b32 s10, s12
	s_cbranch_execz .LBB4_2322
; %bb.2321:                             ;   in Loop: Header=BB4_49 Depth=1
	global_wb scope:SCOPE_SYS
	s_wait_loadcnt 0x0
	s_wait_storecnt 0x0
	flat_store_b32 v[52:53], v43 scope:SCOPE_SYS
.LBB4_2322:                             ;   in Loop: Header=BB4_49 Depth=1
	s_wait_xcnt 0x0
	s_or_b32 exec_lo, exec_lo, s10
	v_and_b32_e32 v10, 48, v30
	s_mov_b32 s10, exec_lo
	s_delay_alu instid0(VALU_DEP_1)
	v_cmpx_ne_u32_e32 0, v10
	s_cbranch_execz .LBB4_47
; %bb.2323:                             ;   in Loop: Header=BB4_49 Depth=1
	v_add_nc_u64_e32 v[8:9], 1, v[8:9]
	global_wb scope:SCOPE_SYS
	s_wait_storecnt 0x0
	s_wait_loadcnt_dscnt 0x0
	flat_store_b64 v[32:33], v[8:9] scope:SCOPE_SYS
	s_branch .LBB4_47
.LBB4_2324:
	s_or_b32 exec_lo, exec_lo, s22
.LBB4_2325:
	s_delay_alu instid0(SALU_CYCLE_1)
	s_or_b32 exec_lo, exec_lo, s21
                                        ; implicit-def: $vgpr26_vgpr27
                                        ; implicit-def: $vgpr4_vgpr5
                                        ; implicit-def: $vgpr34
                                        ; implicit-def: $vgpr38_vgpr39
                                        ; implicit-def: $vgpr36_vgpr37
                                        ; implicit-def: $vgpr32_vgpr33
                                        ; implicit-def: $vgpr0
                                        ; implicit-def: $vgpr15
                                        ; implicit-def: $vgpr50_vgpr51
.LBB4_2326:
	s_and_not1_saveexec_b32 s16, s13
	s_cbranch_execz .LBB4_4596
; %bb.2327:
	v_mov_b64_e32 v[48:49], 0
	s_mov_b32 s17, exec_lo
	v_cmpx_ne_u64_e32 0, v[4:5]
	s_cbranch_execz .LBB4_4595
; %bb.2328:
	s_wait_dscnt 0x1
	v_dual_ashrrev_i32 v10, 31, v0 :: v_dual_ashrrev_i32 v35, 31, v34
	s_ashr_i32 s4, s19, 31
	v_cmp_eq_u32_e32 vcc_lo, 32, v1
	s_lshr_b32 s4, s4, 24
	s_delay_alu instid0(VALU_DEP_2) | instskip(SKIP_3) | instid1(VALU_DEP_4)
	v_dual_lshrrev_b32 v10, 27, v10 :: v_dual_bitop2_b32 v11, 31, v31 bitop3:0x40
	v_mov_b64_e32 v[66:67], 0
	v_mov_b64_e32 v[48:49], 0
	v_cmp_ge_i32_e64 s1, v0, v1
	v_dual_add_nc_u32 v10, v0, v10 :: v_dual_lshrrev_b32 v52, 5, v1
	v_mov_b32_e32 v55, 0
	v_cmp_ne_u32_e64 s2, 32, v1
	v_cmp_ne_u32_e64 s3, v1, v40
	s_delay_alu instid0(VALU_DEP_4) | instskip(SKIP_4) | instid1(VALU_DEP_3)
	v_and_b32_e32 v12, 0xffffffe0, v10
	v_ashrrev_i32_e32 v114, 5, v10
	v_and_b32_e32 v64, 0x1fe0, v1
	s_add_co_i32 s7, s19, s4
	v_cmp_eq_u32_e64 s4, 0, v11
	v_dual_sub_nc_u32 v115, v0, v12 :: v_dual_lshlrev_b32 v10, 10, v114
	v_dual_mov_b32 v53, v55 :: v_dual_lshlrev_b32 v68, 10, v52
	v_dual_mov_b32 v69, v55 :: v_dual_lshlrev_b32 v70, 9, v52
	s_delay_alu instid0(VALU_DEP_3) | instskip(SKIP_3) | instid1(VALU_DEP_4)
	v_lshl_add_u32 v80, v115, 4, v10
	v_dual_mov_b32 v71, v55 :: v_dual_mov_b32 v65, v55
	v_cmp_le_i32_e64 s5, v115, v15
	v_cmp_gt_i32_e64 s6, 1, v115
	v_dual_mov_b32 v116, 1 :: v_dual_ashrrev_i32 v81, 31, v80
	v_bfrev_b32_e32 v117, 1
	s_mov_b64 s[12:13], 0xffffffffffffff
	s_mov_b64 s[14:15], 0x100000000000000
	s_ashr_i32 s22, s7, 8
	s_mov_b32 s21, 0
	s_xor_b32 s23, vcc_lo, -1
	s_trap 2
	s_branch .LBB4_2331
.LBB4_2329:                             ;   in Loop: Header=BB4_2331 Depth=1
	s_wait_xcnt 0x0
	s_or_b32 exec_lo, exec_lo, s7
.LBB4_2330:                             ;   in Loop: Header=BB4_2331 Depth=1
	s_delay_alu instid0(SALU_CYCLE_1) | instskip(SKIP_1) | instid1(VALU_DEP_1)
	s_or_b32 exec_lo, exec_lo, s10
	v_add_nc_u64_e32 v[66:67], v[66:67], v[50:51]
	v_cmp_ge_u64_e32 vcc_lo, v[66:67], v[4:5]
	s_or_b32 s21, vcc_lo, s21
	s_delay_alu instid0(SALU_CYCLE_1)
	s_and_not1_b32 exec_lo, exec_lo, s21
	s_cbranch_execz .LBB4_4594
.LBB4_2331:                             ; =>This Loop Header: Depth=1
                                        ;     Child Loop BB4_2340 Depth 2
                                        ;     Child Loop BB4_2364 Depth 2
	;; [unrolled: 1-line block ×10, first 2 shown]
	v_sub_nc_u64_e32 v[10:11], v[4:5], v[66:67]
	v_mov_b32_e32 v14, v55
	s_delay_alu instid0(VALU_DEP_2) | instskip(NEXT) | instid1(VALU_DEP_1)
	v_min_u64 v[82:83], v[50:51], v[10:11]
	v_add_nc_u32_e32 v10, 15, v82
	s_delay_alu instid0(VALU_DEP_2) | instskip(NEXT) | instid1(VALU_DEP_2)
	v_cmp_eq_u64_e32 vcc_lo, 0, v[82:83]
	v_and_b32_e32 v10, 0x7ffffff0, v10
	s_or_b32 s24, s1, vcc_lo
	s_delay_alu instid0(SALU_CYCLE_1) | instskip(NEXT) | instid1(VALU_DEP_1)
	s_xor_b32 s7, s24, -1
	v_max_i32_e32 v83, s22, v10
	s_and_saveexec_b32 s25, s7
	s_cbranch_execz .LBB4_4548
; %bb.2332:                             ;   in Loop: Header=BB4_2331 Depth=1
	s_and_saveexec_b32 s7, s0
	s_cbranch_execz .LBB4_2334
; %bb.2333:                             ;   in Loop: Header=BB4_2331 Depth=1
	s_trap 2
	ds_load_b64 v[14:15], v0
	ds_load_2addr_b64 v[10:13], v0 offset1:1
	v_add_nc_u64_e32 v[16:17], v[66:67], v[26:27]
	s_wait_dscnt 0x1
	s_delay_alu instid0(VALU_DEP_1) | instskip(SKIP_4) | instid1(VALU_DEP_4)
	v_add_nc_u64_e32 v[18:19], v[14:15], v[16:17]
	v_cmp_ne_u64_e32 vcc_lo, 0, v[14:15]
	s_wait_dscnt 0x0
	v_add_nc_u64_e32 v[10:11], v[10:11], v[16:17]
	v_add_nc_u64_e32 v[12:13], v[12:13], v[16:17]
	v_dual_cndmask_b32 v15, 0, v19 :: v_dual_cndmask_b32 v14, 0, v18
	ds_store_b64 v0, v[10:11]
	ds_store_b64 v0, v[12:13]
	;; [unrolled: 1-line block ×3, first 2 shown]
.LBB4_2334:                             ;   in Loop: Header=BB4_2331 Depth=1
	s_or_b32 exec_lo, exec_lo, s7
	v_and_b32_e32 v10, 4, v30
	s_mov_b32 s10, exec_lo
	s_delay_alu instid0(VALU_DEP_1)
	v_cmpx_ne_u32_e32 0, v10
	s_cbranch_execz .LBB4_2356
; %bb.2335:                             ;   in Loop: Header=BB4_2331 Depth=1
	s_wait_dscnt 0x0
	v_add_nc_u64_e32 v[10:11], 1, v[8:9]
	s_mov_b32 s11, exec_lo
	s_wait_loadcnt 0x0
	s_delay_alu instid0(VALU_DEP_1)
	v_cmpx_lt_u64_e64 v[38:39], v[10:11]
	s_cbranch_execz .LBB4_2347
; %bb.2336:                             ;   in Loop: Header=BB4_2331 Depth=1
	v_and_b32_e32 v9, 64, v30
	s_mov_b32 s26, 0
	s_mov_b32 s40, 0
                                        ; implicit-def: $sgpr27
                                        ; implicit-def: $sgpr28
                                        ; implicit-def: $sgpr29
	s_delay_alu instid0(VALU_DEP_1)
	v_cmp_eq_u32_e32 vcc_lo, 0, v9
	s_branch .LBB4_2340
.LBB4_2337:                             ;   in Loop: Header=BB4_2340 Depth=2
	s_wait_loadcnt_dscnt 0x0
	v_cmp_ge_u64_e64 s7, v[38:39], v[10:11]
	s_or_b32 s43, s43, exec_lo
	s_or_not1_b32 s42, s7, exec_lo
.LBB4_2338:                             ;   in Loop: Header=BB4_2340 Depth=2
	s_or_b32 exec_lo, exec_lo, s45
	s_delay_alu instid0(SALU_CYCLE_1)
	s_and_not1_b32 s7, s29, exec_lo
	s_and_b32 s29, s43, exec_lo
	s_and_not1_b32 s28, s28, exec_lo
	s_and_b32 s42, s42, exec_lo
	s_or_b32 s29, s7, s29
	s_or_b32 s28, s28, s42
.LBB4_2339:                             ;   in Loop: Header=BB4_2340 Depth=2
	s_or_b32 exec_lo, exec_lo, s41
	s_delay_alu instid0(SALU_CYCLE_1) | instskip(NEXT) | instid1(SALU_CYCLE_1)
	s_and_b32 s7, exec_lo, s28
	s_or_b32 s26, s7, s26
	s_and_not1_b32 s7, s27, exec_lo
	s_and_b32 s27, s29, exec_lo
	s_delay_alu instid0(SALU_CYCLE_1)
	s_or_b32 s27, s7, s27
	s_and_not1_b32 exec_lo, exec_lo, s26
	s_cbranch_execz .LBB4_2344
.LBB4_2340:                             ;   Parent Loop BB4_2331 Depth=1
                                        ; =>  This Inner Loop Header: Depth=2
	s_sleep 1
	s_wait_loadcnt_dscnt 0x0
	flat_load_b64 v[38:39], v[32:33] scope:SCOPE_SYS
	s_or_b32 s29, s29, exec_lo
	s_or_b32 s28, s28, exec_lo
                                        ; implicit-def: $vgpr9
	s_wait_xcnt 0x0
	s_and_saveexec_b32 s41, vcc_lo
	s_cbranch_execz .LBB4_2339
; %bb.2341:                             ;   in Loop: Header=BB4_2340 Depth=2
	s_cmp_lt_i32 s40, 0x270f
	s_mov_b32 s42, -1
	s_cselect_b32 s44, -1, 0
	s_cmp_gt_i32 s40, 0x270e
	s_cbranch_scc0 .LBB4_2343
; %bb.2342:                             ;   in Loop: Header=BB4_2340 Depth=2
	s_trap 2
	ds_load_b64 v[12:13], v0
	s_and_not1_b32 s40, s44, exec_lo
	s_mov_b32 s43, 0
	s_wait_storecnt 0x0
	s_wait_loadcnt_dscnt 0x0
	flat_load_b32 v9, v[12:13] scope:SCOPE_SYS
	s_wait_loadcnt_dscnt 0x0
	global_inv scope:SCOPE_SYS
	v_cmp_eq_u32_e64 s7, 0, v9
	s_and_b32 s7, s7, exec_lo
	s_delay_alu instid0(SALU_CYCLE_1)
	s_or_b32 s44, s40, s7
	s_mov_b32 s40, 0
	s_and_saveexec_b32 s45, s44
	s_cbranch_execz .LBB4_2338
	s_branch .LBB4_2337
.LBB4_2343:                             ;   in Loop: Header=BB4_2340 Depth=2
	s_add_co_i32 s40, s40, 1
	s_mov_b32 s43, -1
                                        ; implicit-def: $vgpr9
	s_and_saveexec_b32 s45, s44
	s_cbranch_execz .LBB4_2338
	s_branch .LBB4_2337
.LBB4_2344:                             ;   in Loop: Header=BB4_2331 Depth=1
	s_or_b32 exec_lo, exec_lo, s26
	s_xor_b32 s7, s27, -1
	s_delay_alu instid0(SALU_CYCLE_1) | instskip(NEXT) | instid1(SALU_CYCLE_1)
	s_and_saveexec_b32 s26, s7
	s_xor_b32 s7, exec_lo, s26
	s_cbranch_execz .LBB4_2346
; %bb.2345:                             ;   in Loop: Header=BB4_2331 Depth=1
	v_or_b32_e32 v30, 64, v30
	s_wait_storecnt 0x0
	s_wait_loadcnt_dscnt 0x0
	ds_store_b32 v0, v9
	s_trap 2
.LBB4_2346:                             ;   in Loop: Header=BB4_2331 Depth=1
	s_or_b32 exec_lo, exec_lo, s7
.LBB4_2347:                             ;   in Loop: Header=BB4_2331 Depth=1
	s_delay_alu instid0(SALU_CYCLE_1) | instskip(SKIP_4) | instid1(VALU_DEP_2)
	s_or_b32 exec_lo, exec_lo, s11
	v_and_b32_e32 v9, 0x100, v30
	v_and_b32_e32 v54, 7, v8
	s_mov_b32 s7, -1
	;;#ASMSTART
	s_wakeup
	;;#ASMEND
	v_cmp_ne_u32_e32 vcc_lo, 0, v9
                                        ; implicit-def: $vgpr8_vgpr9
	s_and_saveexec_b32 s11, vcc_lo
	s_cbranch_execz .LBB4_2351
; %bb.2348:                             ;   in Loop: Header=BB4_2331 Depth=1
	v_mad_nc_u64_u32 v[12:13], v54, 24, v[6:7]
	flat_load_b32 v8, v[12:13]
	s_wait_loadcnt_dscnt 0x0
	v_cmp_eq_u32_e64 s7, 1, v8
	v_cmp_ne_u32_e32 vcc_lo, 1, v8
                                        ; implicit-def: $vgpr8_vgpr9
	s_wait_xcnt 0x0
	s_and_saveexec_b32 s26, s7
	s_cbranch_execz .LBB4_2350
; %bb.2349:                             ;   in Loop: Header=BB4_2331 Depth=1
	flat_load_b32 v8, v[12:13] offset:4 scope:SCOPE_SYS
	s_wait_loadcnt_dscnt 0x0
	v_ashrrev_i32_e32 v9, 31, v8
.LBB4_2350:                             ;   in Loop: Header=BB4_2331 Depth=1
	s_wait_xcnt 0x0
	s_or_b32 exec_lo, exec_lo, s26
	s_delay_alu instid0(SALU_CYCLE_1)
	s_or_not1_b32 s7, vcc_lo, exec_lo
.LBB4_2351:                             ;   in Loop: Header=BB4_2331 Depth=1
	s_or_b32 exec_lo, exec_lo, s11
	s_and_saveexec_b32 s11, s7
; %bb.2352:                             ;   in Loop: Header=BB4_2331 Depth=1
	v_mul_u64_e32 v[8:9], v[54:55], v[34:35]
; %bb.2353:                             ;   in Loop: Header=BB4_2331 Depth=1
	s_or_b32 exec_lo, exec_lo, s11
	s_delay_alu instid0(VALU_DEP_1)
	v_add_nc_u64_e32 v[8:9], v[36:37], v[8:9]
	v_and_b32_e32 v12, 0x2000, v30
	s_mov_b32 s7, exec_lo
	ds_store_b64 v0, v[8:9] offset:728
	v_cmpx_ne_u32_e32 0, v12
	s_cbranch_execz .LBB4_2355
; %bb.2354:                             ;   in Loop: Header=BB4_2331 Depth=1
	ds_load_b64 v[8:9], v0 offset:872
	s_wait_dscnt 0x0
	v_add_nc_u64_e32 v[8:9], 1, v[8:9]
	ds_store_b64 v0, v[8:9] offset:872
.LBB4_2355:                             ;   in Loop: Header=BB4_2331 Depth=1
	s_or_b32 exec_lo, exec_lo, s7
	v_mov_b64_e32 v[8:9], v[10:11]
.LBB4_2356:                             ;   in Loop: Header=BB4_2331 Depth=1
	s_or_b32 exec_lo, exec_lo, s10
	s_and_saveexec_b32 s7, s2
	s_cbranch_execz .LBB4_2375
; %bb.2357:                             ;   in Loop: Header=BB4_2331 Depth=1
	s_and_saveexec_b32 s10, s3
	s_delay_alu instid0(SALU_CYCLE_1)
	s_xor_b32 s10, exec_lo, s10
	s_cbranch_execz .LBB4_2372
; %bb.2358:                             ;   in Loop: Header=BB4_2331 Depth=1
	s_and_saveexec_b32 s11, s4
	s_cbranch_execz .LBB4_2371
; %bb.2359:                             ;   in Loop: Header=BB4_2331 Depth=1
	s_mov_b32 s27, exec_lo
	s_mov_b32 s26, exec_lo
	v_mbcnt_lo_u32_b32 v10, s27, 0
	global_wb scope:SCOPE_DEV
	s_wait_storecnt 0x0
	s_wait_loadcnt_dscnt 0x0
	global_inv scope:SCOPE_DEV
	v_cmpx_eq_u32_e32 0, v10
	s_cbranch_execz .LBB4_2361
; %bb.2360:                             ;   in Loop: Header=BB4_2331 Depth=1
	s_bcnt1_i32_b32 s27, s27
	s_delay_alu instid0(SALU_CYCLE_1)
	v_mov_b32_e32 v54, s27
	s_wait_loadcnt 0x0
	ds_add_u64 v0, v[54:55]
	s_trap 2
.LBB4_2361:                             ;   in Loop: Header=BB4_2331 Depth=1
	s_or_b32 exec_lo, exec_lo, s26
	s_trap 2
	ds_load_b64 v[10:11], v0
	s_wait_dscnt 0x0
	v_add_nc_u64_e32 v[48:49], v[48:49], v[52:53]
	s_mov_b32 s26, exec_lo
	s_delay_alu instid0(VALU_DEP_1)
	v_cmpx_lt_u64_e64 v[10:11], v[48:49]
	s_cbranch_execz .LBB4_2370
; %bb.2362:                             ;   in Loop: Header=BB4_2331 Depth=1
	s_mov_b32 s27, 0
	s_mov_b32 s40, 0
                                        ; implicit-def: $sgpr28
                                        ; implicit-def: $sgpr29
	s_branch .LBB4_2364
.LBB4_2363:                             ;   in Loop: Header=BB4_2364 Depth=2
	s_or_b32 exec_lo, exec_lo, s42
	s_delay_alu instid0(SALU_CYCLE_1) | instskip(NEXT) | instid1(SALU_CYCLE_1)
	s_and_b32 s41, exec_lo, s43
	s_or_b32 s27, s41, s27
	s_and_not1_b32 s28, s28, exec_lo
	s_and_b32 s41, s29, exec_lo
	s_delay_alu instid0(SALU_CYCLE_1)
	s_or_b32 s28, s28, s41
	s_and_not1_b32 exec_lo, exec_lo, s27
	s_cbranch_execz .LBB4_2368
.LBB4_2364:                             ;   Parent Loop BB4_2331 Depth=1
                                        ; =>  This Inner Loop Header: Depth=2
	s_add_co_i32 s40, s40, 1
	s_delay_alu instid0(SALU_CYCLE_1) | instskip(SKIP_1) | instid1(SALU_CYCLE_1)
	s_cmp_lg_u32 s40, 0x2710
	s_cselect_b32 s41, -1, 0
	s_and_b32 vcc_lo, exec_lo, s41
	s_cbranch_vccz .LBB4_2366
; %bb.2365:                             ;   in Loop: Header=BB4_2364 Depth=2
	s_mov_b32 s43, -1
	s_or_b32 s29, s29, exec_lo
	s_and_saveexec_b32 s42, s41
	s_cbranch_execz .LBB4_2363
	s_branch .LBB4_2367
.LBB4_2366:                             ;   in Loop: Header=BB4_2364 Depth=2
	s_trap 2
	ds_load_b64 v[10:11], v0
	s_and_not1_b32 s41, s41, exec_lo
	s_mov_b32 s40, 0
	s_wait_loadcnt_dscnt 0x0
	flat_load_b32 v10, v[10:11] scope:SCOPE_SYS
	s_wait_loadcnt_dscnt 0x0
	global_inv scope:SCOPE_SYS
	v_cmp_eq_u32_e32 vcc_lo, 0, v10
	s_and_b32 s42, vcc_lo, exec_lo
	s_delay_alu instid0(SALU_CYCLE_1)
	s_or_b32 s41, s41, s42
	s_mov_b32 s43, -1
	s_or_b32 s29, s29, exec_lo
	s_and_saveexec_b32 s42, s41
	s_cbranch_execz .LBB4_2363
.LBB4_2367:                             ;   in Loop: Header=BB4_2364 Depth=2
	s_sleep 1
	s_trap 2
	ds_load_b64 v[10:11], v0
	s_wait_dscnt 0x0
	s_and_not1_b32 s29, s29, exec_lo
	v_cmp_ge_u64_e32 vcc_lo, v[10:11], v[48:49]
	s_or_not1_b32 s43, vcc_lo, exec_lo
	s_branch .LBB4_2363
.LBB4_2368:                             ;   in Loop: Header=BB4_2331 Depth=1
	s_or_b32 exec_lo, exec_lo, s27
	s_and_saveexec_b32 s27, s28
	s_delay_alu instid0(SALU_CYCLE_1)
	s_xor_b32 s27, exec_lo, s27
	s_cbranch_execz .LBB4_2370
; %bb.2369:                             ;   in Loop: Header=BB4_2331 Depth=1
	ds_store_b32 v0, v116
	s_trap 2
.LBB4_2370:                             ;   in Loop: Header=BB4_2331 Depth=1
	s_or_b32 exec_lo, exec_lo, s26
	;;#ASMSTART
	s_wakeup
	;;#ASMEND
.LBB4_2371:                             ;   in Loop: Header=BB4_2331 Depth=1
	s_or_b32 exec_lo, exec_lo, s11
.LBB4_2372:                             ;   in Loop: Header=BB4_2331 Depth=1
	s_and_not1_saveexec_b32 s10, s10
	s_cbranch_execz .LBB4_2374
; %bb.2373:                             ;   in Loop: Header=BB4_2331 Depth=1
	global_wb scope:SCOPE_DEV
	s_wait_storecnt 0x0
	s_wait_loadcnt_dscnt 0x0
	global_inv scope:SCOPE_DEV
	s_barrier_signal -1
	s_barrier_wait -1
.LBB4_2374:                             ;   in Loop: Header=BB4_2331 Depth=1
	s_or_b32 exec_lo, exec_lo, s10
.LBB4_2375:                             ;   in Loop: Header=BB4_2331 Depth=1
	s_delay_alu instid0(SALU_CYCLE_1) | instskip(SKIP_3) | instid1(VALU_DEP_1)
	s_or_b32 exec_lo, exec_lo, s7
	s_trap 2
	ds_load_b32 v10, v0
	v_and_b32_e32 v11, 0x4000, v30
	v_cmp_ne_u32_e32 vcc_lo, 0, v11
	s_and_b32 s10, s23, vcc_lo
	s_delay_alu instid0(SALU_CYCLE_1)
	s_and_saveexec_b32 s7, s10
	s_cbranch_execz .LBB4_2394
; %bb.2376:                             ;   in Loop: Header=BB4_2331 Depth=1
	s_and_saveexec_b32 s10, s3
	s_delay_alu instid0(SALU_CYCLE_1)
	s_xor_b32 s10, exec_lo, s10
	s_cbranch_execz .LBB4_2391
; %bb.2377:                             ;   in Loop: Header=BB4_2331 Depth=1
	s_and_saveexec_b32 s11, s4
	s_cbranch_execz .LBB4_2390
; %bb.2378:                             ;   in Loop: Header=BB4_2331 Depth=1
	s_mov_b32 s27, exec_lo
	s_mov_b32 s26, exec_lo
	v_mbcnt_lo_u32_b32 v11, s27, 0
	global_wb scope:SCOPE_DEV
	s_wait_storecnt 0x0
	s_wait_loadcnt_dscnt 0x0
	global_inv scope:SCOPE_DEV
	v_cmpx_eq_u32_e32 0, v11
	s_cbranch_execz .LBB4_2380
; %bb.2379:                             ;   in Loop: Header=BB4_2331 Depth=1
	s_bcnt1_i32_b32 s27, s27
	s_delay_alu instid0(SALU_CYCLE_1)
	v_mov_b32_e32 v54, s27
	s_wait_loadcnt 0x0
	ds_add_u64 v0, v[54:55]
	s_trap 2
.LBB4_2380:                             ;   in Loop: Header=BB4_2331 Depth=1
	s_or_b32 exec_lo, exec_lo, s26
	s_trap 2
	ds_load_b64 v[12:13], v0
	s_wait_dscnt 0x0
	v_add_nc_u64_e32 v[48:49], v[48:49], v[52:53]
	s_mov_b32 s26, exec_lo
	s_delay_alu instid0(VALU_DEP_1)
	v_cmpx_lt_u64_e64 v[12:13], v[48:49]
	s_cbranch_execz .LBB4_2389
; %bb.2381:                             ;   in Loop: Header=BB4_2331 Depth=1
	s_mov_b32 s27, 0
	s_mov_b32 s40, 0
                                        ; implicit-def: $sgpr28
                                        ; implicit-def: $sgpr29
	s_branch .LBB4_2383
.LBB4_2382:                             ;   in Loop: Header=BB4_2383 Depth=2
	s_or_b32 exec_lo, exec_lo, s42
	s_delay_alu instid0(SALU_CYCLE_1) | instskip(NEXT) | instid1(SALU_CYCLE_1)
	s_and_b32 s41, exec_lo, s43
	s_or_b32 s27, s41, s27
	s_and_not1_b32 s28, s28, exec_lo
	s_and_b32 s41, s29, exec_lo
	s_delay_alu instid0(SALU_CYCLE_1)
	s_or_b32 s28, s28, s41
	s_and_not1_b32 exec_lo, exec_lo, s27
	s_cbranch_execz .LBB4_2387
.LBB4_2383:                             ;   Parent Loop BB4_2331 Depth=1
                                        ; =>  This Inner Loop Header: Depth=2
	s_add_co_i32 s40, s40, 1
	s_delay_alu instid0(SALU_CYCLE_1) | instskip(SKIP_1) | instid1(SALU_CYCLE_1)
	s_cmp_lg_u32 s40, 0x2710
	s_cselect_b32 s41, -1, 0
	s_and_b32 vcc_lo, exec_lo, s41
	s_cbranch_vccz .LBB4_2385
; %bb.2384:                             ;   in Loop: Header=BB4_2383 Depth=2
	s_mov_b32 s43, -1
	s_or_b32 s29, s29, exec_lo
	s_and_saveexec_b32 s42, s41
	s_cbranch_execz .LBB4_2382
	s_branch .LBB4_2386
.LBB4_2385:                             ;   in Loop: Header=BB4_2383 Depth=2
	s_trap 2
	ds_load_b64 v[12:13], v0
	s_and_not1_b32 s41, s41, exec_lo
	s_mov_b32 s40, 0
	s_wait_loadcnt_dscnt 0x0
	flat_load_b32 v11, v[12:13] scope:SCOPE_SYS
	s_wait_loadcnt_dscnt 0x0
	global_inv scope:SCOPE_SYS
	v_cmp_eq_u32_e32 vcc_lo, 0, v11
	s_and_b32 s42, vcc_lo, exec_lo
	s_delay_alu instid0(SALU_CYCLE_1)
	s_or_b32 s41, s41, s42
	s_mov_b32 s43, -1
	s_or_b32 s29, s29, exec_lo
	s_and_saveexec_b32 s42, s41
	s_cbranch_execz .LBB4_2382
.LBB4_2386:                             ;   in Loop: Header=BB4_2383 Depth=2
	s_sleep 1
	s_trap 2
	ds_load_b64 v[12:13], v0
	s_wait_dscnt 0x0
	s_and_not1_b32 s29, s29, exec_lo
	v_cmp_ge_u64_e32 vcc_lo, v[12:13], v[48:49]
	s_or_not1_b32 s43, vcc_lo, exec_lo
	s_branch .LBB4_2382
.LBB4_2387:                             ;   in Loop: Header=BB4_2331 Depth=1
	s_or_b32 exec_lo, exec_lo, s27
	s_and_saveexec_b32 s27, s28
	s_delay_alu instid0(SALU_CYCLE_1)
	s_xor_b32 s27, exec_lo, s27
	s_cbranch_execz .LBB4_2389
; %bb.2388:                             ;   in Loop: Header=BB4_2331 Depth=1
	ds_store_b32 v0, v116
	s_trap 2
.LBB4_2389:                             ;   in Loop: Header=BB4_2331 Depth=1
	s_or_b32 exec_lo, exec_lo, s26
	;;#ASMSTART
	s_wakeup
	;;#ASMEND
.LBB4_2390:                             ;   in Loop: Header=BB4_2331 Depth=1
	s_or_b32 exec_lo, exec_lo, s11
.LBB4_2391:                             ;   in Loop: Header=BB4_2331 Depth=1
	s_and_not1_saveexec_b32 s10, s10
	s_cbranch_execz .LBB4_2393
; %bb.2392:                             ;   in Loop: Header=BB4_2331 Depth=1
	global_wb scope:SCOPE_DEV
	s_wait_storecnt 0x0
	s_wait_loadcnt_dscnt 0x0
	global_inv scope:SCOPE_DEV
	s_barrier_signal -1
	s_barrier_wait -1
.LBB4_2393:                             ;   in Loop: Header=BB4_2331 Depth=1
	s_or_b32 exec_lo, exec_lo, s10
.LBB4_2394:                             ;   in Loop: Header=BB4_2331 Depth=1
	s_delay_alu instid0(SALU_CYCLE_1)
	s_or_b32 exec_lo, exec_lo, s7
	s_trap 2
	ds_load_b64 v[84:85], v0
	v_min_u32_e32 v83, v83, v82
	s_wait_dscnt 0x0
	v_cmp_eq_u64_e32 vcc_lo, 0, v[84:85]
	s_cbranch_vccnz .LBB4_2402
; %bb.2395:                             ;   in Loop: Header=BB4_2331 Depth=1
	s_trap 2
	ds_load_b64 v[86:87], v0
	s_wait_dscnt 0x0
	v_cmp_eq_u64_e32 vcc_lo, 0, v[86:87]
	s_cbranch_vccnz .LBB4_2402
; %bb.2396:                             ;   in Loop: Header=BB4_2331 Depth=1
	s_mov_b32 s7, -1
	s_and_saveexec_b32 s10, s5
	s_cbranch_execz .LBB4_2398
; %bb.2397:                             ;   in Loop: Header=BB4_2331 Depth=1
	ds_load_b32 v11, v0 offset:720
	s_wait_dscnt 0x0
	v_and_b32_e32 v11, 15, v11
	s_delay_alu instid0(VALU_DEP_1)
	v_cmp_eq_u32_e32 vcc_lo, 0, v11
	s_or_not1_b32 s7, vcc_lo, exec_lo
.LBB4_2398:                             ;   in Loop: Header=BB4_2331 Depth=1
	s_or_b32 exec_lo, exec_lo, s10
	s_and_saveexec_b32 s10, s6
	s_cbranch_execz .LBB4_2400
; %bb.2399:                             ;   in Loop: Header=BB4_2331 Depth=1
	ds_load_b32 v11, v0 offset:784
	s_wait_dscnt 0x0
	v_and_b32_e32 v11, 15, v11
	s_delay_alu instid0(VALU_DEP_1) | instskip(SKIP_3) | instid1(SALU_CYCLE_1)
	v_cmp_eq_u32_e32 vcc_lo, 0, v11
	s_and_b32 s11, s7, vcc_lo
	s_and_not1_b32 s7, s7, exec_lo
	s_and_b32 s11, s11, exec_lo
	s_or_b32 s7, s7, s11
.LBB4_2400:                             ;   in Loop: Header=BB4_2331 Depth=1
	s_or_b32 exec_lo, exec_lo, s10
	v_cmp_eq_u32_e32 vcc_lo, 0, v10
	s_xor_b32 s7, s7, -1
	v_mov_b32_e32 v10, v114
	v_cndmask_b32_e64 v11, 0, 1, s7
	s_mov_b32 s7, -1
	v_dual_cndmask_b32 v118, 0, v83, vcc_lo :: v_dual_mov_b32 v20, 0
	v_mov_b32_e32 v22, v0
	s_delay_alu instid0(VALU_DEP_3) | instskip(NEXT) | instid1(VALU_DEP_3)
	v_cmp_ne_u32_e32 vcc_lo, 0, v11
	v_mov_b32_e32 v21, v118
	s_cbranch_vccz .LBB4_2403
; %bb.2401:                             ;   in Loop: Header=BB4_2331 Depth=1
	s_and_saveexec_b32 s10, s7
	s_cbranch_execnz .LBB4_3904
	s_branch .LBB4_4524
.LBB4_2402:                             ;   in Loop: Header=BB4_2331 Depth=1
	s_mov_b32 s7, 0
	s_and_saveexec_b32 s10, s2
	s_cbranch_execnz .LBB4_4525
	s_branch .LBB4_4543
.LBB4_2403:                             ;   in Loop: Header=BB4_2331 Depth=1
	v_lshrrev_b32_e32 v10, 10, v118
	s_mov_b32 s10, exec_lo
	s_delay_alu instid0(VALU_DEP_1) | instskip(NEXT) | instid1(VALU_DEP_1)
	v_sub_nc_u32_e32 v119, v10, v114
	v_cmpx_lt_i32_e32 0, v119
	s_cbranch_execz .LBB4_3399
; %bb.2404:                             ;   in Loop: Header=BB4_2331 Depth=1
	s_trap 2
	ds_load_b64 v[10:11], v0
	v_add_nc_u64_e32 v[96:97], v[84:85], v[80:81]
	v_add_nc_u64_e32 v[100:101], v[86:87], v[80:81]
	s_mov_b32 s11, 0
	s_wait_dscnt 0x0
	v_add_nc_u64_e32 v[98:99], v[10:11], v[80:81]
	s_branch .LBB4_2406
.LBB4_2405:                             ;   in Loop: Header=BB4_2406 Depth=2
	s_or_b32 exec_lo, exec_lo, s7
	v_lshl_or_b32 v11, v46, 8, v45
	v_dual_lshlrev_b32 v12, 16, v102 :: v_dual_lshlrev_b32 v13, 24, v103
	v_lshl_or_b32 v15, v42, 8, v41
	v_dual_lshlrev_b32 v16, 16, v43 :: v_dual_lshlrev_b32 v17, 24, v44
	v_lshl_or_b32 v54, v113, 8, v112
	v_dual_lshlrev_b32 v102, 16, v47 :: v_dual_lshlrev_b32 v103, 24, v56
	v_or3_b32 v43, v11, v12, v13
	v_dual_lshlrev_b32 v11, 24, v23 :: v_dual_lshlrev_b32 v12, 16, v22
	v_lshl_or_b32 v13, v58, 8, v57
	v_or3_b32 v42, v15, v16, v17
	v_lshl_or_b32 v15, v62, 8, v61
	v_dual_lshlrev_b32 v16, 16, v18 :: v_dual_lshlrev_b32 v17, 24, v19
	v_lshl_or_b32 v18, v25, 8, v24
	v_dual_lshlrev_b32 v19, 16, v59 :: v_dual_lshlrev_b32 v22, 24, v60
	;; [unrolled: 2-line block ×3, first 2 shown]
	v_dual_lshlrev_b32 v24, 24, v10 :: v_dual_sub_nc_u32 v119, v119, v52
	v_lshlrev_b32_e32 v14, 16, v14
	v_lshl_or_b32 v25, v74, 8, v73
	v_or3_b32 v44, v54, v102, v103
	v_or3_b32 v45, v13, v12, v11
	;; [unrolled: 1-line block ×6, first 2 shown]
	s_clause 0x1
	global_store_b128 v[100:101], v[42:45], off th:TH_STORE_NT
	global_store_b128 v[100:101], v[10:13], off offset:512 th:TH_STORE_NT
	v_add_nc_u64_e32 v[96:97], v[96:97], v[68:69]
	v_add_nc_u64_e32 v[98:99], v[98:99], v[68:69]
	v_cmp_gt_i32_e32 vcc_lo, 1, v119
	s_wait_xcnt 0x0
	v_add_nc_u64_e32 v[100:101], v[100:101], v[68:69]
	s_or_b32 s11, vcc_lo, s11
	s_delay_alu instid0(SALU_CYCLE_1)
	s_and_not1_b32 exec_lo, exec_lo, s11
	s_cbranch_execz .LBB4_3398
.LBB4_2406:                             ;   Parent Loop BB4_2331 Depth=1
                                        ; =>  This Inner Loop Header: Depth=2
	s_clause 0x1
	global_load_b128 v[22:25], v[96:97], off th:TH_LOAD_NT
	global_load_b128 v[14:17], v[96:97], off offset:512 th:TH_LOAD_NT
	s_clause 0x1
	global_load_b128 v[18:21], v[98:99], off th:TH_LOAD_NT
	global_load_b128 v[10:13], v[98:99], off offset:512 th:TH_LOAD_NT
	v_dual_mov_b32 v54, 0 :: v_dual_mov_b32 v102, 0
	s_mov_b32 s7, exec_lo
	s_wait_loadcnt 0x3
	v_and_b32_e32 v103, 0xff, v22
	s_wait_xcnt 0x0
	s_delay_alu instid0(VALU_DEP_1)
	v_cmpx_ne_u16_e32 0, v103
	s_cbranch_execz .LBB4_2412
; %bb.2407:                             ;   in Loop: Header=BB4_2406 Depth=2
	v_bfrev_b32_e32 v102, 1
	s_mov_b32 s26, exec_lo
	v_cmpx_ne_u16_e32 0x80, v103
	s_cbranch_execz .LBB4_2411
; %bb.2408:                             ;   in Loop: Header=BB4_2406 Depth=2
	v_and_b32_e32 v103, 0x7f, v22
	v_mov_b32_e32 v102, 0x7f800001
	s_mov_b32 s27, exec_lo
	s_delay_alu instid0(VALU_DEP_2)
	v_cmpx_ne_u32_e32 0x7f, v103
	s_cbranch_execz .LBB4_2410
; %bb.2409:                             ;   in Loop: Header=BB4_2406 Depth=2
	v_dual_lshrrev_b32 v112, 3, v103 :: v_dual_bitop2_b32 v102, 7, v22 bitop3:0x40
	v_cmp_gt_u32_e32 vcc_lo, 8, v103
	s_delay_alu instid0(VALU_DEP_2) | instskip(NEXT) | instid1(VALU_DEP_1)
	v_clz_i32_u32_e32 v102, v102
	v_min_u32_e32 v102, 32, v102
	s_delay_alu instid0(VALU_DEP_1) | instskip(SKIP_1) | instid1(VALU_DEP_1)
	v_subrev_nc_u32_e32 v113, 28, v102
	v_sub_nc_u32_e32 v102, 29, v102
	v_dual_cndmask_b32 v112, v112, v102, vcc_lo :: v_dual_cndmask_b32 v102, 0, v113, vcc_lo
	s_delay_alu instid0(VALU_DEP_1) | instskip(NEXT) | instid1(VALU_DEP_2)
	v_lshl_add_u32 v112, v112, 23, 0x3c000000
	v_lshlrev_b64_e32 v[102:103], v102, v[22:23]
	v_lshlrev_b32_e32 v103, 24, v22
	s_delay_alu instid0(VALU_DEP_1) | instskip(NEXT) | instid1(VALU_DEP_3)
	v_and_b32_e32 v103, 0x80000000, v103
	v_lshlrev_b32_e32 v102, 20, v102
	s_delay_alu instid0(VALU_DEP_1) | instskip(NEXT) | instid1(VALU_DEP_1)
	v_and_b32_e32 v102, 0x700000, v102
	v_or3_b32 v102, v102, v103, v112
.LBB4_2410:                             ;   in Loop: Header=BB4_2406 Depth=2
	s_or_b32 exec_lo, exec_lo, s27
.LBB4_2411:                             ;   in Loop: Header=BB4_2406 Depth=2
	s_delay_alu instid0(SALU_CYCLE_1)
	s_or_b32 exec_lo, exec_lo, s26
.LBB4_2412:                             ;   in Loop: Header=BB4_2406 Depth=2
	s_delay_alu instid0(SALU_CYCLE_1) | instskip(SKIP_3) | instid1(VALU_DEP_1)
	s_or_b32 exec_lo, exec_lo, s7
	s_wait_loadcnt 0x1
	v_and_b32_e32 v103, 0xff, v18
	s_mov_b32 s7, exec_lo
	v_cmpx_ne_u16_e32 0, v103
	s_cbranch_execz .LBB4_2418
; %bb.2413:                             ;   in Loop: Header=BB4_2406 Depth=2
	v_bfrev_b32_e32 v54, 1
	s_mov_b32 s26, exec_lo
	v_cmpx_ne_u16_e32 0x80, v103
	s_cbranch_execz .LBB4_2417
; %bb.2414:                             ;   in Loop: Header=BB4_2406 Depth=2
	v_and_b32_e32 v103, 0x7f, v18
	v_mov_b32_e32 v54, 0x7f800001
	s_mov_b32 s27, exec_lo
	s_delay_alu instid0(VALU_DEP_2)
	v_cmpx_ne_u32_e32 0x7f, v103
	s_cbranch_execz .LBB4_2416
; %bb.2415:                             ;   in Loop: Header=BB4_2406 Depth=2
	v_dual_lshrrev_b32 v112, 3, v103 :: v_dual_bitop2_b32 v54, 7, v18 bitop3:0x40
	v_cmp_gt_u32_e32 vcc_lo, 8, v103
	s_delay_alu instid0(VALU_DEP_2) | instskip(NEXT) | instid1(VALU_DEP_1)
	v_clz_i32_u32_e32 v54, v54
	v_min_u32_e32 v54, 32, v54
	s_delay_alu instid0(VALU_DEP_1) | instskip(NEXT) | instid1(VALU_DEP_1)
	v_subrev_nc_u32_e32 v113, 28, v54
	v_dual_cndmask_b32 v103, 0, v113 :: v_dual_sub_nc_u32 v54, 29, v54
	s_delay_alu instid0(VALU_DEP_1) | instskip(NEXT) | instid1(VALU_DEP_2)
	v_cndmask_b32_e32 v54, v112, v54, vcc_lo
	v_lshlrev_b64_e32 v[112:113], v103, v[18:19]
	v_lshlrev_b32_e32 v103, 24, v18
	s_delay_alu instid0(VALU_DEP_1) | instskip(NEXT) | instid1(VALU_DEP_3)
	v_and_b32_e32 v103, 0x80000000, v103
	v_lshlrev_b32_e32 v112, 20, v112
	v_lshl_add_u32 v54, v54, 23, 0x3c000000
	s_delay_alu instid0(VALU_DEP_2) | instskip(NEXT) | instid1(VALU_DEP_1)
	v_and_b32_e32 v112, 0x700000, v112
	v_or3_b32 v54, v112, v103, v54
.LBB4_2416:                             ;   in Loop: Header=BB4_2406 Depth=2
	s_or_b32 exec_lo, exec_lo, s27
.LBB4_2417:                             ;   in Loop: Header=BB4_2406 Depth=2
	s_delay_alu instid0(SALU_CYCLE_1)
	s_or_b32 exec_lo, exec_lo, s26
.LBB4_2418:                             ;   in Loop: Header=BB4_2406 Depth=2
	s_delay_alu instid0(SALU_CYCLE_1) | instskip(NEXT) | instid1(VALU_DEP_1)
	s_or_b32 exec_lo, exec_lo, s7
	v_mul_f32_e32 v102, v102, v54
                                        ; implicit-def: $vgpr41
	s_mov_b32 s7, exec_lo
	s_delay_alu instid0(VALU_DEP_1) | instskip(SKIP_1) | instid1(VALU_DEP_2)
	v_and_b32_e32 v54, 0x7f800000, v102
	v_lshrrev_b32_e32 v103, 24, v102
	v_cmpx_ne_u64_e32 0x7f800000, v[54:55]
	s_xor_b32 s26, exec_lo, s7
	s_cbranch_execz .LBB4_2432
; %bb.2419:                             ;   in Loop: Header=BB4_2406 Depth=2
	v_and_b32_e32 v54, 0x7fffffff, v102
	v_and_b32_e32 v42, 0x80, v103
                                        ; implicit-def: $vgpr41
	s_mov_b32 s7, exec_lo
	s_delay_alu instid0(VALU_DEP_2)
	v_cmpx_gt_u64_e32 0x43e00001, v[54:55]
	s_xor_b32 s27, exec_lo, s7
	s_cbranch_execz .LBB4_2429
; %bb.2420:                             ;   in Loop: Header=BB4_2406 Depth=2
	v_mov_b32_e32 v41, 0
	s_mov_b32 s28, exec_lo
	v_cmpx_ne_u32_e32 0, v102
	s_cbranch_execz .LBB4_2428
; %bb.2421:                             ;   in Loop: Header=BB4_2406 Depth=2
	v_bfe_u32 v41, v102, 23, 8
	s_delay_alu instid0(VALU_DEP_1) | instskip(SKIP_1) | instid1(VALU_DEP_2)
	v_sub_nc_u32_e32 v54, 0x79, v41
	v_cmp_gt_u32_e32 vcc_lo, 0x7a, v41
	v_cndmask_b32_e32 v54, 0, v54, vcc_lo
	v_cmp_eq_u32_e32 vcc_lo, 0, v41
	s_delay_alu instid0(VALU_DEP_2) | instskip(SKIP_1) | instid1(VALU_DEP_2)
	v_cndmask_b32_e64 v43, v54, 0x78, vcc_lo
	v_and_b32_e32 v54, 0x7fffff, v102
	v_add_nc_u32_e32 v102, 20, v43
	s_delay_alu instid0(VALU_DEP_2) | instskip(SKIP_1) | instid1(VALU_DEP_3)
	v_or_b32_e32 v112, 0x800000, v54
	v_add_nc_u32_e32 v113, 19, v43
	v_lshlrev_b64_e64 v[102:103], v102, -1
	s_delay_alu instid0(VALU_DEP_3) | instskip(NEXT) | instid1(VALU_DEP_3)
	v_cndmask_b32_e32 v54, v112, v54, vcc_lo
	v_lshlrev_b64_e64 v[112:113], v113, 1
	s_delay_alu instid0(VALU_DEP_3) | instskip(NEXT) | instid1(VALU_DEP_3)
	v_bfi_b32 v45, v103, 0, 0
	v_bfi_b32 v44, v102, 0, v54
	v_lshrrev_b64 v[102:103], v43, v[54:55]
	s_delay_alu instid0(VALU_DEP_2) | instskip(NEXT) | instid1(VALU_DEP_2)
	v_cmp_eq_u64_e64 s7, v[44:45], v[112:113]
	v_mov_b64_e32 v[112:113], v[102:103]
	s_and_saveexec_b32 s29, s7
; %bb.2422:                             ;   in Loop: Header=BB4_2406 Depth=2
	v_bfe_u32 v54, v102, 20, 1
	s_delay_alu instid0(VALU_DEP_1) | instskip(NEXT) | instid1(VALU_DEP_1)
	v_add_nc_u64_e32 v[112:113], v[102:103], v[54:55]
	v_add_nc_u64_e32 v[112:113], -1, v[112:113]
; %bb.2423:                             ;   in Loop: Header=BB4_2406 Depth=2
	s_or_b32 exec_lo, exec_lo, s29
	v_add_nc_u32_e32 v54, 0xffffff81, v41
	v_lshrrev_b32_e32 v103, 23, v102
	s_mov_b32 s7, exec_lo
	s_delay_alu instid0(VALU_DEP_2) | instskip(NEXT) | instid1(VALU_DEP_1)
	v_cndmask_b32_e64 v54, v54, 0xffffff82, vcc_lo
	v_add3_u32 v113, v43, v54, v103
	v_and_b32_e32 v54, 0xfffff, v112
                                        ; implicit-def: $vgpr112
	s_delay_alu instid0(VALU_DEP_1) | instskip(NEXT) | instid1(VALU_DEP_1)
	v_dual_add_nc_u32 v41, 6, v113 :: v_dual_add_nc_u32 v54, v54, v102
                                        ; implicit-def: $vgpr102_vgpr103
	v_cmpx_ne_u32_e32 0, v41
	s_xor_b32 s7, exec_lo, s7
; %bb.2424:                             ;   in Loop: Header=BB4_2406 Depth=2
	s_delay_alu instid0(VALU_DEP_2) | instskip(SKIP_1) | instid1(VALU_DEP_1)
	v_cmp_lt_u64_e32 vcc_lo, 0xffffff, v[54:55]
	v_add_nc_u32_e32 v102, 7, v113
	v_cndmask_b32_e32 v112, v41, v102, vcc_lo
	v_cndmask_b32_e64 v102, 0, 1, vcc_lo
	s_delay_alu instid0(VALU_DEP_1)
	v_lshrrev_b64 v[102:103], v102, v[54:55]
; %bb.2425:                             ;   in Loop: Header=BB4_2406 Depth=2
	s_and_not1_saveexec_b32 s7, s7
; %bb.2426:                             ;   in Loop: Header=BB4_2406 Depth=2
	v_mov_b64_e32 v[102:103], v[54:55]
	v_bfe_u32 v112, v54, 23, 1
; %bb.2427:                             ;   in Loop: Header=BB4_2406 Depth=2
	s_or_b32 exec_lo, exec_lo, s7
	s_delay_alu instid0(VALU_DEP_2) | instskip(NEXT) | instid1(VALU_DEP_2)
	v_lshrrev_b64 v[102:103], 20, v[102:103]
	v_cmp_gt_i32_e32 vcc_lo, 16, v112
	v_min_i32_e32 v54, 15, v112
	v_cmp_eq_u32_e64 s7, 0, v112
	s_delay_alu instid0(VALU_DEP_2) | instskip(SKIP_1) | instid1(VALU_DEP_2)
	v_dual_cndmask_b32 v103, 0, v103 :: v_dual_lshlrev_b32 v54, 3, v54
	v_cndmask_b32_e32 v102, 7, v102, vcc_lo
	v_and_b32_e32 v54, 0xf8, v54
	s_delay_alu instid0(VALU_DEP_2) | instskip(NEXT) | instid1(VALU_DEP_2)
	v_cmp_eq_u64_e32 vcc_lo, 0, v[102:103]
	v_and_or_b32 v54, v102, 7, v54
	s_and_b32 s7, s7, vcc_lo
	s_delay_alu instid0(VALU_DEP_1) | instid1(SALU_CYCLE_1)
	v_cndmask_b32_e64 v54, v54, 0, s7
	s_delay_alu instid0(VALU_DEP_1)
	v_or_b32_e32 v41, v54, v42
.LBB4_2428:                             ;   in Loop: Header=BB4_2406 Depth=2
	s_or_b32 exec_lo, exec_lo, s28
                                        ; implicit-def: $vgpr42
.LBB4_2429:                             ;   in Loop: Header=BB4_2406 Depth=2
	s_and_not1_saveexec_b32 s7, s27
; %bb.2430:                             ;   in Loop: Header=BB4_2406 Depth=2
	v_or_b32_e32 v41, 0x7e, v42
; %bb.2431:                             ;   in Loop: Header=BB4_2406 Depth=2
	s_or_b32 exec_lo, exec_lo, s7
                                        ; implicit-def: $vgpr103
.LBB4_2432:                             ;   in Loop: Header=BB4_2406 Depth=2
	s_and_not1_saveexec_b32 s7, s26
; %bb.2433:                             ;   in Loop: Header=BB4_2406 Depth=2
	v_or_b32_e32 v41, 0x7f, v103
; %bb.2434:                             ;   in Loop: Header=BB4_2406 Depth=2
	s_or_b32 exec_lo, exec_lo, s7
	v_lshrrev_b16 v54, 8, v22
	v_dual_mov_b32 v102, 0 :: v_dual_mov_b32 v103, 0
	s_mov_b32 s7, exec_lo
	s_delay_alu instid0(VALU_DEP_2)
	v_cmpx_ne_u16_e32 0, v54
	s_cbranch_execz .LBB4_2442
; %bb.2435:                             ;   in Loop: Header=BB4_2406 Depth=2
	v_bfrev_b32_e32 v103, 1
	s_mov_b32 s26, exec_lo
	v_cmpx_ne_u16_e32 0x80, v54
	s_cbranch_execz .LBB4_2441
; %bb.2436:                             ;   in Loop: Header=BB4_2406 Depth=2
	v_and_b32_e32 v54, 0xffff, v54
	v_mov_b32_e32 v103, 0x7f800001
	s_mov_b32 s27, exec_lo
	s_delay_alu instid0(VALU_DEP_2) | instskip(NEXT) | instid1(VALU_DEP_1)
	v_and_b32_e32 v112, 0x7f, v54
	v_cmpx_ne_u32_e32 0x7f, v112
	s_cbranch_execz .LBB4_2440
; %bb.2437:                             ;   in Loop: Header=BB4_2406 Depth=2
	v_dual_lshrrev_b32 v103, 3, v112 :: v_dual_bitop2_b32 v54, 7, v54 bitop3:0x40
	s_mov_b32 s28, exec_lo
	v_cmpx_gt_u32_e32 8, v112
; %bb.2438:                             ;   in Loop: Header=BB4_2406 Depth=2
	s_delay_alu instid0(VALU_DEP_2) | instskip(NEXT) | instid1(VALU_DEP_1)
	v_clz_i32_u32_e32 v103, v54
	v_min_u32_e32 v103, 32, v103
	s_delay_alu instid0(VALU_DEP_1) | instskip(NEXT) | instid1(VALU_DEP_1)
	v_subrev_nc_u32_e32 v112, 28, v103
	v_lshlrev_b64_e32 v[112:113], v112, v[54:55]
	s_delay_alu instid0(VALU_DEP_1)
	v_dual_sub_nc_u32 v103, 29, v103 :: v_dual_bitop2_b32 v54, 7, v112 bitop3:0x40
; %bb.2439:                             ;   in Loop: Header=BB4_2406 Depth=2
	s_or_b32 exec_lo, exec_lo, s28
	v_lshlrev_b32_e32 v112, 16, v22
	s_delay_alu instid0(VALU_DEP_2) | instskip(NEXT) | instid1(VALU_DEP_3)
	v_lshlrev_b32_e32 v54, 20, v54
	v_lshl_add_u32 v103, v103, 23, 0x3c000000
	s_delay_alu instid0(VALU_DEP_3) | instskip(NEXT) | instid1(VALU_DEP_1)
	v_and_b32_e32 v112, 0x80000000, v112
	v_or3_b32 v103, v54, v112, v103
.LBB4_2440:                             ;   in Loop: Header=BB4_2406 Depth=2
	s_or_b32 exec_lo, exec_lo, s27
.LBB4_2441:                             ;   in Loop: Header=BB4_2406 Depth=2
	s_delay_alu instid0(SALU_CYCLE_1)
	s_or_b32 exec_lo, exec_lo, s26
.LBB4_2442:                             ;   in Loop: Header=BB4_2406 Depth=2
	s_delay_alu instid0(SALU_CYCLE_1) | instskip(SKIP_2) | instid1(VALU_DEP_1)
	s_or_b32 exec_lo, exec_lo, s7
	v_lshrrev_b16 v54, 8, v18
	s_mov_b32 s7, exec_lo
	v_cmpx_ne_u16_e32 0, v54
	s_cbranch_execz .LBB4_2450
; %bb.2443:                             ;   in Loop: Header=BB4_2406 Depth=2
	v_bfrev_b32_e32 v102, 1
	s_mov_b32 s26, exec_lo
	v_cmpx_ne_u16_e32 0x80, v54
	s_cbranch_execz .LBB4_2449
; %bb.2444:                             ;   in Loop: Header=BB4_2406 Depth=2
	v_and_b32_e32 v54, 0xffff, v54
	v_mov_b32_e32 v102, 0x7f800001
	s_mov_b32 s27, exec_lo
	s_delay_alu instid0(VALU_DEP_2) | instskip(NEXT) | instid1(VALU_DEP_1)
	v_and_b32_e32 v112, 0x7f, v54
	v_cmpx_ne_u32_e32 0x7f, v112
	s_cbranch_execz .LBB4_2448
; %bb.2445:                             ;   in Loop: Header=BB4_2406 Depth=2
	v_dual_lshrrev_b32 v102, 3, v112 :: v_dual_bitop2_b32 v54, 7, v54 bitop3:0x40
	s_mov_b32 s28, exec_lo
	v_cmpx_gt_u32_e32 8, v112
; %bb.2446:                             ;   in Loop: Header=BB4_2406 Depth=2
	s_delay_alu instid0(VALU_DEP_2) | instskip(NEXT) | instid1(VALU_DEP_1)
	v_clz_i32_u32_e32 v102, v54
	v_min_u32_e32 v102, 32, v102
	s_delay_alu instid0(VALU_DEP_1) | instskip(NEXT) | instid1(VALU_DEP_1)
	v_subrev_nc_u32_e32 v112, 28, v102
	v_lshlrev_b64_e32 v[112:113], v112, v[54:55]
	s_delay_alu instid0(VALU_DEP_1)
	v_dual_sub_nc_u32 v102, 29, v102 :: v_dual_bitop2_b32 v54, 7, v112 bitop3:0x40
; %bb.2447:                             ;   in Loop: Header=BB4_2406 Depth=2
	s_or_b32 exec_lo, exec_lo, s28
	v_lshlrev_b32_e32 v112, 16, v18
	s_delay_alu instid0(VALU_DEP_2) | instskip(NEXT) | instid1(VALU_DEP_3)
	v_lshlrev_b32_e32 v54, 20, v54
	v_lshl_add_u32 v102, v102, 23, 0x3c000000
	s_delay_alu instid0(VALU_DEP_3) | instskip(NEXT) | instid1(VALU_DEP_1)
	v_and_b32_e32 v112, 0x80000000, v112
	v_or3_b32 v102, v54, v112, v102
.LBB4_2448:                             ;   in Loop: Header=BB4_2406 Depth=2
	s_or_b32 exec_lo, exec_lo, s27
.LBB4_2449:                             ;   in Loop: Header=BB4_2406 Depth=2
	s_delay_alu instid0(SALU_CYCLE_1)
	s_or_b32 exec_lo, exec_lo, s26
.LBB4_2450:                             ;   in Loop: Header=BB4_2406 Depth=2
	s_delay_alu instid0(SALU_CYCLE_1) | instskip(NEXT) | instid1(VALU_DEP_1)
	s_or_b32 exec_lo, exec_lo, s7
	v_mul_f32_e32 v102, v103, v102
                                        ; implicit-def: $vgpr42
	s_mov_b32 s7, exec_lo
	s_delay_alu instid0(VALU_DEP_1) | instskip(SKIP_1) | instid1(VALU_DEP_2)
	v_and_b32_e32 v54, 0x7f800000, v102
	v_lshrrev_b32_e32 v103, 24, v102
	v_cmpx_ne_u64_e32 0x7f800000, v[54:55]
	s_xor_b32 s26, exec_lo, s7
	s_cbranch_execz .LBB4_2464
; %bb.2451:                             ;   in Loop: Header=BB4_2406 Depth=2
	v_and_b32_e32 v54, 0x7fffffff, v102
	v_and_b32_e32 v43, 0x80, v103
                                        ; implicit-def: $vgpr42
	s_mov_b32 s7, exec_lo
	s_delay_alu instid0(VALU_DEP_2)
	v_cmpx_gt_u64_e32 0x43e00001, v[54:55]
	s_xor_b32 s27, exec_lo, s7
	s_cbranch_execz .LBB4_2461
; %bb.2452:                             ;   in Loop: Header=BB4_2406 Depth=2
	v_mov_b32_e32 v42, 0
	s_mov_b32 s28, exec_lo
	v_cmpx_ne_u32_e32 0, v102
	s_cbranch_execz .LBB4_2460
; %bb.2453:                             ;   in Loop: Header=BB4_2406 Depth=2
	v_bfe_u32 v42, v102, 23, 8
	s_delay_alu instid0(VALU_DEP_1) | instskip(SKIP_1) | instid1(VALU_DEP_2)
	v_sub_nc_u32_e32 v54, 0x79, v42
	v_cmp_gt_u32_e32 vcc_lo, 0x7a, v42
	v_cndmask_b32_e32 v54, 0, v54, vcc_lo
	v_cmp_eq_u32_e32 vcc_lo, 0, v42
	s_delay_alu instid0(VALU_DEP_2) | instskip(SKIP_1) | instid1(VALU_DEP_2)
	v_cndmask_b32_e64 v44, v54, 0x78, vcc_lo
	v_and_b32_e32 v54, 0x7fffff, v102
	v_add_nc_u32_e32 v102, 20, v44
	s_delay_alu instid0(VALU_DEP_2) | instskip(SKIP_1) | instid1(VALU_DEP_3)
	v_or_b32_e32 v112, 0x800000, v54
	v_add_nc_u32_e32 v113, 19, v44
	v_lshlrev_b64_e64 v[102:103], v102, -1
	s_delay_alu instid0(VALU_DEP_3) | instskip(NEXT) | instid1(VALU_DEP_3)
	v_cndmask_b32_e32 v54, v112, v54, vcc_lo
	v_lshlrev_b64_e64 v[112:113], v113, 1
	s_delay_alu instid0(VALU_DEP_3) | instskip(NEXT) | instid1(VALU_DEP_3)
	v_bfi_b32 v47, v103, 0, 0
	v_bfi_b32 v46, v102, 0, v54
	v_lshrrev_b64 v[102:103], v44, v[54:55]
	s_delay_alu instid0(VALU_DEP_2) | instskip(NEXT) | instid1(VALU_DEP_2)
	v_cmp_eq_u64_e64 s7, v[46:47], v[112:113]
	v_mov_b64_e32 v[112:113], v[102:103]
	s_and_saveexec_b32 s29, s7
; %bb.2454:                             ;   in Loop: Header=BB4_2406 Depth=2
	v_bfe_u32 v54, v102, 20, 1
	s_delay_alu instid0(VALU_DEP_1) | instskip(NEXT) | instid1(VALU_DEP_1)
	v_add_nc_u64_e32 v[112:113], v[102:103], v[54:55]
	v_add_nc_u64_e32 v[112:113], -1, v[112:113]
; %bb.2455:                             ;   in Loop: Header=BB4_2406 Depth=2
	s_or_b32 exec_lo, exec_lo, s29
	v_add_nc_u32_e32 v54, 0xffffff81, v42
	v_lshrrev_b32_e32 v103, 23, v102
	s_mov_b32 s7, exec_lo
	s_delay_alu instid0(VALU_DEP_2) | instskip(NEXT) | instid1(VALU_DEP_1)
	v_cndmask_b32_e64 v54, v54, 0xffffff82, vcc_lo
	v_add3_u32 v113, v44, v54, v103
	v_and_b32_e32 v54, 0xfffff, v112
                                        ; implicit-def: $vgpr112
	s_delay_alu instid0(VALU_DEP_1) | instskip(NEXT) | instid1(VALU_DEP_1)
	v_dual_add_nc_u32 v42, 6, v113 :: v_dual_add_nc_u32 v54, v54, v102
                                        ; implicit-def: $vgpr102_vgpr103
	v_cmpx_ne_u32_e32 0, v42
	s_xor_b32 s7, exec_lo, s7
; %bb.2456:                             ;   in Loop: Header=BB4_2406 Depth=2
	s_delay_alu instid0(VALU_DEP_2) | instskip(SKIP_1) | instid1(VALU_DEP_1)
	v_cmp_lt_u64_e32 vcc_lo, 0xffffff, v[54:55]
	v_add_nc_u32_e32 v102, 7, v113
	v_cndmask_b32_e32 v112, v42, v102, vcc_lo
	v_cndmask_b32_e64 v102, 0, 1, vcc_lo
	s_delay_alu instid0(VALU_DEP_1)
	v_lshrrev_b64 v[102:103], v102, v[54:55]
; %bb.2457:                             ;   in Loop: Header=BB4_2406 Depth=2
	s_and_not1_saveexec_b32 s7, s7
; %bb.2458:                             ;   in Loop: Header=BB4_2406 Depth=2
	v_mov_b64_e32 v[102:103], v[54:55]
	v_bfe_u32 v112, v54, 23, 1
; %bb.2459:                             ;   in Loop: Header=BB4_2406 Depth=2
	s_or_b32 exec_lo, exec_lo, s7
	s_delay_alu instid0(VALU_DEP_2) | instskip(NEXT) | instid1(VALU_DEP_2)
	v_lshrrev_b64 v[102:103], 20, v[102:103]
	v_cmp_gt_i32_e32 vcc_lo, 16, v112
	v_min_i32_e32 v54, 15, v112
	v_cmp_eq_u32_e64 s7, 0, v112
	s_delay_alu instid0(VALU_DEP_2) | instskip(SKIP_1) | instid1(VALU_DEP_2)
	v_dual_cndmask_b32 v103, 0, v103 :: v_dual_lshlrev_b32 v54, 3, v54
	v_cndmask_b32_e32 v102, 7, v102, vcc_lo
	v_and_b32_e32 v54, 0xf8, v54
	s_delay_alu instid0(VALU_DEP_2) | instskip(NEXT) | instid1(VALU_DEP_2)
	v_cmp_eq_u64_e32 vcc_lo, 0, v[102:103]
	v_and_or_b32 v54, v102, 7, v54
	s_and_b32 s7, s7, vcc_lo
	s_delay_alu instid0(VALU_DEP_1) | instid1(SALU_CYCLE_1)
	v_cndmask_b32_e64 v54, v54, 0, s7
	s_delay_alu instid0(VALU_DEP_1)
	v_or_b32_e32 v42, v54, v43
.LBB4_2460:                             ;   in Loop: Header=BB4_2406 Depth=2
	s_or_b32 exec_lo, exec_lo, s28
                                        ; implicit-def: $vgpr43
.LBB4_2461:                             ;   in Loop: Header=BB4_2406 Depth=2
	s_and_not1_saveexec_b32 s7, s27
; %bb.2462:                             ;   in Loop: Header=BB4_2406 Depth=2
	v_or_b32_e32 v42, 0x7e, v43
; %bb.2463:                             ;   in Loop: Header=BB4_2406 Depth=2
	s_or_b32 exec_lo, exec_lo, s7
                                        ; implicit-def: $vgpr103
.LBB4_2464:                             ;   in Loop: Header=BB4_2406 Depth=2
	s_and_not1_saveexec_b32 s7, s26
; %bb.2465:                             ;   in Loop: Header=BB4_2406 Depth=2
	v_or_b32_e32 v42, 0x7f, v103
; %bb.2466:                             ;   in Loop: Header=BB4_2406 Depth=2
	s_or_b32 exec_lo, exec_lo, s7
	v_dual_lshrrev_b32 v112, 16, v22 :: v_dual_mov_b32 v102, 0
	v_mov_b32_e32 v103, 0
	s_mov_b32 s7, exec_lo
	s_delay_alu instid0(VALU_DEP_2) | instskip(NEXT) | instid1(VALU_DEP_1)
	v_and_b32_e32 v54, 0xff, v112
	v_cmpx_ne_u16_e32 0, v54
	s_cbranch_execz .LBB4_2474
; %bb.2467:                             ;   in Loop: Header=BB4_2406 Depth=2
	v_bfrev_b32_e32 v103, 1
	s_mov_b32 s26, exec_lo
	v_cmpx_ne_u16_e32 0x80, v54
	s_cbranch_execz .LBB4_2473
; %bb.2468:                             ;   in Loop: Header=BB4_2406 Depth=2
	v_bfe_u32 v113, v22, 16, 7
	v_mov_b32_e32 v103, 0x7f800001
	s_mov_b32 s27, exec_lo
	s_delay_alu instid0(VALU_DEP_2)
	v_cmpx_ne_u32_e32 0x7f, v113
	s_cbranch_execz .LBB4_2472
; %bb.2469:                             ;   in Loop: Header=BB4_2406 Depth=2
	v_dual_lshrrev_b32 v103, 3, v113 :: v_dual_bitop2_b32 v54, 7, v112 bitop3:0x40
	s_mov_b32 s28, exec_lo
	v_cmpx_gt_u32_e32 8, v113
; %bb.2470:                             ;   in Loop: Header=BB4_2406 Depth=2
	s_delay_alu instid0(VALU_DEP_2) | instskip(NEXT) | instid1(VALU_DEP_1)
	v_clz_i32_u32_e32 v103, v54
	v_min_u32_e32 v103, 32, v103
	s_delay_alu instid0(VALU_DEP_1) | instskip(NEXT) | instid1(VALU_DEP_1)
	v_subrev_nc_u32_e32 v113, 28, v103
	v_lshlrev_b64_e32 v[44:45], v113, v[54:55]
	s_delay_alu instid0(VALU_DEP_1)
	v_dual_sub_nc_u32 v103, 29, v103 :: v_dual_bitop2_b32 v54, 7, v44 bitop3:0x40
; %bb.2471:                             ;   in Loop: Header=BB4_2406 Depth=2
	s_or_b32 exec_lo, exec_lo, s28
	s_delay_alu instid0(VALU_DEP_1) | instskip(NEXT) | instid1(VALU_DEP_2)
	v_dual_lshlrev_b32 v112, 24, v112 :: v_dual_lshlrev_b32 v54, 20, v54
	v_lshl_add_u32 v103, v103, 23, 0x3c000000
	s_delay_alu instid0(VALU_DEP_2) | instskip(NEXT) | instid1(VALU_DEP_1)
	v_and_b32_e32 v112, 0x80000000, v112
	v_or3_b32 v103, v54, v112, v103
.LBB4_2472:                             ;   in Loop: Header=BB4_2406 Depth=2
	s_or_b32 exec_lo, exec_lo, s27
.LBB4_2473:                             ;   in Loop: Header=BB4_2406 Depth=2
	s_delay_alu instid0(SALU_CYCLE_1)
	s_or_b32 exec_lo, exec_lo, s26
.LBB4_2474:                             ;   in Loop: Header=BB4_2406 Depth=2
	s_delay_alu instid0(SALU_CYCLE_1) | instskip(SKIP_2) | instid1(VALU_DEP_1)
	s_or_b32 exec_lo, exec_lo, s7
	v_lshrrev_b32_e32 v54, 16, v18
	s_mov_b32 s7, exec_lo
	v_and_b32_e32 v112, 0xff, v54
	s_delay_alu instid0(VALU_DEP_1)
	v_cmpx_ne_u16_e32 0, v112
	s_cbranch_execz .LBB4_2482
; %bb.2475:                             ;   in Loop: Header=BB4_2406 Depth=2
	v_bfrev_b32_e32 v102, 1
	s_mov_b32 s26, exec_lo
	v_cmpx_ne_u16_e32 0x80, v112
	s_cbranch_execz .LBB4_2481
; %bb.2476:                             ;   in Loop: Header=BB4_2406 Depth=2
	v_bfe_u32 v112, v18, 16, 7
	v_mov_b32_e32 v102, 0x7f800001
	s_mov_b32 s27, exec_lo
	s_delay_alu instid0(VALU_DEP_2)
	v_cmpx_ne_u32_e32 0x7f, v112
	s_cbranch_execz .LBB4_2480
; %bb.2477:                             ;   in Loop: Header=BB4_2406 Depth=2
	v_dual_lshrrev_b32 v102, 3, v112 :: v_dual_bitop2_b32 v54, 7, v54 bitop3:0x40
	s_mov_b32 s28, exec_lo
	v_cmpx_gt_u32_e32 8, v112
; %bb.2478:                             ;   in Loop: Header=BB4_2406 Depth=2
	s_delay_alu instid0(VALU_DEP_2) | instskip(NEXT) | instid1(VALU_DEP_1)
	v_clz_i32_u32_e32 v102, v54
	v_min_u32_e32 v102, 32, v102
	s_delay_alu instid0(VALU_DEP_1) | instskip(NEXT) | instid1(VALU_DEP_1)
	v_subrev_nc_u32_e32 v112, 28, v102
	v_lshlrev_b64_e32 v[112:113], v112, v[54:55]
	s_delay_alu instid0(VALU_DEP_1)
	v_dual_sub_nc_u32 v102, 29, v102 :: v_dual_bitop2_b32 v54, 7, v112 bitop3:0x40
; %bb.2479:                             ;   in Loop: Header=BB4_2406 Depth=2
	s_or_b32 exec_lo, exec_lo, s28
	v_lshlrev_b32_e32 v112, 8, v18
	s_delay_alu instid0(VALU_DEP_2) | instskip(NEXT) | instid1(VALU_DEP_3)
	v_lshlrev_b32_e32 v54, 20, v54
	v_lshl_add_u32 v102, v102, 23, 0x3c000000
	s_delay_alu instid0(VALU_DEP_3) | instskip(NEXT) | instid1(VALU_DEP_1)
	v_and_b32_e32 v112, 0x80000000, v112
	v_or3_b32 v102, v54, v112, v102
.LBB4_2480:                             ;   in Loop: Header=BB4_2406 Depth=2
	s_or_b32 exec_lo, exec_lo, s27
.LBB4_2481:                             ;   in Loop: Header=BB4_2406 Depth=2
	s_delay_alu instid0(SALU_CYCLE_1)
	s_or_b32 exec_lo, exec_lo, s26
.LBB4_2482:                             ;   in Loop: Header=BB4_2406 Depth=2
	s_delay_alu instid0(SALU_CYCLE_1) | instskip(NEXT) | instid1(VALU_DEP_1)
	s_or_b32 exec_lo, exec_lo, s7
	v_mul_f32_e32 v102, v103, v102
                                        ; implicit-def: $vgpr43
	s_mov_b32 s7, exec_lo
	s_delay_alu instid0(VALU_DEP_1) | instskip(SKIP_1) | instid1(VALU_DEP_2)
	v_and_b32_e32 v54, 0x7f800000, v102
	v_lshrrev_b32_e32 v103, 24, v102
	v_cmpx_ne_u64_e32 0x7f800000, v[54:55]
	s_xor_b32 s26, exec_lo, s7
	s_cbranch_execz .LBB4_2496
; %bb.2483:                             ;   in Loop: Header=BB4_2406 Depth=2
	v_and_b32_e32 v54, 0x7fffffff, v102
	v_and_b32_e32 v44, 0x80, v103
                                        ; implicit-def: $vgpr43
	s_mov_b32 s7, exec_lo
	s_delay_alu instid0(VALU_DEP_2)
	v_cmpx_gt_u64_e32 0x43e00001, v[54:55]
	s_xor_b32 s27, exec_lo, s7
	s_cbranch_execz .LBB4_2493
; %bb.2484:                             ;   in Loop: Header=BB4_2406 Depth=2
	v_mov_b32_e32 v43, 0
	s_mov_b32 s28, exec_lo
	v_cmpx_ne_u32_e32 0, v102
	s_cbranch_execz .LBB4_2492
; %bb.2485:                             ;   in Loop: Header=BB4_2406 Depth=2
	v_bfe_u32 v43, v102, 23, 8
	s_delay_alu instid0(VALU_DEP_1) | instskip(SKIP_1) | instid1(VALU_DEP_2)
	v_sub_nc_u32_e32 v54, 0x79, v43
	v_cmp_gt_u32_e32 vcc_lo, 0x7a, v43
	v_cndmask_b32_e32 v54, 0, v54, vcc_lo
	v_cmp_eq_u32_e32 vcc_lo, 0, v43
	s_delay_alu instid0(VALU_DEP_2) | instskip(SKIP_1) | instid1(VALU_DEP_2)
	v_cndmask_b32_e64 v45, v54, 0x78, vcc_lo
	v_and_b32_e32 v54, 0x7fffff, v102
	v_add_nc_u32_e32 v102, 20, v45
	s_delay_alu instid0(VALU_DEP_2) | instskip(SKIP_1) | instid1(VALU_DEP_3)
	v_or_b32_e32 v112, 0x800000, v54
	v_add_nc_u32_e32 v113, 19, v45
	v_lshlrev_b64_e64 v[102:103], v102, -1
	s_delay_alu instid0(VALU_DEP_3) | instskip(NEXT) | instid1(VALU_DEP_3)
	v_cndmask_b32_e32 v54, v112, v54, vcc_lo
	v_lshlrev_b64_e64 v[112:113], v113, 1
	s_delay_alu instid0(VALU_DEP_3) | instskip(NEXT) | instid1(VALU_DEP_3)
	v_bfi_b32 v47, v103, 0, 0
	v_bfi_b32 v46, v102, 0, v54
	v_lshrrev_b64 v[102:103], v45, v[54:55]
	s_delay_alu instid0(VALU_DEP_2) | instskip(NEXT) | instid1(VALU_DEP_2)
	v_cmp_eq_u64_e64 s7, v[46:47], v[112:113]
	v_mov_b64_e32 v[112:113], v[102:103]
	s_and_saveexec_b32 s29, s7
; %bb.2486:                             ;   in Loop: Header=BB4_2406 Depth=2
	v_bfe_u32 v54, v102, 20, 1
	s_delay_alu instid0(VALU_DEP_1) | instskip(NEXT) | instid1(VALU_DEP_1)
	v_add_nc_u64_e32 v[112:113], v[102:103], v[54:55]
	v_add_nc_u64_e32 v[112:113], -1, v[112:113]
; %bb.2487:                             ;   in Loop: Header=BB4_2406 Depth=2
	s_or_b32 exec_lo, exec_lo, s29
	v_add_nc_u32_e32 v54, 0xffffff81, v43
	v_lshrrev_b32_e32 v103, 23, v102
	s_mov_b32 s7, exec_lo
	s_delay_alu instid0(VALU_DEP_2) | instskip(NEXT) | instid1(VALU_DEP_1)
	v_cndmask_b32_e64 v54, v54, 0xffffff82, vcc_lo
	v_add3_u32 v113, v45, v54, v103
	v_and_b32_e32 v54, 0xfffff, v112
                                        ; implicit-def: $vgpr112
	s_delay_alu instid0(VALU_DEP_1) | instskip(NEXT) | instid1(VALU_DEP_1)
	v_dual_add_nc_u32 v43, 6, v113 :: v_dual_add_nc_u32 v54, v54, v102
                                        ; implicit-def: $vgpr102_vgpr103
	v_cmpx_ne_u32_e32 0, v43
	s_xor_b32 s7, exec_lo, s7
; %bb.2488:                             ;   in Loop: Header=BB4_2406 Depth=2
	s_delay_alu instid0(VALU_DEP_2) | instskip(SKIP_1) | instid1(VALU_DEP_1)
	v_cmp_lt_u64_e32 vcc_lo, 0xffffff, v[54:55]
	v_add_nc_u32_e32 v102, 7, v113
	v_cndmask_b32_e32 v112, v43, v102, vcc_lo
	v_cndmask_b32_e64 v102, 0, 1, vcc_lo
	s_delay_alu instid0(VALU_DEP_1)
	v_lshrrev_b64 v[102:103], v102, v[54:55]
; %bb.2489:                             ;   in Loop: Header=BB4_2406 Depth=2
	s_and_not1_saveexec_b32 s7, s7
; %bb.2490:                             ;   in Loop: Header=BB4_2406 Depth=2
	v_mov_b64_e32 v[102:103], v[54:55]
	v_bfe_u32 v112, v54, 23, 1
; %bb.2491:                             ;   in Loop: Header=BB4_2406 Depth=2
	s_or_b32 exec_lo, exec_lo, s7
	s_delay_alu instid0(VALU_DEP_2) | instskip(NEXT) | instid1(VALU_DEP_2)
	v_lshrrev_b64 v[102:103], 20, v[102:103]
	v_cmp_gt_i32_e32 vcc_lo, 16, v112
	v_min_i32_e32 v54, 15, v112
	v_cmp_eq_u32_e64 s7, 0, v112
	s_delay_alu instid0(VALU_DEP_2) | instskip(SKIP_1) | instid1(VALU_DEP_2)
	v_dual_cndmask_b32 v103, 0, v103 :: v_dual_lshlrev_b32 v54, 3, v54
	v_cndmask_b32_e32 v102, 7, v102, vcc_lo
	v_and_b32_e32 v54, 0xf8, v54
	s_delay_alu instid0(VALU_DEP_2) | instskip(NEXT) | instid1(VALU_DEP_2)
	v_cmp_eq_u64_e32 vcc_lo, 0, v[102:103]
	v_and_or_b32 v54, v102, 7, v54
	s_and_b32 s7, s7, vcc_lo
	s_delay_alu instid0(VALU_DEP_1) | instid1(SALU_CYCLE_1)
	v_cndmask_b32_e64 v54, v54, 0, s7
	s_delay_alu instid0(VALU_DEP_1)
	v_or_b32_e32 v43, v54, v44
.LBB4_2492:                             ;   in Loop: Header=BB4_2406 Depth=2
	s_or_b32 exec_lo, exec_lo, s28
                                        ; implicit-def: $vgpr44
.LBB4_2493:                             ;   in Loop: Header=BB4_2406 Depth=2
	s_and_not1_saveexec_b32 s7, s27
; %bb.2494:                             ;   in Loop: Header=BB4_2406 Depth=2
	v_or_b32_e32 v43, 0x7e, v44
; %bb.2495:                             ;   in Loop: Header=BB4_2406 Depth=2
	s_or_b32 exec_lo, exec_lo, s7
                                        ; implicit-def: $vgpr103
.LBB4_2496:                             ;   in Loop: Header=BB4_2406 Depth=2
	s_and_not1_saveexec_b32 s7, s26
; %bb.2497:                             ;   in Loop: Header=BB4_2406 Depth=2
	v_or_b32_e32 v43, 0x7f, v103
; %bb.2498:                             ;   in Loop: Header=BB4_2406 Depth=2
	s_or_b32 exec_lo, exec_lo, s7
	v_dual_mov_b32 v102, 0 :: v_dual_mov_b32 v103, 0
	s_mov_b32 s7, exec_lo
	v_cmpx_lt_u32_e32 0xffffff, v22
	s_cbranch_execz .LBB4_2506
; %bb.2499:                             ;   in Loop: Header=BB4_2406 Depth=2
	v_lshrrev_b32_e32 v112, 24, v22
	v_bfrev_b32_e32 v103, 1
	s_mov_b32 s26, exec_lo
	s_delay_alu instid0(VALU_DEP_2)
	v_cmpx_ne_u32_e32 0x80, v112
	s_cbranch_execz .LBB4_2505
; %bb.2500:                             ;   in Loop: Header=BB4_2406 Depth=2
	v_bfe_u32 v113, v22, 24, 7
	v_mov_b32_e32 v103, 0x7f800001
	s_mov_b32 s27, exec_lo
	s_delay_alu instid0(VALU_DEP_2)
	v_cmpx_ne_u32_e32 0x7f, v113
	s_cbranch_execz .LBB4_2504
; %bb.2501:                             ;   in Loop: Header=BB4_2406 Depth=2
	v_dual_lshrrev_b32 v103, 3, v113 :: v_dual_bitop2_b32 v54, 7, v112 bitop3:0x40
	s_mov_b32 s28, exec_lo
	v_cmpx_gt_u32_e32 8, v113
; %bb.2502:                             ;   in Loop: Header=BB4_2406 Depth=2
	s_delay_alu instid0(VALU_DEP_2) | instskip(NEXT) | instid1(VALU_DEP_1)
	v_clz_i32_u32_e32 v103, v54
	v_min_u32_e32 v103, 32, v103
	s_delay_alu instid0(VALU_DEP_1) | instskip(NEXT) | instid1(VALU_DEP_1)
	v_subrev_nc_u32_e32 v113, 28, v103
	v_lshlrev_b64_e32 v[44:45], v113, v[54:55]
	s_delay_alu instid0(VALU_DEP_1)
	v_dual_sub_nc_u32 v103, 29, v103 :: v_dual_bitop2_b32 v54, 7, v44 bitop3:0x40
; %bb.2503:                             ;   in Loop: Header=BB4_2406 Depth=2
	s_or_b32 exec_lo, exec_lo, s28
	s_delay_alu instid0(VALU_DEP_1) | instskip(NEXT) | instid1(VALU_DEP_2)
	v_dual_lshlrev_b32 v112, 24, v112 :: v_dual_lshlrev_b32 v54, 20, v54
	v_lshl_add_u32 v103, v103, 23, 0x3c000000
	s_delay_alu instid0(VALU_DEP_2) | instskip(NEXT) | instid1(VALU_DEP_1)
	v_and_b32_e32 v112, 0x80000000, v112
	v_or3_b32 v103, v54, v112, v103
.LBB4_2504:                             ;   in Loop: Header=BB4_2406 Depth=2
	s_or_b32 exec_lo, exec_lo, s27
.LBB4_2505:                             ;   in Loop: Header=BB4_2406 Depth=2
	s_delay_alu instid0(SALU_CYCLE_1)
	s_or_b32 exec_lo, exec_lo, s26
.LBB4_2506:                             ;   in Loop: Header=BB4_2406 Depth=2
	s_delay_alu instid0(SALU_CYCLE_1) | instskip(NEXT) | instid1(SALU_CYCLE_1)
	s_or_b32 exec_lo, exec_lo, s7
	s_mov_b32 s7, exec_lo
	v_cmpx_lt_u32_e32 0xffffff, v18
	s_cbranch_execz .LBB4_2514
; %bb.2507:                             ;   in Loop: Header=BB4_2406 Depth=2
	v_lshrrev_b32_e32 v112, 24, v18
	v_bfrev_b32_e32 v102, 1
	s_mov_b32 s26, exec_lo
	s_delay_alu instid0(VALU_DEP_2)
	v_cmpx_ne_u32_e32 0x80, v112
	s_cbranch_execz .LBB4_2513
; %bb.2508:                             ;   in Loop: Header=BB4_2406 Depth=2
	v_bfe_u32 v113, v18, 24, 7
	v_mov_b32_e32 v102, 0x7f800001
	s_mov_b32 s27, exec_lo
	s_delay_alu instid0(VALU_DEP_2)
	v_cmpx_ne_u32_e32 0x7f, v113
	s_cbranch_execz .LBB4_2512
; %bb.2509:                             ;   in Loop: Header=BB4_2406 Depth=2
	v_dual_lshrrev_b32 v102, 3, v113 :: v_dual_bitop2_b32 v54, 7, v112 bitop3:0x40
	s_mov_b32 s28, exec_lo
	v_cmpx_gt_u32_e32 8, v113
; %bb.2510:                             ;   in Loop: Header=BB4_2406 Depth=2
	s_delay_alu instid0(VALU_DEP_2) | instskip(NEXT) | instid1(VALU_DEP_1)
	v_clz_i32_u32_e32 v102, v54
	v_min_u32_e32 v102, 32, v102
	s_delay_alu instid0(VALU_DEP_1) | instskip(NEXT) | instid1(VALU_DEP_1)
	v_subrev_nc_u32_e32 v113, 28, v102
	v_lshlrev_b64_e32 v[44:45], v113, v[54:55]
	s_delay_alu instid0(VALU_DEP_1)
	v_dual_sub_nc_u32 v102, 29, v102 :: v_dual_bitop2_b32 v54, 7, v44 bitop3:0x40
; %bb.2511:                             ;   in Loop: Header=BB4_2406 Depth=2
	s_or_b32 exec_lo, exec_lo, s28
	s_delay_alu instid0(VALU_DEP_1) | instskip(NEXT) | instid1(VALU_DEP_2)
	v_dual_lshlrev_b32 v112, 24, v112 :: v_dual_lshlrev_b32 v54, 20, v54
	v_lshl_add_u32 v102, v102, 23, 0x3c000000
	s_delay_alu instid0(VALU_DEP_2) | instskip(NEXT) | instid1(VALU_DEP_1)
	v_and_b32_e32 v112, 0x80000000, v112
	v_or3_b32 v102, v54, v112, v102
.LBB4_2512:                             ;   in Loop: Header=BB4_2406 Depth=2
	s_or_b32 exec_lo, exec_lo, s27
.LBB4_2513:                             ;   in Loop: Header=BB4_2406 Depth=2
	s_delay_alu instid0(SALU_CYCLE_1)
	s_or_b32 exec_lo, exec_lo, s26
.LBB4_2514:                             ;   in Loop: Header=BB4_2406 Depth=2
	s_delay_alu instid0(SALU_CYCLE_1) | instskip(NEXT) | instid1(VALU_DEP_1)
	s_or_b32 exec_lo, exec_lo, s7
	v_mul_f32_e32 v102, v103, v102
                                        ; implicit-def: $vgpr44
	s_mov_b32 s7, exec_lo
	s_delay_alu instid0(VALU_DEP_1) | instskip(SKIP_1) | instid1(VALU_DEP_2)
	v_and_b32_e32 v54, 0x7f800000, v102
	v_lshrrev_b32_e32 v103, 24, v102
	v_cmpx_ne_u64_e32 0x7f800000, v[54:55]
	s_xor_b32 s26, exec_lo, s7
	s_cbranch_execz .LBB4_2528
; %bb.2515:                             ;   in Loop: Header=BB4_2406 Depth=2
	v_and_b32_e32 v54, 0x7fffffff, v102
	v_and_b32_e32 v45, 0x80, v103
                                        ; implicit-def: $vgpr44
	s_mov_b32 s7, exec_lo
	s_delay_alu instid0(VALU_DEP_2)
	v_cmpx_gt_u64_e32 0x43e00001, v[54:55]
	s_xor_b32 s27, exec_lo, s7
	s_cbranch_execz .LBB4_2525
; %bb.2516:                             ;   in Loop: Header=BB4_2406 Depth=2
	v_mov_b32_e32 v44, 0
	s_mov_b32 s28, exec_lo
	v_cmpx_ne_u32_e32 0, v102
	s_cbranch_execz .LBB4_2524
; %bb.2517:                             ;   in Loop: Header=BB4_2406 Depth=2
	v_bfe_u32 v44, v102, 23, 8
	s_delay_alu instid0(VALU_DEP_1) | instskip(SKIP_1) | instid1(VALU_DEP_2)
	v_sub_nc_u32_e32 v54, 0x79, v44
	v_cmp_gt_u32_e32 vcc_lo, 0x7a, v44
	v_cndmask_b32_e32 v54, 0, v54, vcc_lo
	v_cmp_eq_u32_e32 vcc_lo, 0, v44
	s_delay_alu instid0(VALU_DEP_2) | instskip(SKIP_1) | instid1(VALU_DEP_2)
	v_cndmask_b32_e64 v46, v54, 0x78, vcc_lo
	v_and_b32_e32 v54, 0x7fffff, v102
	v_dual_add_nc_u32 v102, 20, v46 :: v_dual_add_nc_u32 v113, 19, v46
	s_delay_alu instid0(VALU_DEP_2) | instskip(NEXT) | instid1(VALU_DEP_2)
	v_or_b32_e32 v112, 0x800000, v54
	v_lshlrev_b64_e64 v[102:103], v102, -1
	s_delay_alu instid0(VALU_DEP_2) | instskip(NEXT) | instid1(VALU_DEP_4)
	v_cndmask_b32_e32 v54, v112, v54, vcc_lo
	v_lshlrev_b64_e64 v[112:113], v113, 1
	s_delay_alu instid0(VALU_DEP_3) | instskip(NEXT) | instid1(VALU_DEP_3)
	v_bfi_b32 v57, v103, 0, 0
	v_bfi_b32 v56, v102, 0, v54
	v_lshrrev_b64 v[102:103], v46, v[54:55]
	s_delay_alu instid0(VALU_DEP_2) | instskip(NEXT) | instid1(VALU_DEP_2)
	v_cmp_eq_u64_e64 s7, v[56:57], v[112:113]
	v_mov_b64_e32 v[112:113], v[102:103]
	s_and_saveexec_b32 s29, s7
; %bb.2518:                             ;   in Loop: Header=BB4_2406 Depth=2
	v_bfe_u32 v54, v102, 20, 1
	s_delay_alu instid0(VALU_DEP_1) | instskip(NEXT) | instid1(VALU_DEP_1)
	v_add_nc_u64_e32 v[112:113], v[102:103], v[54:55]
	v_add_nc_u64_e32 v[112:113], -1, v[112:113]
; %bb.2519:                             ;   in Loop: Header=BB4_2406 Depth=2
	s_or_b32 exec_lo, exec_lo, s29
	v_add_nc_u32_e32 v54, 0xffffff81, v44
	v_lshrrev_b32_e32 v103, 23, v102
	s_mov_b32 s7, exec_lo
	s_delay_alu instid0(VALU_DEP_2) | instskip(NEXT) | instid1(VALU_DEP_1)
	v_cndmask_b32_e64 v54, v54, 0xffffff82, vcc_lo
	v_add3_u32 v113, v46, v54, v103
	v_and_b32_e32 v54, 0xfffff, v112
                                        ; implicit-def: $vgpr112
	s_delay_alu instid0(VALU_DEP_1) | instskip(NEXT) | instid1(VALU_DEP_1)
	v_dual_add_nc_u32 v44, 6, v113 :: v_dual_add_nc_u32 v54, v54, v102
                                        ; implicit-def: $vgpr102_vgpr103
	v_cmpx_ne_u32_e32 0, v44
	s_xor_b32 s7, exec_lo, s7
; %bb.2520:                             ;   in Loop: Header=BB4_2406 Depth=2
	s_delay_alu instid0(VALU_DEP_2) | instskip(SKIP_1) | instid1(VALU_DEP_1)
	v_cmp_lt_u64_e32 vcc_lo, 0xffffff, v[54:55]
	v_add_nc_u32_e32 v102, 7, v113
	v_cndmask_b32_e32 v112, v44, v102, vcc_lo
	v_cndmask_b32_e64 v102, 0, 1, vcc_lo
	s_delay_alu instid0(VALU_DEP_1)
	v_lshrrev_b64 v[102:103], v102, v[54:55]
; %bb.2521:                             ;   in Loop: Header=BB4_2406 Depth=2
	s_and_not1_saveexec_b32 s7, s7
; %bb.2522:                             ;   in Loop: Header=BB4_2406 Depth=2
	v_mov_b64_e32 v[102:103], v[54:55]
	v_bfe_u32 v112, v54, 23, 1
; %bb.2523:                             ;   in Loop: Header=BB4_2406 Depth=2
	s_or_b32 exec_lo, exec_lo, s7
	s_delay_alu instid0(VALU_DEP_2) | instskip(NEXT) | instid1(VALU_DEP_2)
	v_lshrrev_b64 v[102:103], 20, v[102:103]
	v_cmp_gt_i32_e32 vcc_lo, 16, v112
	v_min_i32_e32 v54, 15, v112
	v_cmp_eq_u32_e64 s7, 0, v112
	s_delay_alu instid0(VALU_DEP_2) | instskip(SKIP_1) | instid1(VALU_DEP_2)
	v_dual_cndmask_b32 v103, 0, v103 :: v_dual_lshlrev_b32 v54, 3, v54
	v_cndmask_b32_e32 v102, 7, v102, vcc_lo
	v_and_b32_e32 v54, 0xf8, v54
	s_delay_alu instid0(VALU_DEP_2) | instskip(NEXT) | instid1(VALU_DEP_2)
	v_cmp_eq_u64_e32 vcc_lo, 0, v[102:103]
	v_and_or_b32 v54, v102, 7, v54
	s_and_b32 s7, s7, vcc_lo
	s_delay_alu instid0(VALU_DEP_1) | instid1(SALU_CYCLE_1)
	v_cndmask_b32_e64 v54, v54, 0, s7
	s_delay_alu instid0(VALU_DEP_1)
	v_or_b32_e32 v44, v54, v45
.LBB4_2524:                             ;   in Loop: Header=BB4_2406 Depth=2
	s_or_b32 exec_lo, exec_lo, s28
                                        ; implicit-def: $vgpr45
.LBB4_2525:                             ;   in Loop: Header=BB4_2406 Depth=2
	s_and_not1_saveexec_b32 s7, s27
; %bb.2526:                             ;   in Loop: Header=BB4_2406 Depth=2
	v_or_b32_e32 v44, 0x7e, v45
; %bb.2527:                             ;   in Loop: Header=BB4_2406 Depth=2
	s_or_b32 exec_lo, exec_lo, s7
                                        ; implicit-def: $vgpr103
.LBB4_2528:                             ;   in Loop: Header=BB4_2406 Depth=2
	s_and_not1_saveexec_b32 s7, s26
; %bb.2529:                             ;   in Loop: Header=BB4_2406 Depth=2
	v_or_b32_e32 v44, 0x7f, v103
; %bb.2530:                             ;   in Loop: Header=BB4_2406 Depth=2
	s_or_b32 exec_lo, exec_lo, s7
	v_and_b32_e32 v112, 0xff, v23
	v_dual_mov_b32 v54, v23 :: v_dual_mov_b32 v103, 0
	v_mov_b32_e32 v102, 0
	s_mov_b32 s7, exec_lo
	s_delay_alu instid0(VALU_DEP_3)
	v_cmpx_ne_u16_e32 0, v112
	s_cbranch_execz .LBB4_2536
; %bb.2531:                             ;   in Loop: Header=BB4_2406 Depth=2
	v_bfrev_b32_e32 v102, 1
	s_mov_b32 s26, exec_lo
	v_cmpx_ne_u16_e32 0x80, v112
	s_cbranch_execz .LBB4_2535
; %bb.2532:                             ;   in Loop: Header=BB4_2406 Depth=2
	v_and_b32_e32 v112, 0x7f, v23
	v_mov_b32_e32 v102, 0x7f800001
	s_mov_b32 s27, exec_lo
	s_delay_alu instid0(VALU_DEP_2)
	v_cmpx_ne_u32_e32 0x7f, v112
	s_cbranch_execz .LBB4_2534
; %bb.2533:                             ;   in Loop: Header=BB4_2406 Depth=2
	v_dual_lshrrev_b32 v113, 3, v112 :: v_dual_bitop2_b32 v102, 7, v23 bitop3:0x40
	v_cmp_gt_u32_e32 vcc_lo, 8, v112
	s_delay_alu instid0(VALU_DEP_2) | instskip(NEXT) | instid1(VALU_DEP_1)
	v_clz_i32_u32_e32 v102, v102
	v_min_u32_e32 v102, 32, v102
	s_delay_alu instid0(VALU_DEP_1) | instskip(NEXT) | instid1(VALU_DEP_1)
	v_subrev_nc_u32_e32 v45, 28, v102
	v_dual_sub_nc_u32 v102, 29, v102 :: v_dual_cndmask_b32 v112, 0, v45, vcc_lo
	s_delay_alu instid0(VALU_DEP_1) | instskip(NEXT) | instid1(VALU_DEP_2)
	v_cndmask_b32_e32 v102, v113, v102, vcc_lo
	v_lshlrev_b64_e32 v[112:113], v112, v[54:55]
	v_lshlrev_b32_e32 v113, 24, v54
	s_delay_alu instid0(VALU_DEP_1) | instskip(NEXT) | instid1(VALU_DEP_3)
	v_and_b32_e32 v113, 0x80000000, v113
	v_lshlrev_b32_e32 v112, 20, v112
	v_lshl_add_u32 v102, v102, 23, 0x3c000000
	s_delay_alu instid0(VALU_DEP_2) | instskip(NEXT) | instid1(VALU_DEP_1)
	v_and_b32_e32 v112, 0x700000, v112
	v_or3_b32 v102, v112, v113, v102
.LBB4_2534:                             ;   in Loop: Header=BB4_2406 Depth=2
	s_or_b32 exec_lo, exec_lo, s27
.LBB4_2535:                             ;   in Loop: Header=BB4_2406 Depth=2
	s_delay_alu instid0(SALU_CYCLE_1)
	s_or_b32 exec_lo, exec_lo, s26
.LBB4_2536:                             ;   in Loop: Header=BB4_2406 Depth=2
	s_delay_alu instid0(SALU_CYCLE_1) | instskip(SKIP_2) | instid1(VALU_DEP_1)
	s_or_b32 exec_lo, exec_lo, s7
	v_and_b32_e32 v112, 0xff, v19
	s_mov_b32 s7, exec_lo
	v_cmpx_ne_u16_e32 0, v112
	s_cbranch_execz .LBB4_2542
; %bb.2537:                             ;   in Loop: Header=BB4_2406 Depth=2
	v_bfrev_b32_e32 v103, 1
	s_mov_b32 s26, exec_lo
	v_cmpx_ne_u16_e32 0x80, v112
	s_cbranch_execz .LBB4_2541
; %bb.2538:                             ;   in Loop: Header=BB4_2406 Depth=2
	v_and_b32_e32 v112, 0x7f, v19
	v_mov_b32_e32 v103, 0x7f800001
	s_mov_b32 s27, exec_lo
	s_delay_alu instid0(VALU_DEP_2)
	v_cmpx_ne_u32_e32 0x7f, v112
	s_cbranch_execz .LBB4_2540
; %bb.2539:                             ;   in Loop: Header=BB4_2406 Depth=2
	v_dual_lshrrev_b32 v45, 3, v112 :: v_dual_bitop2_b32 v103, 7, v19 bitop3:0x40
	v_cmp_gt_u32_e32 vcc_lo, 8, v112
	v_mov_b32_e32 v112, v19
	s_delay_alu instid0(VALU_DEP_3) | instskip(NEXT) | instid1(VALU_DEP_1)
	v_clz_i32_u32_e32 v103, v103
	v_min_u32_e32 v103, 32, v103
	s_delay_alu instid0(VALU_DEP_1) | instskip(SKIP_1) | instid1(VALU_DEP_2)
	v_sub_nc_u32_e32 v46, 29, v103
	v_subrev_nc_u32_e32 v103, 28, v103
	v_dual_mov_b32 v113, v55 :: v_dual_cndmask_b32 v45, v45, v46, vcc_lo
	s_delay_alu instid0(VALU_DEP_2) | instskip(NEXT) | instid1(VALU_DEP_1)
	v_cndmask_b32_e32 v103, 0, v103, vcc_lo
	v_lshlrev_b64_e32 v[46:47], v103, v[112:113]
	v_lshlrev_b32_e32 v103, 24, v112
	s_delay_alu instid0(VALU_DEP_4) | instskip(NEXT) | instid1(VALU_DEP_2)
	v_lshl_add_u32 v113, v45, 23, 0x3c000000
	v_and_b32_e32 v103, 0x80000000, v103
	s_delay_alu instid0(VALU_DEP_4) | instskip(NEXT) | instid1(VALU_DEP_1)
	v_lshlrev_b32_e32 v112, 20, v46
	v_and_b32_e32 v112, 0x700000, v112
	s_delay_alu instid0(VALU_DEP_1)
	v_or3_b32 v103, v112, v103, v113
.LBB4_2540:                             ;   in Loop: Header=BB4_2406 Depth=2
	s_or_b32 exec_lo, exec_lo, s27
.LBB4_2541:                             ;   in Loop: Header=BB4_2406 Depth=2
	s_delay_alu instid0(SALU_CYCLE_1)
	s_or_b32 exec_lo, exec_lo, s26
.LBB4_2542:                             ;   in Loop: Header=BB4_2406 Depth=2
	s_delay_alu instid0(SALU_CYCLE_1) | instskip(NEXT) | instid1(VALU_DEP_1)
	s_or_b32 exec_lo, exec_lo, s7
	v_dual_mul_f32 v102, v102, v103 :: v_dual_mov_b32 v113, v55
                                        ; implicit-def: $vgpr45
	s_mov_b32 s7, exec_lo
	s_delay_alu instid0(VALU_DEP_1) | instskip(SKIP_1) | instid1(VALU_DEP_2)
	v_and_b32_e32 v112, 0x7f800000, v102
	v_lshrrev_b32_e32 v103, 24, v102
	v_cmpx_ne_u64_e32 0x7f800000, v[112:113]
	s_xor_b32 s26, exec_lo, s7
	s_cbranch_execz .LBB4_2556
; %bb.2543:                             ;   in Loop: Header=BB4_2406 Depth=2
	v_and_b32_e32 v112, 0x7fffffff, v102
	v_mov_b32_e32 v113, v55
	v_and_b32_e32 v46, 0x80, v103
                                        ; implicit-def: $vgpr45
	s_mov_b32 s7, exec_lo
	s_delay_alu instid0(VALU_DEP_2)
	v_cmpx_gt_u64_e32 0x43e00001, v[112:113]
	s_xor_b32 s27, exec_lo, s7
	s_cbranch_execz .LBB4_2553
; %bb.2544:                             ;   in Loop: Header=BB4_2406 Depth=2
	v_mov_b32_e32 v45, 0
	s_mov_b32 s28, exec_lo
	v_cmpx_ne_u32_e32 0, v102
	s_cbranch_execz .LBB4_2552
; %bb.2545:                             ;   in Loop: Header=BB4_2406 Depth=2
	v_bfe_u32 v45, v102, 23, 8
	v_and_b32_e32 v112, 0x7fffff, v102
	s_mov_b32 s29, exec_lo
	s_delay_alu instid0(VALU_DEP_2) | instskip(NEXT) | instid1(VALU_DEP_2)
	v_cmp_gt_u32_e32 vcc_lo, 0x7a, v45
	v_or_b32_e32 v113, 0x800000, v112
	v_sub_nc_u32_e32 v103, 0x79, v45
	s_delay_alu instid0(VALU_DEP_1) | instskip(SKIP_1) | instid1(VALU_DEP_4)
	v_cndmask_b32_e32 v103, 0, v103, vcc_lo
	v_cmp_eq_u32_e32 vcc_lo, 0, v45
	v_dual_cndmask_b32 v112, v113, v112 :: v_dual_mov_b32 v113, v55
	s_delay_alu instid0(VALU_DEP_3) | instskip(NEXT) | instid1(VALU_DEP_1)
	v_cndmask_b32_e64 v47, v103, 0x78, vcc_lo
	v_dual_add_nc_u32 v102, 20, v47 :: v_dual_add_nc_u32 v56, 19, v47
	s_delay_alu instid0(VALU_DEP_1) | instskip(NEXT) | instid1(VALU_DEP_2)
	v_lshlrev_b64_e64 v[102:103], v102, -1
	v_lshlrev_b64_e64 v[56:57], v56, 1
	s_delay_alu instid0(VALU_DEP_2) | instskip(NEXT) | instid1(VALU_DEP_3)
	v_bfi_b32 v59, v103, 0, 0
	v_bfi_b32 v58, v102, 0, v112
	v_lshrrev_b64 v[102:103], v47, v[112:113]
	s_delay_alu instid0(VALU_DEP_1) | instskip(NEXT) | instid1(VALU_DEP_3)
	v_mov_b64_e32 v[112:113], v[102:103]
	v_cmpx_eq_u64_e64 v[58:59], v[56:57]
; %bb.2546:                             ;   in Loop: Header=BB4_2406 Depth=2
	v_bfe_u32 v112, v102, 20, 1
	v_mov_b32_e32 v113, v55
	s_delay_alu instid0(VALU_DEP_1) | instskip(NEXT) | instid1(VALU_DEP_1)
	v_add_nc_u64_e32 v[112:113], v[102:103], v[112:113]
	v_add_nc_u64_e32 v[112:113], -1, v[112:113]
; %bb.2547:                             ;   in Loop: Header=BB4_2406 Depth=2
	s_or_b32 exec_lo, exec_lo, s29
	v_add_nc_u32_e32 v103, 0xffffff81, v45
	v_lshrrev_b32_e32 v113, 23, v102
	s_mov_b32 s7, exec_lo
	s_delay_alu instid0(VALU_DEP_2) | instskip(NEXT) | instid1(VALU_DEP_1)
	v_cndmask_b32_e64 v103, v103, 0xffffff82, vcc_lo
	v_add3_u32 v113, v47, v103, v113
	v_and_b32_e32 v103, 0xfffff, v112
                                        ; implicit-def: $vgpr112
	s_delay_alu instid0(VALU_DEP_1) | instskip(SKIP_1) | instid1(VALU_DEP_2)
	v_dual_add_nc_u32 v45, 6, v113 :: v_dual_add_nc_u32 v102, v103, v102
	v_mov_b32_e32 v103, v55
	v_cmpx_ne_u32_e32 0, v45
	s_xor_b32 s7, exec_lo, s7
; %bb.2548:                             ;   in Loop: Header=BB4_2406 Depth=2
	s_delay_alu instid0(VALU_DEP_2) | instskip(SKIP_2) | instid1(VALU_DEP_2)
	v_cmp_lt_u64_e32 vcc_lo, 0xffffff, v[102:103]
	v_add_nc_u32_e32 v112, 7, v113
	v_cndmask_b32_e64 v113, 0, 1, vcc_lo
	v_cndmask_b32_e32 v112, v45, v112, vcc_lo
	s_delay_alu instid0(VALU_DEP_2)
	v_lshrrev_b64 v[102:103], v113, v[102:103]
; %bb.2549:                             ;   in Loop: Header=BB4_2406 Depth=2
	s_and_not1_saveexec_b32 s7, s7
; %bb.2550:                             ;   in Loop: Header=BB4_2406 Depth=2
	s_delay_alu instid0(VALU_DEP_1)
	v_bfe_u32 v112, v102, 23, 1
; %bb.2551:                             ;   in Loop: Header=BB4_2406 Depth=2
	s_or_b32 exec_lo, exec_lo, s7
	s_delay_alu instid0(VALU_DEP_2) | instskip(NEXT) | instid1(VALU_DEP_2)
	v_lshrrev_b64 v[102:103], 20, v[102:103]
	v_cmp_gt_i32_e32 vcc_lo, 16, v112
	v_min_i32_e32 v113, 15, v112
	v_cmp_eq_u32_e64 s7, 0, v112
	s_delay_alu instid0(VALU_DEP_2) | instskip(SKIP_1) | instid1(VALU_DEP_2)
	v_dual_cndmask_b32 v103, 0, v103, vcc_lo :: v_dual_lshlrev_b32 v113, 3, v113
	v_cndmask_b32_e32 v102, 7, v102, vcc_lo
	v_and_b32_e32 v113, 0xf8, v113
	s_delay_alu instid0(VALU_DEP_2) | instskip(NEXT) | instid1(VALU_DEP_2)
	v_cmp_eq_u64_e32 vcc_lo, 0, v[102:103]
	v_and_or_b32 v102, v102, 7, v113
	s_and_b32 s7, s7, vcc_lo
	s_delay_alu instid0(VALU_DEP_1) | instid1(SALU_CYCLE_1)
	v_cndmask_b32_e64 v102, v102, 0, s7
	s_delay_alu instid0(VALU_DEP_1)
	v_or_b32_e32 v45, v102, v46
.LBB4_2552:                             ;   in Loop: Header=BB4_2406 Depth=2
	s_or_b32 exec_lo, exec_lo, s28
                                        ; implicit-def: $vgpr46
.LBB4_2553:                             ;   in Loop: Header=BB4_2406 Depth=2
	s_and_not1_saveexec_b32 s7, s27
; %bb.2554:                             ;   in Loop: Header=BB4_2406 Depth=2
	v_or_b32_e32 v45, 0x7e, v46
; %bb.2555:                             ;   in Loop: Header=BB4_2406 Depth=2
	s_or_b32 exec_lo, exec_lo, s7
                                        ; implicit-def: $vgpr103
.LBB4_2556:                             ;   in Loop: Header=BB4_2406 Depth=2
	s_and_not1_saveexec_b32 s7, s26
; %bb.2557:                             ;   in Loop: Header=BB4_2406 Depth=2
	v_or_b32_e32 v45, 0x7f, v103
; %bb.2558:                             ;   in Loop: Header=BB4_2406 Depth=2
	s_or_b32 exec_lo, exec_lo, s7
	v_lshrrev_b16 v103, 8, v54
	v_dual_mov_b32 v112, 0 :: v_dual_mov_b32 v102, 0
	s_mov_b32 s7, exec_lo
	s_delay_alu instid0(VALU_DEP_2)
	v_cmpx_ne_u16_e32 0, v103
	s_cbranch_execz .LBB4_2566
; %bb.2559:                             ;   in Loop: Header=BB4_2406 Depth=2
	v_bfrev_b32_e32 v102, 1
	s_mov_b32 s26, exec_lo
	v_cmpx_ne_u16_e32 0x80, v103
	s_cbranch_execz .LBB4_2565
; %bb.2560:                             ;   in Loop: Header=BB4_2406 Depth=2
	v_and_b32_e32 v103, 0xffff, v103
	v_mov_b32_e32 v102, 0x7f800001
	s_mov_b32 s27, exec_lo
	s_delay_alu instid0(VALU_DEP_2) | instskip(NEXT) | instid1(VALU_DEP_1)
	v_and_b32_e32 v46, 0x7f, v103
	v_cmpx_ne_u32_e32 0x7f, v46
	s_cbranch_execz .LBB4_2564
; %bb.2561:                             ;   in Loop: Header=BB4_2406 Depth=2
	v_dual_mov_b32 v103, v55 :: v_dual_bitop2_b32 v102, 7, v103 bitop3:0x40
	v_lshrrev_b32_e32 v113, 3, v46
	s_mov_b32 s28, exec_lo
	v_cmpx_gt_u32_e32 8, v46
; %bb.2562:                             ;   in Loop: Header=BB4_2406 Depth=2
	s_delay_alu instid0(VALU_DEP_3) | instskip(NEXT) | instid1(VALU_DEP_1)
	v_clz_i32_u32_e32 v113, v102
	v_min_u32_e32 v113, 32, v113
	s_delay_alu instid0(VALU_DEP_1) | instskip(NEXT) | instid1(VALU_DEP_1)
	v_subrev_nc_u32_e32 v46, 28, v113
	v_lshlrev_b64_e32 v[102:103], v46, v[102:103]
	s_delay_alu instid0(VALU_DEP_1)
	v_dual_sub_nc_u32 v113, 29, v113 :: v_dual_bitop2_b32 v102, 7, v102 bitop3:0x40
; %bb.2563:                             ;   in Loop: Header=BB4_2406 Depth=2
	s_or_b32 exec_lo, exec_lo, s28
	v_lshlrev_b32_e32 v54, 16, v54
	s_delay_alu instid0(VALU_DEP_2) | instskip(NEXT) | instid1(VALU_DEP_3)
	v_lshlrev_b32_e32 v102, 20, v102
	v_lshl_add_u32 v103, v113, 23, 0x3c000000
	s_delay_alu instid0(VALU_DEP_3) | instskip(NEXT) | instid1(VALU_DEP_1)
	v_and_b32_e32 v54, 0x80000000, v54
	v_or3_b32 v102, v102, v54, v103
.LBB4_2564:                             ;   in Loop: Header=BB4_2406 Depth=2
	s_or_b32 exec_lo, exec_lo, s27
.LBB4_2565:                             ;   in Loop: Header=BB4_2406 Depth=2
	s_delay_alu instid0(SALU_CYCLE_1)
	s_or_b32 exec_lo, exec_lo, s26
.LBB4_2566:                             ;   in Loop: Header=BB4_2406 Depth=2
	s_delay_alu instid0(SALU_CYCLE_1) | instskip(SKIP_2) | instid1(VALU_DEP_1)
	s_or_b32 exec_lo, exec_lo, s7
	v_lshrrev_b16 v54, 8, v19
	s_mov_b32 s7, exec_lo
	v_cmpx_ne_u16_e32 0, v54
	s_cbranch_execz .LBB4_2574
; %bb.2567:                             ;   in Loop: Header=BB4_2406 Depth=2
	v_bfrev_b32_e32 v112, 1
	s_mov_b32 s26, exec_lo
	v_cmpx_ne_u16_e32 0x80, v54
	s_cbranch_execz .LBB4_2573
; %bb.2568:                             ;   in Loop: Header=BB4_2406 Depth=2
	v_and_b32_e32 v54, 0xffff, v54
	v_mov_b32_e32 v112, 0x7f800001
	s_mov_b32 s27, exec_lo
	s_delay_alu instid0(VALU_DEP_2) | instskip(NEXT) | instid1(VALU_DEP_1)
	v_and_b32_e32 v113, 0x7f, v54
	v_cmpx_ne_u32_e32 0x7f, v113
	s_cbranch_execz .LBB4_2572
; %bb.2569:                             ;   in Loop: Header=BB4_2406 Depth=2
	v_dual_lshrrev_b32 v103, 3, v113 :: v_dual_bitop2_b32 v54, 7, v54 bitop3:0x40
	s_mov_b32 s28, exec_lo
	v_cmpx_gt_u32_e32 8, v113
; %bb.2570:                             ;   in Loop: Header=BB4_2406 Depth=2
	s_delay_alu instid0(VALU_DEP_2) | instskip(NEXT) | instid1(VALU_DEP_1)
	v_clz_i32_u32_e32 v103, v54
	v_min_u32_e32 v103, 32, v103
	s_delay_alu instid0(VALU_DEP_1) | instskip(NEXT) | instid1(VALU_DEP_1)
	v_subrev_nc_u32_e32 v112, 28, v103
	v_lshlrev_b64_e32 v[112:113], v112, v[54:55]
	s_delay_alu instid0(VALU_DEP_1)
	v_dual_sub_nc_u32 v103, 29, v103 :: v_dual_bitop2_b32 v54, 7, v112 bitop3:0x40
; %bb.2571:                             ;   in Loop: Header=BB4_2406 Depth=2
	s_or_b32 exec_lo, exec_lo, s28
	s_delay_alu instid0(VALU_DEP_1) | instskip(NEXT) | instid1(VALU_DEP_2)
	v_dual_lshlrev_b32 v112, 16, v19 :: v_dual_lshlrev_b32 v54, 20, v54
	v_lshl_add_u32 v103, v103, 23, 0x3c000000
	s_delay_alu instid0(VALU_DEP_2) | instskip(NEXT) | instid1(VALU_DEP_1)
	v_and_b32_e32 v112, 0x80000000, v112
	v_or3_b32 v112, v54, v112, v103
.LBB4_2572:                             ;   in Loop: Header=BB4_2406 Depth=2
	s_or_b32 exec_lo, exec_lo, s27
.LBB4_2573:                             ;   in Loop: Header=BB4_2406 Depth=2
	s_delay_alu instid0(SALU_CYCLE_1)
	s_or_b32 exec_lo, exec_lo, s26
.LBB4_2574:                             ;   in Loop: Header=BB4_2406 Depth=2
	s_delay_alu instid0(SALU_CYCLE_1) | instskip(NEXT) | instid1(VALU_DEP_1)
	s_or_b32 exec_lo, exec_lo, s7
	v_mul_f32_e32 v102, v102, v112
                                        ; implicit-def: $vgpr46
	s_mov_b32 s7, exec_lo
	s_delay_alu instid0(VALU_DEP_1) | instskip(SKIP_1) | instid1(VALU_DEP_2)
	v_and_b32_e32 v54, 0x7f800000, v102
	v_lshrrev_b32_e32 v103, 24, v102
	v_cmpx_ne_u64_e32 0x7f800000, v[54:55]
	s_xor_b32 s26, exec_lo, s7
	s_cbranch_execz .LBB4_2588
; %bb.2575:                             ;   in Loop: Header=BB4_2406 Depth=2
	v_and_b32_e32 v54, 0x7fffffff, v102
	v_and_b32_e32 v47, 0x80, v103
                                        ; implicit-def: $vgpr46
	s_mov_b32 s7, exec_lo
	s_delay_alu instid0(VALU_DEP_2)
	v_cmpx_gt_u64_e32 0x43e00001, v[54:55]
	s_xor_b32 s27, exec_lo, s7
	s_cbranch_execz .LBB4_2585
; %bb.2576:                             ;   in Loop: Header=BB4_2406 Depth=2
	v_mov_b32_e32 v46, 0
	s_mov_b32 s28, exec_lo
	v_cmpx_ne_u32_e32 0, v102
	s_cbranch_execz .LBB4_2584
; %bb.2577:                             ;   in Loop: Header=BB4_2406 Depth=2
	v_bfe_u32 v46, v102, 23, 8
	s_delay_alu instid0(VALU_DEP_1) | instskip(SKIP_1) | instid1(VALU_DEP_2)
	v_sub_nc_u32_e32 v54, 0x79, v46
	v_cmp_gt_u32_e32 vcc_lo, 0x7a, v46
	v_cndmask_b32_e32 v54, 0, v54, vcc_lo
	v_cmp_eq_u32_e32 vcc_lo, 0, v46
	s_delay_alu instid0(VALU_DEP_2) | instskip(SKIP_1) | instid1(VALU_DEP_2)
	v_cndmask_b32_e64 v56, v54, 0x78, vcc_lo
	v_and_b32_e32 v54, 0x7fffff, v102
	v_add_nc_u32_e32 v102, 20, v56
	s_delay_alu instid0(VALU_DEP_2) | instskip(SKIP_1) | instid1(VALU_DEP_3)
	v_or_b32_e32 v112, 0x800000, v54
	v_add_nc_u32_e32 v113, 19, v56
	v_lshlrev_b64_e64 v[102:103], v102, -1
	s_delay_alu instid0(VALU_DEP_3) | instskip(NEXT) | instid1(VALU_DEP_3)
	v_cndmask_b32_e32 v54, v112, v54, vcc_lo
	v_lshlrev_b64_e64 v[112:113], v113, 1
	s_delay_alu instid0(VALU_DEP_3) | instskip(NEXT) | instid1(VALU_DEP_3)
	v_bfi_b32 v59, v103, 0, 0
	v_bfi_b32 v58, v102, 0, v54
	v_lshrrev_b64 v[102:103], v56, v[54:55]
	s_delay_alu instid0(VALU_DEP_2) | instskip(NEXT) | instid1(VALU_DEP_2)
	v_cmp_eq_u64_e64 s7, v[58:59], v[112:113]
	v_mov_b64_e32 v[112:113], v[102:103]
	s_and_saveexec_b32 s29, s7
; %bb.2578:                             ;   in Loop: Header=BB4_2406 Depth=2
	v_bfe_u32 v54, v102, 20, 1
	s_delay_alu instid0(VALU_DEP_1) | instskip(NEXT) | instid1(VALU_DEP_1)
	v_add_nc_u64_e32 v[112:113], v[102:103], v[54:55]
	v_add_nc_u64_e32 v[112:113], -1, v[112:113]
; %bb.2579:                             ;   in Loop: Header=BB4_2406 Depth=2
	s_or_b32 exec_lo, exec_lo, s29
	v_add_nc_u32_e32 v54, 0xffffff81, v46
	v_lshrrev_b32_e32 v103, 23, v102
	s_mov_b32 s7, exec_lo
	s_delay_alu instid0(VALU_DEP_2) | instskip(NEXT) | instid1(VALU_DEP_1)
	v_cndmask_b32_e64 v54, v54, 0xffffff82, vcc_lo
	v_add3_u32 v113, v56, v54, v103
	v_and_b32_e32 v54, 0xfffff, v112
                                        ; implicit-def: $vgpr112
	s_delay_alu instid0(VALU_DEP_1) | instskip(NEXT) | instid1(VALU_DEP_1)
	v_dual_add_nc_u32 v46, 6, v113 :: v_dual_add_nc_u32 v54, v54, v102
                                        ; implicit-def: $vgpr102_vgpr103
	v_cmpx_ne_u32_e32 0, v46
	s_xor_b32 s7, exec_lo, s7
; %bb.2580:                             ;   in Loop: Header=BB4_2406 Depth=2
	s_delay_alu instid0(VALU_DEP_2) | instskip(SKIP_1) | instid1(VALU_DEP_1)
	v_cmp_lt_u64_e32 vcc_lo, 0xffffff, v[54:55]
	v_add_nc_u32_e32 v102, 7, v113
	v_cndmask_b32_e32 v112, v46, v102, vcc_lo
	v_cndmask_b32_e64 v102, 0, 1, vcc_lo
	s_delay_alu instid0(VALU_DEP_1)
	v_lshrrev_b64 v[102:103], v102, v[54:55]
; %bb.2581:                             ;   in Loop: Header=BB4_2406 Depth=2
	s_and_not1_saveexec_b32 s7, s7
; %bb.2582:                             ;   in Loop: Header=BB4_2406 Depth=2
	v_mov_b64_e32 v[102:103], v[54:55]
	v_bfe_u32 v112, v54, 23, 1
; %bb.2583:                             ;   in Loop: Header=BB4_2406 Depth=2
	s_or_b32 exec_lo, exec_lo, s7
	s_delay_alu instid0(VALU_DEP_2) | instskip(NEXT) | instid1(VALU_DEP_2)
	v_lshrrev_b64 v[102:103], 20, v[102:103]
	v_cmp_gt_i32_e32 vcc_lo, 16, v112
	v_min_i32_e32 v54, 15, v112
	v_cmp_eq_u32_e64 s7, 0, v112
	s_delay_alu instid0(VALU_DEP_2) | instskip(SKIP_1) | instid1(VALU_DEP_2)
	v_dual_cndmask_b32 v103, 0, v103 :: v_dual_lshlrev_b32 v54, 3, v54
	v_cndmask_b32_e32 v102, 7, v102, vcc_lo
	v_and_b32_e32 v54, 0xf8, v54
	s_delay_alu instid0(VALU_DEP_2) | instskip(NEXT) | instid1(VALU_DEP_2)
	v_cmp_eq_u64_e32 vcc_lo, 0, v[102:103]
	v_and_or_b32 v54, v102, 7, v54
	s_and_b32 s7, s7, vcc_lo
	s_delay_alu instid0(VALU_DEP_1) | instid1(SALU_CYCLE_1)
	v_cndmask_b32_e64 v54, v54, 0, s7
	s_delay_alu instid0(VALU_DEP_1)
	v_or_b32_e32 v46, v54, v47
.LBB4_2584:                             ;   in Loop: Header=BB4_2406 Depth=2
	s_or_b32 exec_lo, exec_lo, s28
                                        ; implicit-def: $vgpr47
.LBB4_2585:                             ;   in Loop: Header=BB4_2406 Depth=2
	s_and_not1_saveexec_b32 s7, s27
; %bb.2586:                             ;   in Loop: Header=BB4_2406 Depth=2
	v_or_b32_e32 v46, 0x7e, v47
; %bb.2587:                             ;   in Loop: Header=BB4_2406 Depth=2
	s_or_b32 exec_lo, exec_lo, s7
                                        ; implicit-def: $vgpr103
.LBB4_2588:                             ;   in Loop: Header=BB4_2406 Depth=2
	s_and_not1_saveexec_b32 s7, s26
; %bb.2589:                             ;   in Loop: Header=BB4_2406 Depth=2
	v_or_b32_e32 v46, 0x7f, v103
; %bb.2590:                             ;   in Loop: Header=BB4_2406 Depth=2
	s_or_b32 exec_lo, exec_lo, s7
	v_dual_lshrrev_b32 v112, 16, v23 :: v_dual_mov_b32 v102, 0
	v_mov_b32_e32 v103, 0
	s_mov_b32 s7, exec_lo
	s_delay_alu instid0(VALU_DEP_2) | instskip(NEXT) | instid1(VALU_DEP_1)
	v_and_b32_e32 v54, 0xff, v112
	v_cmpx_ne_u16_e32 0, v54
	s_cbranch_execz .LBB4_2598
; %bb.2591:                             ;   in Loop: Header=BB4_2406 Depth=2
	v_bfrev_b32_e32 v103, 1
	s_mov_b32 s26, exec_lo
	v_cmpx_ne_u16_e32 0x80, v54
	s_cbranch_execz .LBB4_2597
; %bb.2592:                             ;   in Loop: Header=BB4_2406 Depth=2
	v_bfe_u32 v113, v23, 16, 7
	v_mov_b32_e32 v103, 0x7f800001
	s_mov_b32 s27, exec_lo
	s_delay_alu instid0(VALU_DEP_2)
	v_cmpx_ne_u32_e32 0x7f, v113
	s_cbranch_execz .LBB4_2596
; %bb.2593:                             ;   in Loop: Header=BB4_2406 Depth=2
	v_dual_lshrrev_b32 v103, 3, v113 :: v_dual_bitop2_b32 v54, 7, v112 bitop3:0x40
	s_mov_b32 s28, exec_lo
	v_cmpx_gt_u32_e32 8, v113
; %bb.2594:                             ;   in Loop: Header=BB4_2406 Depth=2
	s_delay_alu instid0(VALU_DEP_2) | instskip(NEXT) | instid1(VALU_DEP_1)
	v_clz_i32_u32_e32 v103, v54
	v_min_u32_e32 v103, 32, v103
	s_delay_alu instid0(VALU_DEP_1) | instskip(NEXT) | instid1(VALU_DEP_1)
	v_subrev_nc_u32_e32 v113, 28, v103
	v_lshlrev_b64_e32 v[56:57], v113, v[54:55]
	s_delay_alu instid0(VALU_DEP_1)
	v_dual_sub_nc_u32 v103, 29, v103 :: v_dual_bitop2_b32 v54, 7, v56 bitop3:0x40
; %bb.2595:                             ;   in Loop: Header=BB4_2406 Depth=2
	s_or_b32 exec_lo, exec_lo, s28
	s_delay_alu instid0(VALU_DEP_1) | instskip(NEXT) | instid1(VALU_DEP_2)
	v_dual_lshlrev_b32 v112, 24, v112 :: v_dual_lshlrev_b32 v54, 20, v54
	v_lshl_add_u32 v103, v103, 23, 0x3c000000
	s_delay_alu instid0(VALU_DEP_2) | instskip(NEXT) | instid1(VALU_DEP_1)
	v_and_b32_e32 v112, 0x80000000, v112
	v_or3_b32 v103, v54, v112, v103
.LBB4_2596:                             ;   in Loop: Header=BB4_2406 Depth=2
	s_or_b32 exec_lo, exec_lo, s27
.LBB4_2597:                             ;   in Loop: Header=BB4_2406 Depth=2
	s_delay_alu instid0(SALU_CYCLE_1)
	s_or_b32 exec_lo, exec_lo, s26
.LBB4_2598:                             ;   in Loop: Header=BB4_2406 Depth=2
	s_delay_alu instid0(SALU_CYCLE_1) | instskip(SKIP_2) | instid1(VALU_DEP_1)
	s_or_b32 exec_lo, exec_lo, s7
	v_lshrrev_b32_e32 v54, 16, v19
	s_mov_b32 s7, exec_lo
	v_and_b32_e32 v112, 0xff, v54
	s_delay_alu instid0(VALU_DEP_1)
	v_cmpx_ne_u16_e32 0, v112
	s_cbranch_execz .LBB4_2606
; %bb.2599:                             ;   in Loop: Header=BB4_2406 Depth=2
	v_bfrev_b32_e32 v102, 1
	s_mov_b32 s26, exec_lo
	v_cmpx_ne_u16_e32 0x80, v112
	s_cbranch_execz .LBB4_2605
; %bb.2600:                             ;   in Loop: Header=BB4_2406 Depth=2
	v_bfe_u32 v112, v19, 16, 7
	v_mov_b32_e32 v102, 0x7f800001
	s_mov_b32 s27, exec_lo
	s_delay_alu instid0(VALU_DEP_2)
	v_cmpx_ne_u32_e32 0x7f, v112
	s_cbranch_execz .LBB4_2604
; %bb.2601:                             ;   in Loop: Header=BB4_2406 Depth=2
	v_dual_lshrrev_b32 v102, 3, v112 :: v_dual_bitop2_b32 v54, 7, v54 bitop3:0x40
	s_mov_b32 s28, exec_lo
	v_cmpx_gt_u32_e32 8, v112
; %bb.2602:                             ;   in Loop: Header=BB4_2406 Depth=2
	s_delay_alu instid0(VALU_DEP_2) | instskip(NEXT) | instid1(VALU_DEP_1)
	v_clz_i32_u32_e32 v102, v54
	v_min_u32_e32 v102, 32, v102
	s_delay_alu instid0(VALU_DEP_1) | instskip(NEXT) | instid1(VALU_DEP_1)
	v_subrev_nc_u32_e32 v112, 28, v102
	v_lshlrev_b64_e32 v[112:113], v112, v[54:55]
	s_delay_alu instid0(VALU_DEP_1)
	v_dual_sub_nc_u32 v102, 29, v102 :: v_dual_bitop2_b32 v54, 7, v112 bitop3:0x40
; %bb.2603:                             ;   in Loop: Header=BB4_2406 Depth=2
	s_or_b32 exec_lo, exec_lo, s28
	s_delay_alu instid0(VALU_DEP_1) | instskip(NEXT) | instid1(VALU_DEP_2)
	v_dual_lshlrev_b32 v112, 8, v19 :: v_dual_lshlrev_b32 v54, 20, v54
	v_lshl_add_u32 v102, v102, 23, 0x3c000000
	s_delay_alu instid0(VALU_DEP_2) | instskip(NEXT) | instid1(VALU_DEP_1)
	v_and_b32_e32 v112, 0x80000000, v112
	v_or3_b32 v102, v54, v112, v102
.LBB4_2604:                             ;   in Loop: Header=BB4_2406 Depth=2
	s_or_b32 exec_lo, exec_lo, s27
.LBB4_2605:                             ;   in Loop: Header=BB4_2406 Depth=2
	s_delay_alu instid0(SALU_CYCLE_1)
	s_or_b32 exec_lo, exec_lo, s26
.LBB4_2606:                             ;   in Loop: Header=BB4_2406 Depth=2
	s_delay_alu instid0(SALU_CYCLE_1) | instskip(NEXT) | instid1(VALU_DEP_1)
	s_or_b32 exec_lo, exec_lo, s7
	v_mul_f32_e32 v103, v103, v102
                                        ; implicit-def: $vgpr102
	s_mov_b32 s7, exec_lo
	s_delay_alu instid0(VALU_DEP_1) | instskip(SKIP_1) | instid1(VALU_DEP_2)
	v_and_b32_e32 v54, 0x7f800000, v103
	v_lshrrev_b32_e32 v112, 24, v103
	v_cmpx_ne_u64_e32 0x7f800000, v[54:55]
	s_xor_b32 s26, exec_lo, s7
	s_cbranch_execz .LBB4_2620
; %bb.2607:                             ;   in Loop: Header=BB4_2406 Depth=2
	v_and_b32_e32 v54, 0x7fffffff, v103
	v_and_b32_e32 v47, 0x80, v112
                                        ; implicit-def: $vgpr102
	s_mov_b32 s7, exec_lo
	s_delay_alu instid0(VALU_DEP_2)
	v_cmpx_gt_u64_e32 0x43e00001, v[54:55]
	s_xor_b32 s27, exec_lo, s7
	s_cbranch_execz .LBB4_2617
; %bb.2608:                             ;   in Loop: Header=BB4_2406 Depth=2
	v_mov_b32_e32 v102, 0
	s_mov_b32 s28, exec_lo
	v_cmpx_ne_u32_e32 0, v103
	s_cbranch_execz .LBB4_2616
; %bb.2609:                             ;   in Loop: Header=BB4_2406 Depth=2
	v_bfe_u32 v56, v103, 23, 8
	s_delay_alu instid0(VALU_DEP_1) | instskip(SKIP_1) | instid1(VALU_DEP_2)
	v_sub_nc_u32_e32 v54, 0x79, v56
	v_cmp_gt_u32_e32 vcc_lo, 0x7a, v56
	v_cndmask_b32_e32 v54, 0, v54, vcc_lo
	v_cmp_eq_u32_e32 vcc_lo, 0, v56
	s_delay_alu instid0(VALU_DEP_2) | instskip(SKIP_1) | instid1(VALU_DEP_2)
	v_cndmask_b32_e64 v57, v54, 0x78, vcc_lo
	v_and_b32_e32 v54, 0x7fffff, v103
	v_add_nc_u32_e32 v102, 20, v57
	s_delay_alu instid0(VALU_DEP_2) | instskip(SKIP_1) | instid1(VALU_DEP_3)
	v_or_b32_e32 v112, 0x800000, v54
	v_add_nc_u32_e32 v113, 19, v57
	v_lshlrev_b64_e64 v[102:103], v102, -1
	s_delay_alu instid0(VALU_DEP_3) | instskip(NEXT) | instid1(VALU_DEP_3)
	v_cndmask_b32_e32 v54, v112, v54, vcc_lo
	v_lshlrev_b64_e64 v[112:113], v113, 1
	s_delay_alu instid0(VALU_DEP_3) | instskip(NEXT) | instid1(VALU_DEP_3)
	v_bfi_b32 v59, v103, 0, 0
	v_bfi_b32 v58, v102, 0, v54
	v_lshrrev_b64 v[102:103], v57, v[54:55]
	s_delay_alu instid0(VALU_DEP_2) | instskip(NEXT) | instid1(VALU_DEP_2)
	v_cmp_eq_u64_e64 s7, v[58:59], v[112:113]
	v_mov_b64_e32 v[112:113], v[102:103]
	s_and_saveexec_b32 s29, s7
; %bb.2610:                             ;   in Loop: Header=BB4_2406 Depth=2
	v_bfe_u32 v54, v102, 20, 1
	s_delay_alu instid0(VALU_DEP_1) | instskip(NEXT) | instid1(VALU_DEP_1)
	v_add_nc_u64_e32 v[112:113], v[102:103], v[54:55]
	v_add_nc_u64_e32 v[112:113], -1, v[112:113]
; %bb.2611:                             ;   in Loop: Header=BB4_2406 Depth=2
	s_or_b32 exec_lo, exec_lo, s29
	v_add_nc_u32_e32 v54, 0xffffff81, v56
	v_lshrrev_b32_e32 v103, 23, v102
	s_mov_b32 s7, exec_lo
	s_delay_alu instid0(VALU_DEP_2) | instskip(NEXT) | instid1(VALU_DEP_1)
	v_cndmask_b32_e64 v54, v54, 0xffffff82, vcc_lo
	v_add3_u32 v113, v57, v54, v103
	v_and_b32_e32 v54, 0xfffff, v112
                                        ; implicit-def: $vgpr112
	s_delay_alu instid0(VALU_DEP_1) | instskip(NEXT) | instid1(VALU_DEP_1)
	v_dual_add_nc_u32 v56, 6, v113 :: v_dual_add_nc_u32 v54, v54, v102
                                        ; implicit-def: $vgpr102_vgpr103
	v_cmpx_ne_u32_e32 0, v56
	s_xor_b32 s7, exec_lo, s7
; %bb.2612:                             ;   in Loop: Header=BB4_2406 Depth=2
	s_delay_alu instid0(VALU_DEP_2) | instskip(SKIP_1) | instid1(VALU_DEP_1)
	v_cmp_lt_u64_e32 vcc_lo, 0xffffff, v[54:55]
	v_add_nc_u32_e32 v102, 7, v113
	v_cndmask_b32_e32 v112, v56, v102, vcc_lo
	v_cndmask_b32_e64 v102, 0, 1, vcc_lo
	s_delay_alu instid0(VALU_DEP_1)
	v_lshrrev_b64 v[102:103], v102, v[54:55]
; %bb.2613:                             ;   in Loop: Header=BB4_2406 Depth=2
	s_and_not1_saveexec_b32 s7, s7
; %bb.2614:                             ;   in Loop: Header=BB4_2406 Depth=2
	v_mov_b64_e32 v[102:103], v[54:55]
	v_bfe_u32 v112, v54, 23, 1
; %bb.2615:                             ;   in Loop: Header=BB4_2406 Depth=2
	s_or_b32 exec_lo, exec_lo, s7
	s_delay_alu instid0(VALU_DEP_2) | instskip(NEXT) | instid1(VALU_DEP_2)
	v_lshrrev_b64 v[102:103], 20, v[102:103]
	v_cmp_gt_i32_e32 vcc_lo, 16, v112
	v_min_i32_e32 v54, 15, v112
	v_cmp_eq_u32_e64 s7, 0, v112
	s_delay_alu instid0(VALU_DEP_2) | instskip(SKIP_1) | instid1(VALU_DEP_2)
	v_dual_cndmask_b32 v103, 0, v103 :: v_dual_lshlrev_b32 v54, 3, v54
	v_cndmask_b32_e32 v102, 7, v102, vcc_lo
	v_and_b32_e32 v54, 0xf8, v54
	s_delay_alu instid0(VALU_DEP_2) | instskip(NEXT) | instid1(VALU_DEP_2)
	v_cmp_eq_u64_e32 vcc_lo, 0, v[102:103]
	v_and_or_b32 v54, v102, 7, v54
	s_and_b32 s7, s7, vcc_lo
	s_delay_alu instid0(VALU_DEP_1) | instid1(SALU_CYCLE_1)
	v_cndmask_b32_e64 v54, v54, 0, s7
	s_delay_alu instid0(VALU_DEP_1)
	v_or_b32_e32 v102, v54, v47
.LBB4_2616:                             ;   in Loop: Header=BB4_2406 Depth=2
	s_or_b32 exec_lo, exec_lo, s28
                                        ; implicit-def: $vgpr47
.LBB4_2617:                             ;   in Loop: Header=BB4_2406 Depth=2
	s_and_not1_saveexec_b32 s7, s27
; %bb.2618:                             ;   in Loop: Header=BB4_2406 Depth=2
	v_or_b32_e32 v102, 0x7e, v47
; %bb.2619:                             ;   in Loop: Header=BB4_2406 Depth=2
	s_or_b32 exec_lo, exec_lo, s7
                                        ; implicit-def: $vgpr112
.LBB4_2620:                             ;   in Loop: Header=BB4_2406 Depth=2
	s_and_not1_saveexec_b32 s7, s26
; %bb.2621:                             ;   in Loop: Header=BB4_2406 Depth=2
	v_or_b32_e32 v102, 0x7f, v112
; %bb.2622:                             ;   in Loop: Header=BB4_2406 Depth=2
	s_or_b32 exec_lo, exec_lo, s7
	v_cmp_lt_u64_e32 vcc_lo, s[12:13], v[22:23]
	v_dual_mov_b32 v22, 0 :: v_dual_mov_b32 v103, 0
	s_and_saveexec_b32 s7, vcc_lo
	s_cbranch_execz .LBB4_2630
; %bb.2623:                             ;   in Loop: Header=BB4_2406 Depth=2
	v_lshrrev_b32_e32 v112, 24, v23
	v_bfrev_b32_e32 v103, 1
	s_mov_b32 s26, exec_lo
	s_delay_alu instid0(VALU_DEP_2)
	v_cmpx_ne_u32_e32 0x80, v112
	s_cbranch_execz .LBB4_2629
; %bb.2624:                             ;   in Loop: Header=BB4_2406 Depth=2
	v_bfe_u32 v113, v23, 24, 7
	v_mov_b32_e32 v103, 0x7f800001
	s_mov_b32 s27, exec_lo
	s_delay_alu instid0(VALU_DEP_2)
	v_cmpx_ne_u32_e32 0x7f, v113
	s_cbranch_execz .LBB4_2628
; %bb.2625:                             ;   in Loop: Header=BB4_2406 Depth=2
	v_dual_lshrrev_b32 v23, 3, v113 :: v_dual_bitop2_b32 v54, 7, v112 bitop3:0x40
	s_mov_b32 s28, exec_lo
	v_cmpx_gt_u32_e32 8, v113
; %bb.2626:                             ;   in Loop: Header=BB4_2406 Depth=2
	s_delay_alu instid0(VALU_DEP_2) | instskip(NEXT) | instid1(VALU_DEP_1)
	v_clz_i32_u32_e32 v23, v54
	v_min_u32_e32 v23, 32, v23
	s_delay_alu instid0(VALU_DEP_1) | instskip(NEXT) | instid1(VALU_DEP_1)
	v_subrev_nc_u32_e32 v103, 28, v23
	v_lshlrev_b64_e32 v[56:57], v103, v[54:55]
	s_delay_alu instid0(VALU_DEP_1)
	v_dual_sub_nc_u32 v23, 29, v23 :: v_dual_bitop2_b32 v54, 7, v56 bitop3:0x40
; %bb.2627:                             ;   in Loop: Header=BB4_2406 Depth=2
	s_or_b32 exec_lo, exec_lo, s28
	s_delay_alu instid0(VALU_DEP_1) | instskip(NEXT) | instid1(VALU_DEP_2)
	v_dual_lshlrev_b32 v103, 24, v112 :: v_dual_lshlrev_b32 v54, 20, v54
	v_lshl_add_u32 v23, v23, 23, 0x3c000000
	s_delay_alu instid0(VALU_DEP_2) | instskip(NEXT) | instid1(VALU_DEP_1)
	v_and_b32_e32 v103, 0x80000000, v103
	v_or3_b32 v103, v54, v103, v23
.LBB4_2628:                             ;   in Loop: Header=BB4_2406 Depth=2
	s_or_b32 exec_lo, exec_lo, s27
.LBB4_2629:                             ;   in Loop: Header=BB4_2406 Depth=2
	s_delay_alu instid0(SALU_CYCLE_1)
	s_or_b32 exec_lo, exec_lo, s26
.LBB4_2630:                             ;   in Loop: Header=BB4_2406 Depth=2
	s_delay_alu instid0(SALU_CYCLE_1) | instskip(NEXT) | instid1(SALU_CYCLE_1)
	s_or_b32 exec_lo, exec_lo, s7
	s_mov_b32 s7, exec_lo
	v_cmpx_lt_u64_e64 s[12:13], v[18:19]
	s_cbranch_execz .LBB4_2638
; %bb.2631:                             ;   in Loop: Header=BB4_2406 Depth=2
	v_lshrrev_b32_e32 v18, 24, v19
	v_bfrev_b32_e32 v22, 1
	s_mov_b32 s26, exec_lo
	s_delay_alu instid0(VALU_DEP_2)
	v_cmpx_ne_u32_e32 0x80, v18
	s_cbranch_execz .LBB4_2637
; %bb.2632:                             ;   in Loop: Header=BB4_2406 Depth=2
	v_bfe_u32 v23, v19, 24, 7
	v_mov_b32_e32 v22, 0x7f800001
	s_mov_b32 s27, exec_lo
	s_delay_alu instid0(VALU_DEP_2)
	v_cmpx_ne_u32_e32 0x7f, v23
	s_cbranch_execz .LBB4_2636
; %bb.2633:                             ;   in Loop: Header=BB4_2406 Depth=2
	v_dual_lshrrev_b32 v19, 3, v23 :: v_dual_bitop2_b32 v54, 7, v18 bitop3:0x40
	s_mov_b32 s28, exec_lo
	v_cmpx_gt_u32_e32 8, v23
; %bb.2634:                             ;   in Loop: Header=BB4_2406 Depth=2
	s_delay_alu instid0(VALU_DEP_2) | instskip(NEXT) | instid1(VALU_DEP_1)
	v_clz_i32_u32_e32 v19, v54
	v_min_u32_e32 v19, 32, v19
	s_delay_alu instid0(VALU_DEP_1) | instskip(NEXT) | instid1(VALU_DEP_1)
	v_subrev_nc_u32_e32 v22, 28, v19
	v_lshlrev_b64_e32 v[22:23], v22, v[54:55]
	s_delay_alu instid0(VALU_DEP_1)
	v_dual_sub_nc_u32 v19, 29, v19 :: v_dual_bitop2_b32 v54, 7, v22 bitop3:0x40
; %bb.2635:                             ;   in Loop: Header=BB4_2406 Depth=2
	s_or_b32 exec_lo, exec_lo, s28
	v_lshlrev_b32_e32 v18, 24, v18
	s_delay_alu instid0(VALU_DEP_2) | instskip(NEXT) | instid1(VALU_DEP_3)
	v_lshlrev_b32_e32 v22, 20, v54
	v_lshl_add_u32 v19, v19, 23, 0x3c000000
	s_delay_alu instid0(VALU_DEP_3) | instskip(NEXT) | instid1(VALU_DEP_1)
	v_and_b32_e32 v18, 0x80000000, v18
	v_or3_b32 v22, v22, v18, v19
.LBB4_2636:                             ;   in Loop: Header=BB4_2406 Depth=2
	s_or_b32 exec_lo, exec_lo, s27
.LBB4_2637:                             ;   in Loop: Header=BB4_2406 Depth=2
	s_delay_alu instid0(SALU_CYCLE_1)
	s_or_b32 exec_lo, exec_lo, s26
.LBB4_2638:                             ;   in Loop: Header=BB4_2406 Depth=2
	s_delay_alu instid0(SALU_CYCLE_1) | instskip(NEXT) | instid1(VALU_DEP_1)
	s_or_b32 exec_lo, exec_lo, s7
	v_mul_f32_e32 v18, v103, v22
                                        ; implicit-def: $vgpr103
	s_mov_b32 s7, exec_lo
	s_delay_alu instid0(VALU_DEP_1) | instskip(SKIP_1) | instid1(VALU_DEP_2)
	v_and_b32_e32 v54, 0x7f800000, v18
	v_lshrrev_b32_e32 v19, 24, v18
	v_cmpx_ne_u64_e32 0x7f800000, v[54:55]
	s_xor_b32 s26, exec_lo, s7
	s_cbranch_execz .LBB4_2652
; %bb.2639:                             ;   in Loop: Header=BB4_2406 Depth=2
	v_and_b32_e32 v54, 0x7fffffff, v18
	v_and_b32_e32 v112, 0x80, v19
                                        ; implicit-def: $vgpr103
	s_mov_b32 s7, exec_lo
	s_delay_alu instid0(VALU_DEP_2)
	v_cmpx_gt_u64_e32 0x43e00001, v[54:55]
	s_xor_b32 s27, exec_lo, s7
	s_cbranch_execz .LBB4_2649
; %bb.2640:                             ;   in Loop: Header=BB4_2406 Depth=2
	v_mov_b32_e32 v103, 0
	s_mov_b32 s28, exec_lo
	v_cmpx_ne_u32_e32 0, v18
	s_cbranch_execz .LBB4_2648
; %bb.2641:                             ;   in Loop: Header=BB4_2406 Depth=2
	v_bfe_u32 v103, v18, 23, 8
	v_and_b32_e32 v22, 0x7fffff, v18
	s_delay_alu instid0(VALU_DEP_2) | instskip(NEXT) | instid1(VALU_DEP_2)
	v_cmp_gt_u32_e32 vcc_lo, 0x7a, v103
	v_or_b32_e32 v23, 0x800000, v22
	v_sub_nc_u32_e32 v19, 0x79, v103
	s_delay_alu instid0(VALU_DEP_1) | instskip(SKIP_1) | instid1(VALU_DEP_2)
	v_cndmask_b32_e32 v19, 0, v19, vcc_lo
	v_cmp_eq_u32_e32 vcc_lo, 0, v103
	v_cndmask_b32_e64 v113, v19, 0x78, vcc_lo
	s_delay_alu instid0(VALU_DEP_1) | instskip(SKIP_1) | instid1(VALU_DEP_2)
	v_dual_cndmask_b32 v54, v23, v22, vcc_lo :: v_dual_add_nc_u32 v18, 20, v113
	v_add_nc_u32_e32 v47, 19, v113
	v_lshlrev_b64_e64 v[18:19], v18, -1
	s_delay_alu instid0(VALU_DEP_2) | instskip(NEXT) | instid1(VALU_DEP_2)
	v_lshlrev_b64_e64 v[22:23], v47, 1
	v_bfi_b32 v57, v19, 0, 0
	s_delay_alu instid0(VALU_DEP_3) | instskip(SKIP_1) | instid1(VALU_DEP_2)
	v_bfi_b32 v56, v18, 0, v54
	v_lshrrev_b64 v[18:19], v113, v[54:55]
	v_cmp_eq_u64_e64 s7, v[56:57], v[22:23]
	s_delay_alu instid0(VALU_DEP_2)
	v_mov_b64_e32 v[22:23], v[18:19]
	s_and_saveexec_b32 s29, s7
; %bb.2642:                             ;   in Loop: Header=BB4_2406 Depth=2
	v_bfe_u32 v54, v18, 20, 1
	s_delay_alu instid0(VALU_DEP_1) | instskip(NEXT) | instid1(VALU_DEP_1)
	v_add_nc_u64_e32 v[22:23], v[18:19], v[54:55]
	v_add_nc_u64_e32 v[22:23], -1, v[22:23]
; %bb.2643:                             ;   in Loop: Header=BB4_2406 Depth=2
	s_or_b32 exec_lo, exec_lo, s29
	v_add_nc_u32_e32 v19, 0xffffff81, v103
	v_lshrrev_b32_e32 v23, 23, v18
	s_mov_b32 s7, exec_lo
	s_delay_alu instid0(VALU_DEP_2) | instskip(NEXT) | instid1(VALU_DEP_1)
	v_cndmask_b32_e64 v19, v19, 0xffffff82, vcc_lo
	v_add3_u32 v23, v113, v19, v23
	v_and_b32_e32 v19, 0xfffff, v22
                                        ; implicit-def: $vgpr22
	s_delay_alu instid0(VALU_DEP_1) | instskip(NEXT) | instid1(VALU_DEP_1)
	v_dual_add_nc_u32 v103, 6, v23 :: v_dual_add_nc_u32 v54, v19, v18
                                        ; implicit-def: $vgpr18_vgpr19
	v_cmpx_ne_u32_e32 0, v103
	s_xor_b32 s7, exec_lo, s7
; %bb.2644:                             ;   in Loop: Header=BB4_2406 Depth=2
	s_delay_alu instid0(VALU_DEP_2) | instskip(SKIP_1) | instid1(VALU_DEP_1)
	v_cmp_lt_u64_e32 vcc_lo, 0xffffff, v[54:55]
	v_add_nc_u32_e32 v18, 7, v23
	v_cndmask_b32_e32 v22, v103, v18, vcc_lo
	v_cndmask_b32_e64 v18, 0, 1, vcc_lo
	s_delay_alu instid0(VALU_DEP_1)
	v_lshrrev_b64 v[18:19], v18, v[54:55]
; %bb.2645:                             ;   in Loop: Header=BB4_2406 Depth=2
	s_and_not1_saveexec_b32 s7, s7
; %bb.2646:                             ;   in Loop: Header=BB4_2406 Depth=2
	v_mov_b64_e32 v[18:19], v[54:55]
	v_bfe_u32 v22, v54, 23, 1
; %bb.2647:                             ;   in Loop: Header=BB4_2406 Depth=2
	s_or_b32 exec_lo, exec_lo, s7
	s_delay_alu instid0(VALU_DEP_2) | instskip(NEXT) | instid1(VALU_DEP_2)
	v_lshrrev_b64 v[18:19], 20, v[18:19]
	v_cmp_gt_i32_e32 vcc_lo, 16, v22
	v_min_i32_e32 v23, 15, v22
	v_cmp_eq_u32_e64 s7, 0, v22
	s_delay_alu instid0(VALU_DEP_4) | instskip(NEXT) | instid1(VALU_DEP_3)
	v_cndmask_b32_e32 v19, 0, v19, vcc_lo
	v_dual_cndmask_b32 v18, 7, v18 :: v_dual_lshlrev_b32 v23, 3, v23
	s_delay_alu instid0(VALU_DEP_1) | instskip(NEXT) | instid1(VALU_DEP_2)
	v_and_b32_e32 v23, 0xf8, v23
	v_cmp_eq_u64_e32 vcc_lo, 0, v[18:19]
	s_delay_alu instid0(VALU_DEP_2)
	v_and_or_b32 v18, v18, 7, v23
	s_and_b32 s7, s7, vcc_lo
	s_delay_alu instid0(VALU_DEP_1) | instid1(SALU_CYCLE_1)
	v_cndmask_b32_e64 v18, v18, 0, s7
	s_delay_alu instid0(VALU_DEP_1)
	v_or_b32_e32 v103, v18, v112
.LBB4_2648:                             ;   in Loop: Header=BB4_2406 Depth=2
	s_or_b32 exec_lo, exec_lo, s28
                                        ; implicit-def: $vgpr112
.LBB4_2649:                             ;   in Loop: Header=BB4_2406 Depth=2
	s_and_not1_saveexec_b32 s7, s27
; %bb.2650:                             ;   in Loop: Header=BB4_2406 Depth=2
	v_or_b32_e32 v103, 0x7e, v112
; %bb.2651:                             ;   in Loop: Header=BB4_2406 Depth=2
	s_or_b32 exec_lo, exec_lo, s7
                                        ; implicit-def: $vgpr19
.LBB4_2652:                             ;   in Loop: Header=BB4_2406 Depth=2
	s_and_not1_saveexec_b32 s7, s26
; %bb.2653:                             ;   in Loop: Header=BB4_2406 Depth=2
	v_or_b32_e32 v103, 0x7f, v19
; %bb.2654:                             ;   in Loop: Header=BB4_2406 Depth=2
	s_or_b32 exec_lo, exec_lo, s7
	v_and_b32_e32 v22, 0xff, v24
	v_dual_mov_b32 v18, 0 :: v_dual_mov_b32 v19, 0
	s_mov_b32 s7, exec_lo
	s_delay_alu instid0(VALU_DEP_2)
	v_cmpx_ne_u16_e32 0, v22
	s_cbranch_execz .LBB4_2660
; %bb.2655:                             ;   in Loop: Header=BB4_2406 Depth=2
	v_bfrev_b32_e32 v19, 1
	s_mov_b32 s26, exec_lo
	v_cmpx_ne_u16_e32 0x80, v22
	s_cbranch_execz .LBB4_2659
; %bb.2656:                             ;   in Loop: Header=BB4_2406 Depth=2
	v_and_b32_e32 v22, 0x7f, v24
	v_mov_b32_e32 v19, 0x7f800001
	s_mov_b32 s27, exec_lo
	s_delay_alu instid0(VALU_DEP_2)
	v_cmpx_ne_u32_e32 0x7f, v22
	s_cbranch_execz .LBB4_2658
; %bb.2657:                             ;   in Loop: Header=BB4_2406 Depth=2
	v_dual_lshrrev_b32 v23, 3, v22 :: v_dual_bitop2_b32 v19, 7, v24 bitop3:0x40
	v_cmp_gt_u32_e32 vcc_lo, 8, v22
	s_delay_alu instid0(VALU_DEP_2) | instskip(NEXT) | instid1(VALU_DEP_1)
	v_clz_i32_u32_e32 v19, v19
	v_min_u32_e32 v19, 32, v19
	s_delay_alu instid0(VALU_DEP_1) | instskip(NEXT) | instid1(VALU_DEP_1)
	v_subrev_nc_u32_e32 v54, 28, v19
	v_dual_cndmask_b32 v22, 0, v54 :: v_dual_sub_nc_u32 v19, 29, v19
	s_delay_alu instid0(VALU_DEP_1) | instskip(NEXT) | instid1(VALU_DEP_2)
	v_cndmask_b32_e32 v19, v23, v19, vcc_lo
	v_lshlrev_b64_e32 v[22:23], v22, v[24:25]
	v_lshlrev_b32_e32 v23, 24, v24
	s_delay_alu instid0(VALU_DEP_3) | instskip(NEXT) | instid1(VALU_DEP_2)
	v_lshl_add_u32 v19, v19, 23, 0x3c000000
	v_and_b32_e32 v23, 0x80000000, v23
	s_delay_alu instid0(VALU_DEP_4) | instskip(NEXT) | instid1(VALU_DEP_1)
	v_lshlrev_b32_e32 v22, 20, v22
	v_and_b32_e32 v22, 0x700000, v22
	s_delay_alu instid0(VALU_DEP_1)
	v_or3_b32 v19, v22, v23, v19
.LBB4_2658:                             ;   in Loop: Header=BB4_2406 Depth=2
	s_or_b32 exec_lo, exec_lo, s27
.LBB4_2659:                             ;   in Loop: Header=BB4_2406 Depth=2
	s_delay_alu instid0(SALU_CYCLE_1)
	s_or_b32 exec_lo, exec_lo, s26
.LBB4_2660:                             ;   in Loop: Header=BB4_2406 Depth=2
	s_delay_alu instid0(SALU_CYCLE_1) | instskip(SKIP_2) | instid1(VALU_DEP_1)
	s_or_b32 exec_lo, exec_lo, s7
	v_and_b32_e32 v22, 0xff, v20
	s_mov_b32 s7, exec_lo
	v_cmpx_ne_u16_e32 0, v22
	s_cbranch_execz .LBB4_2666
; %bb.2661:                             ;   in Loop: Header=BB4_2406 Depth=2
	v_bfrev_b32_e32 v18, 1
	s_mov_b32 s26, exec_lo
	v_cmpx_ne_u16_e32 0x80, v22
	s_cbranch_execz .LBB4_2665
; %bb.2662:                             ;   in Loop: Header=BB4_2406 Depth=2
	v_and_b32_e32 v22, 0x7f, v20
	v_mov_b32_e32 v18, 0x7f800001
	s_mov_b32 s27, exec_lo
	s_delay_alu instid0(VALU_DEP_2)
	v_cmpx_ne_u32_e32 0x7f, v22
	s_cbranch_execz .LBB4_2664
; %bb.2663:                             ;   in Loop: Header=BB4_2406 Depth=2
	v_dual_lshrrev_b32 v23, 3, v22 :: v_dual_bitop2_b32 v18, 7, v20 bitop3:0x40
	v_cmp_gt_u32_e32 vcc_lo, 8, v22
	s_delay_alu instid0(VALU_DEP_2) | instskip(NEXT) | instid1(VALU_DEP_1)
	v_clz_i32_u32_e32 v18, v18
	v_min_u32_e32 v18, 32, v18
	s_delay_alu instid0(VALU_DEP_1) | instskip(SKIP_1) | instid1(VALU_DEP_2)
	v_subrev_nc_u32_e32 v54, 28, v18
	v_sub_nc_u32_e32 v18, 29, v18
	v_cndmask_b32_e32 v22, 0, v54, vcc_lo
	s_delay_alu instid0(VALU_DEP_2) | instskip(NEXT) | instid1(VALU_DEP_2)
	v_cndmask_b32_e32 v18, v23, v18, vcc_lo
	v_lshlrev_b64_e32 v[22:23], v22, v[20:21]
	v_lshlrev_b32_e32 v23, 24, v20
	s_delay_alu instid0(VALU_DEP_3) | instskip(NEXT) | instid1(VALU_DEP_2)
	v_lshl_add_u32 v18, v18, 23, 0x3c000000
	v_and_b32_e32 v23, 0x80000000, v23
	s_delay_alu instid0(VALU_DEP_4) | instskip(NEXT) | instid1(VALU_DEP_1)
	v_lshlrev_b32_e32 v22, 20, v22
	v_and_b32_e32 v22, 0x700000, v22
	s_delay_alu instid0(VALU_DEP_1)
	v_or3_b32 v18, v22, v23, v18
.LBB4_2664:                             ;   in Loop: Header=BB4_2406 Depth=2
	s_or_b32 exec_lo, exec_lo, s27
.LBB4_2665:                             ;   in Loop: Header=BB4_2406 Depth=2
	s_delay_alu instid0(SALU_CYCLE_1)
	s_or_b32 exec_lo, exec_lo, s26
.LBB4_2666:                             ;   in Loop: Header=BB4_2406 Depth=2
	s_delay_alu instid0(SALU_CYCLE_1) | instskip(NEXT) | instid1(VALU_DEP_1)
	s_or_b32 exec_lo, exec_lo, s7
	v_mul_f32_e32 v18, v19, v18
                                        ; implicit-def: $vgpr112
	s_mov_b32 s7, exec_lo
	s_delay_alu instid0(VALU_DEP_1) | instskip(SKIP_1) | instid1(VALU_DEP_2)
	v_and_b32_e32 v54, 0x7f800000, v18
	v_lshrrev_b32_e32 v19, 24, v18
	v_cmpx_ne_u64_e32 0x7f800000, v[54:55]
	s_xor_b32 s26, exec_lo, s7
	s_cbranch_execz .LBB4_2680
; %bb.2667:                             ;   in Loop: Header=BB4_2406 Depth=2
	v_and_b32_e32 v54, 0x7fffffff, v18
	v_and_b32_e32 v113, 0x80, v19
                                        ; implicit-def: $vgpr112
	s_mov_b32 s7, exec_lo
	s_delay_alu instid0(VALU_DEP_2)
	v_cmpx_gt_u64_e32 0x43e00001, v[54:55]
	s_xor_b32 s27, exec_lo, s7
	s_cbranch_execz .LBB4_2677
; %bb.2668:                             ;   in Loop: Header=BB4_2406 Depth=2
	v_mov_b32_e32 v112, 0
	s_mov_b32 s28, exec_lo
	v_cmpx_ne_u32_e32 0, v18
	s_cbranch_execz .LBB4_2676
; %bb.2669:                             ;   in Loop: Header=BB4_2406 Depth=2
	v_bfe_u32 v112, v18, 23, 8
	v_and_b32_e32 v22, 0x7fffff, v18
	s_delay_alu instid0(VALU_DEP_2) | instskip(NEXT) | instid1(VALU_DEP_2)
	v_cmp_gt_u32_e32 vcc_lo, 0x7a, v112
	v_or_b32_e32 v23, 0x800000, v22
	v_sub_nc_u32_e32 v19, 0x79, v112
	s_delay_alu instid0(VALU_DEP_1) | instskip(SKIP_1) | instid1(VALU_DEP_2)
	v_cndmask_b32_e32 v19, 0, v19, vcc_lo
	v_cmp_eq_u32_e32 vcc_lo, 0, v112
	v_cndmask_b32_e64 v47, v19, 0x78, vcc_lo
	s_delay_alu instid0(VALU_DEP_1) | instskip(SKIP_1) | instid1(VALU_DEP_2)
	v_dual_cndmask_b32 v54, v23, v22, vcc_lo :: v_dual_add_nc_u32 v18, 20, v47
	v_add_nc_u32_e32 v56, 19, v47
	v_lshlrev_b64_e64 v[18:19], v18, -1
	s_delay_alu instid0(VALU_DEP_2) | instskip(NEXT) | instid1(VALU_DEP_2)
	v_lshlrev_b64_e64 v[22:23], v56, 1
	v_bfi_b32 v57, v19, 0, 0
	s_delay_alu instid0(VALU_DEP_3) | instskip(SKIP_1) | instid1(VALU_DEP_2)
	v_bfi_b32 v56, v18, 0, v54
	v_lshrrev_b64 v[18:19], v47, v[54:55]
	v_cmp_eq_u64_e64 s7, v[56:57], v[22:23]
	s_delay_alu instid0(VALU_DEP_2)
	v_mov_b64_e32 v[22:23], v[18:19]
	s_and_saveexec_b32 s29, s7
; %bb.2670:                             ;   in Loop: Header=BB4_2406 Depth=2
	v_bfe_u32 v54, v18, 20, 1
	s_delay_alu instid0(VALU_DEP_1) | instskip(NEXT) | instid1(VALU_DEP_1)
	v_add_nc_u64_e32 v[22:23], v[18:19], v[54:55]
	v_add_nc_u64_e32 v[22:23], -1, v[22:23]
; %bb.2671:                             ;   in Loop: Header=BB4_2406 Depth=2
	s_or_b32 exec_lo, exec_lo, s29
	v_add_nc_u32_e32 v19, 0xffffff81, v112
	v_lshrrev_b32_e32 v23, 23, v18
	s_mov_b32 s7, exec_lo
	s_delay_alu instid0(VALU_DEP_2) | instskip(NEXT) | instid1(VALU_DEP_1)
	v_cndmask_b32_e64 v19, v19, 0xffffff82, vcc_lo
	v_add3_u32 v23, v47, v19, v23
	v_and_b32_e32 v19, 0xfffff, v22
                                        ; implicit-def: $vgpr22
	s_delay_alu instid0(VALU_DEP_1) | instskip(NEXT) | instid1(VALU_DEP_1)
	v_dual_add_nc_u32 v112, 6, v23 :: v_dual_add_nc_u32 v54, v19, v18
                                        ; implicit-def: $vgpr18_vgpr19
	v_cmpx_ne_u32_e32 0, v112
	s_xor_b32 s7, exec_lo, s7
; %bb.2672:                             ;   in Loop: Header=BB4_2406 Depth=2
	s_delay_alu instid0(VALU_DEP_2) | instskip(SKIP_1) | instid1(VALU_DEP_1)
	v_cmp_lt_u64_e32 vcc_lo, 0xffffff, v[54:55]
	v_add_nc_u32_e32 v18, 7, v23
	v_cndmask_b32_e32 v22, v112, v18, vcc_lo
	v_cndmask_b32_e64 v18, 0, 1, vcc_lo
	s_delay_alu instid0(VALU_DEP_1)
	v_lshrrev_b64 v[18:19], v18, v[54:55]
; %bb.2673:                             ;   in Loop: Header=BB4_2406 Depth=2
	s_and_not1_saveexec_b32 s7, s7
; %bb.2674:                             ;   in Loop: Header=BB4_2406 Depth=2
	v_mov_b64_e32 v[18:19], v[54:55]
	v_bfe_u32 v22, v54, 23, 1
; %bb.2675:                             ;   in Loop: Header=BB4_2406 Depth=2
	s_or_b32 exec_lo, exec_lo, s7
	s_delay_alu instid0(VALU_DEP_2) | instskip(NEXT) | instid1(VALU_DEP_2)
	v_lshrrev_b64 v[18:19], 20, v[18:19]
	v_cmp_gt_i32_e32 vcc_lo, 16, v22
	v_min_i32_e32 v23, 15, v22
	v_cmp_eq_u32_e64 s7, 0, v22
	s_delay_alu instid0(VALU_DEP_4) | instskip(NEXT) | instid1(VALU_DEP_3)
	v_cndmask_b32_e32 v19, 0, v19, vcc_lo
	v_dual_cndmask_b32 v18, 7, v18 :: v_dual_lshlrev_b32 v23, 3, v23
	s_delay_alu instid0(VALU_DEP_1) | instskip(NEXT) | instid1(VALU_DEP_2)
	v_and_b32_e32 v23, 0xf8, v23
	v_cmp_eq_u64_e32 vcc_lo, 0, v[18:19]
	s_delay_alu instid0(VALU_DEP_2)
	v_and_or_b32 v18, v18, 7, v23
	s_and_b32 s7, s7, vcc_lo
	s_delay_alu instid0(VALU_DEP_1) | instid1(SALU_CYCLE_1)
	v_cndmask_b32_e64 v18, v18, 0, s7
	s_delay_alu instid0(VALU_DEP_1)
	v_or_b32_e32 v112, v18, v113
.LBB4_2676:                             ;   in Loop: Header=BB4_2406 Depth=2
	s_or_b32 exec_lo, exec_lo, s28
                                        ; implicit-def: $vgpr113
.LBB4_2677:                             ;   in Loop: Header=BB4_2406 Depth=2
	s_and_not1_saveexec_b32 s7, s27
; %bb.2678:                             ;   in Loop: Header=BB4_2406 Depth=2
	v_or_b32_e32 v112, 0x7e, v113
; %bb.2679:                             ;   in Loop: Header=BB4_2406 Depth=2
	s_or_b32 exec_lo, exec_lo, s7
                                        ; implicit-def: $vgpr19
.LBB4_2680:                             ;   in Loop: Header=BB4_2406 Depth=2
	s_and_not1_saveexec_b32 s7, s26
; %bb.2681:                             ;   in Loop: Header=BB4_2406 Depth=2
	v_or_b32_e32 v112, 0x7f, v19
; %bb.2682:                             ;   in Loop: Header=BB4_2406 Depth=2
	s_or_b32 exec_lo, exec_lo, s7
	v_lshrrev_b16 v22, 8, v24
	v_dual_mov_b32 v18, 0 :: v_dual_mov_b32 v19, 0
	s_mov_b32 s7, exec_lo
	s_delay_alu instid0(VALU_DEP_2)
	v_cmpx_ne_u16_e32 0, v22
	s_cbranch_execz .LBB4_2690
; %bb.2683:                             ;   in Loop: Header=BB4_2406 Depth=2
	v_bfrev_b32_e32 v19, 1
	s_mov_b32 s26, exec_lo
	v_cmpx_ne_u16_e32 0x80, v22
	s_cbranch_execz .LBB4_2689
; %bb.2684:                             ;   in Loop: Header=BB4_2406 Depth=2
	v_and_b32_e32 v23, 0xffff, v22
	v_mov_b32_e32 v19, 0x7f800001
	s_mov_b32 s27, exec_lo
	s_delay_alu instid0(VALU_DEP_2) | instskip(NEXT) | instid1(VALU_DEP_1)
	v_and_b32_e32 v22, 0x7f, v23
	v_cmpx_ne_u32_e32 0x7f, v22
	s_cbranch_execz .LBB4_2688
; %bb.2685:                             ;   in Loop: Header=BB4_2406 Depth=2
	v_dual_lshrrev_b32 v19, 3, v22 :: v_dual_bitop2_b32 v54, 7, v23 bitop3:0x40
	s_mov_b32 s28, exec_lo
	v_cmpx_gt_u32_e32 8, v22
; %bb.2686:                             ;   in Loop: Header=BB4_2406 Depth=2
	s_delay_alu instid0(VALU_DEP_2) | instskip(NEXT) | instid1(VALU_DEP_1)
	v_clz_i32_u32_e32 v19, v54
	v_min_u32_e32 v19, 32, v19
	s_delay_alu instid0(VALU_DEP_1) | instskip(NEXT) | instid1(VALU_DEP_1)
	v_subrev_nc_u32_e32 v22, 28, v19
	v_lshlrev_b64_e32 v[22:23], v22, v[54:55]
	s_delay_alu instid0(VALU_DEP_1)
	v_dual_sub_nc_u32 v19, 29, v19 :: v_dual_bitop2_b32 v54, 7, v22 bitop3:0x40
; %bb.2687:                             ;   in Loop: Header=BB4_2406 Depth=2
	s_or_b32 exec_lo, exec_lo, s28
	s_delay_alu instid0(VALU_DEP_1) | instskip(NEXT) | instid1(VALU_DEP_2)
	v_dual_lshlrev_b32 v22, 16, v24 :: v_dual_lshlrev_b32 v23, 20, v54
	v_lshl_add_u32 v19, v19, 23, 0x3c000000
	s_delay_alu instid0(VALU_DEP_2) | instskip(NEXT) | instid1(VALU_DEP_1)
	v_and_b32_e32 v22, 0x80000000, v22
	v_or3_b32 v19, v23, v22, v19
.LBB4_2688:                             ;   in Loop: Header=BB4_2406 Depth=2
	s_or_b32 exec_lo, exec_lo, s27
.LBB4_2689:                             ;   in Loop: Header=BB4_2406 Depth=2
	s_delay_alu instid0(SALU_CYCLE_1)
	s_or_b32 exec_lo, exec_lo, s26
.LBB4_2690:                             ;   in Loop: Header=BB4_2406 Depth=2
	s_delay_alu instid0(SALU_CYCLE_1) | instskip(SKIP_2) | instid1(VALU_DEP_1)
	s_or_b32 exec_lo, exec_lo, s7
	v_lshrrev_b16 v22, 8, v20
	s_mov_b32 s7, exec_lo
	v_cmpx_ne_u16_e32 0, v22
	s_cbranch_execz .LBB4_2698
; %bb.2691:                             ;   in Loop: Header=BB4_2406 Depth=2
	v_bfrev_b32_e32 v18, 1
	s_mov_b32 s26, exec_lo
	v_cmpx_ne_u16_e32 0x80, v22
	s_cbranch_execz .LBB4_2697
; %bb.2692:                             ;   in Loop: Header=BB4_2406 Depth=2
	v_and_b32_e32 v23, 0xffff, v22
	v_mov_b32_e32 v18, 0x7f800001
	s_mov_b32 s27, exec_lo
	s_delay_alu instid0(VALU_DEP_2) | instskip(NEXT) | instid1(VALU_DEP_1)
	v_and_b32_e32 v22, 0x7f, v23
	v_cmpx_ne_u32_e32 0x7f, v22
	s_cbranch_execz .LBB4_2696
; %bb.2693:                             ;   in Loop: Header=BB4_2406 Depth=2
	v_dual_lshrrev_b32 v18, 3, v22 :: v_dual_bitop2_b32 v54, 7, v23 bitop3:0x40
	s_mov_b32 s28, exec_lo
	v_cmpx_gt_u32_e32 8, v22
; %bb.2694:                             ;   in Loop: Header=BB4_2406 Depth=2
	s_delay_alu instid0(VALU_DEP_2) | instskip(NEXT) | instid1(VALU_DEP_1)
	v_clz_i32_u32_e32 v18, v54
	v_min_u32_e32 v18, 32, v18
	s_delay_alu instid0(VALU_DEP_1) | instskip(SKIP_1) | instid1(VALU_DEP_2)
	v_subrev_nc_u32_e32 v22, 28, v18
	v_sub_nc_u32_e32 v18, 29, v18
	v_lshlrev_b64_e32 v[22:23], v22, v[54:55]
	s_delay_alu instid0(VALU_DEP_1)
	v_and_b32_e32 v54, 7, v22
; %bb.2695:                             ;   in Loop: Header=BB4_2406 Depth=2
	s_or_b32 exec_lo, exec_lo, s28
	s_delay_alu instid0(VALU_DEP_1) | instskip(SKIP_1) | instid1(VALU_DEP_2)
	v_dual_lshlrev_b32 v22, 16, v20 :: v_dual_lshlrev_b32 v23, 20, v54
	v_lshl_add_u32 v18, v18, 23, 0x3c000000
	v_and_b32_e32 v22, 0x80000000, v22
	s_delay_alu instid0(VALU_DEP_1)
	v_or3_b32 v18, v23, v22, v18
.LBB4_2696:                             ;   in Loop: Header=BB4_2406 Depth=2
	s_or_b32 exec_lo, exec_lo, s27
.LBB4_2697:                             ;   in Loop: Header=BB4_2406 Depth=2
	s_delay_alu instid0(SALU_CYCLE_1)
	s_or_b32 exec_lo, exec_lo, s26
.LBB4_2698:                             ;   in Loop: Header=BB4_2406 Depth=2
	s_delay_alu instid0(SALU_CYCLE_1) | instskip(NEXT) | instid1(VALU_DEP_1)
	s_or_b32 exec_lo, exec_lo, s7
	v_mul_f32_e32 v18, v19, v18
                                        ; implicit-def: $vgpr113
	s_mov_b32 s7, exec_lo
	s_delay_alu instid0(VALU_DEP_1) | instskip(SKIP_1) | instid1(VALU_DEP_2)
	v_and_b32_e32 v54, 0x7f800000, v18
	v_lshrrev_b32_e32 v19, 24, v18
	v_cmpx_ne_u64_e32 0x7f800000, v[54:55]
	s_xor_b32 s26, exec_lo, s7
	s_cbranch_execz .LBB4_2712
; %bb.2699:                             ;   in Loop: Header=BB4_2406 Depth=2
	v_and_b32_e32 v54, 0x7fffffff, v18
	v_and_b32_e32 v47, 0x80, v19
                                        ; implicit-def: $vgpr113
	s_mov_b32 s7, exec_lo
	s_delay_alu instid0(VALU_DEP_2)
	v_cmpx_gt_u64_e32 0x43e00001, v[54:55]
	s_xor_b32 s27, exec_lo, s7
	s_cbranch_execz .LBB4_2709
; %bb.2700:                             ;   in Loop: Header=BB4_2406 Depth=2
	v_mov_b32_e32 v113, 0
	s_mov_b32 s28, exec_lo
	v_cmpx_ne_u32_e32 0, v18
	s_cbranch_execz .LBB4_2708
; %bb.2701:                             ;   in Loop: Header=BB4_2406 Depth=2
	v_bfe_u32 v113, v18, 23, 8
	v_and_b32_e32 v22, 0x7fffff, v18
	s_delay_alu instid0(VALU_DEP_2) | instskip(NEXT) | instid1(VALU_DEP_2)
	v_cmp_gt_u32_e32 vcc_lo, 0x7a, v113
	v_or_b32_e32 v23, 0x800000, v22
	v_sub_nc_u32_e32 v19, 0x79, v113
	s_delay_alu instid0(VALU_DEP_1) | instskip(SKIP_1) | instid1(VALU_DEP_2)
	v_cndmask_b32_e32 v19, 0, v19, vcc_lo
	v_cmp_eq_u32_e32 vcc_lo, 0, v113
	v_cndmask_b32_e64 v56, v19, 0x78, vcc_lo
	s_delay_alu instid0(VALU_DEP_1) | instskip(SKIP_1) | instid1(VALU_DEP_2)
	v_dual_cndmask_b32 v54, v23, v22, vcc_lo :: v_dual_add_nc_u32 v18, 20, v56
	v_add_nc_u32_e32 v57, 19, v56
	v_lshlrev_b64_e64 v[18:19], v18, -1
	s_delay_alu instid0(VALU_DEP_2) | instskip(NEXT) | instid1(VALU_DEP_2)
	v_lshlrev_b64_e64 v[22:23], v57, 1
	v_bfi_b32 v59, v19, 0, 0
	s_delay_alu instid0(VALU_DEP_3) | instskip(SKIP_1) | instid1(VALU_DEP_2)
	v_bfi_b32 v58, v18, 0, v54
	v_lshrrev_b64 v[18:19], v56, v[54:55]
	v_cmp_eq_u64_e64 s7, v[58:59], v[22:23]
	s_delay_alu instid0(VALU_DEP_2)
	v_mov_b64_e32 v[22:23], v[18:19]
	s_and_saveexec_b32 s29, s7
; %bb.2702:                             ;   in Loop: Header=BB4_2406 Depth=2
	v_bfe_u32 v54, v18, 20, 1
	s_delay_alu instid0(VALU_DEP_1) | instskip(NEXT) | instid1(VALU_DEP_1)
	v_add_nc_u64_e32 v[22:23], v[18:19], v[54:55]
	v_add_nc_u64_e32 v[22:23], -1, v[22:23]
; %bb.2703:                             ;   in Loop: Header=BB4_2406 Depth=2
	s_or_b32 exec_lo, exec_lo, s29
	v_add_nc_u32_e32 v19, 0xffffff81, v113
	v_lshrrev_b32_e32 v23, 23, v18
	s_mov_b32 s7, exec_lo
	s_delay_alu instid0(VALU_DEP_2) | instskip(NEXT) | instid1(VALU_DEP_1)
	v_cndmask_b32_e64 v19, v19, 0xffffff82, vcc_lo
	v_add3_u32 v23, v56, v19, v23
	v_and_b32_e32 v19, 0xfffff, v22
                                        ; implicit-def: $vgpr22
	s_delay_alu instid0(VALU_DEP_1) | instskip(NEXT) | instid1(VALU_DEP_1)
	v_dual_add_nc_u32 v113, 6, v23 :: v_dual_add_nc_u32 v54, v19, v18
                                        ; implicit-def: $vgpr18_vgpr19
	v_cmpx_ne_u32_e32 0, v113
	s_xor_b32 s7, exec_lo, s7
; %bb.2704:                             ;   in Loop: Header=BB4_2406 Depth=2
	s_delay_alu instid0(VALU_DEP_2) | instskip(SKIP_1) | instid1(VALU_DEP_1)
	v_cmp_lt_u64_e32 vcc_lo, 0xffffff, v[54:55]
	v_add_nc_u32_e32 v18, 7, v23
	v_cndmask_b32_e32 v22, v113, v18, vcc_lo
	v_cndmask_b32_e64 v18, 0, 1, vcc_lo
	s_delay_alu instid0(VALU_DEP_1)
	v_lshrrev_b64 v[18:19], v18, v[54:55]
; %bb.2705:                             ;   in Loop: Header=BB4_2406 Depth=2
	s_and_not1_saveexec_b32 s7, s7
; %bb.2706:                             ;   in Loop: Header=BB4_2406 Depth=2
	v_mov_b64_e32 v[18:19], v[54:55]
	v_bfe_u32 v22, v54, 23, 1
; %bb.2707:                             ;   in Loop: Header=BB4_2406 Depth=2
	s_or_b32 exec_lo, exec_lo, s7
	s_delay_alu instid0(VALU_DEP_2) | instskip(NEXT) | instid1(VALU_DEP_2)
	v_lshrrev_b64 v[18:19], 20, v[18:19]
	v_cmp_gt_i32_e32 vcc_lo, 16, v22
	v_min_i32_e32 v23, 15, v22
	v_cmp_eq_u32_e64 s7, 0, v22
	s_delay_alu instid0(VALU_DEP_4) | instskip(NEXT) | instid1(VALU_DEP_3)
	v_cndmask_b32_e32 v19, 0, v19, vcc_lo
	v_dual_cndmask_b32 v18, 7, v18 :: v_dual_lshlrev_b32 v23, 3, v23
	s_delay_alu instid0(VALU_DEP_1) | instskip(NEXT) | instid1(VALU_DEP_2)
	v_and_b32_e32 v23, 0xf8, v23
	v_cmp_eq_u64_e32 vcc_lo, 0, v[18:19]
	s_delay_alu instid0(VALU_DEP_2)
	v_and_or_b32 v18, v18, 7, v23
	s_and_b32 s7, s7, vcc_lo
	s_delay_alu instid0(VALU_DEP_1) | instid1(SALU_CYCLE_1)
	v_cndmask_b32_e64 v18, v18, 0, s7
	s_delay_alu instid0(VALU_DEP_1)
	v_or_b32_e32 v113, v18, v47
.LBB4_2708:                             ;   in Loop: Header=BB4_2406 Depth=2
	s_or_b32 exec_lo, exec_lo, s28
                                        ; implicit-def: $vgpr47
.LBB4_2709:                             ;   in Loop: Header=BB4_2406 Depth=2
	s_and_not1_saveexec_b32 s7, s27
; %bb.2710:                             ;   in Loop: Header=BB4_2406 Depth=2
	v_or_b32_e32 v113, 0x7e, v47
; %bb.2711:                             ;   in Loop: Header=BB4_2406 Depth=2
	s_or_b32 exec_lo, exec_lo, s7
                                        ; implicit-def: $vgpr19
.LBB4_2712:                             ;   in Loop: Header=BB4_2406 Depth=2
	s_and_not1_saveexec_b32 s7, s26
; %bb.2713:                             ;   in Loop: Header=BB4_2406 Depth=2
	v_or_b32_e32 v113, 0x7f, v19
; %bb.2714:                             ;   in Loop: Header=BB4_2406 Depth=2
	s_or_b32 exec_lo, exec_lo, s7
	v_dual_lshrrev_b32 v22, 16, v24 :: v_dual_mov_b32 v18, 0
	v_mov_b32_e32 v19, 0
	s_mov_b32 s7, exec_lo
	s_delay_alu instid0(VALU_DEP_2) | instskip(NEXT) | instid1(VALU_DEP_1)
	v_and_b32_e32 v23, 0xff, v22
	v_cmpx_ne_u16_e32 0, v23
	s_cbranch_execz .LBB4_2722
; %bb.2715:                             ;   in Loop: Header=BB4_2406 Depth=2
	v_bfrev_b32_e32 v19, 1
	s_mov_b32 s26, exec_lo
	v_cmpx_ne_u16_e32 0x80, v23
	s_cbranch_execz .LBB4_2721
; %bb.2716:                             ;   in Loop: Header=BB4_2406 Depth=2
	v_bfe_u32 v23, v24, 16, 7
	v_mov_b32_e32 v19, 0x7f800001
	s_mov_b32 s27, exec_lo
	s_delay_alu instid0(VALU_DEP_2)
	v_cmpx_ne_u32_e32 0x7f, v23
	s_cbranch_execz .LBB4_2720
; %bb.2717:                             ;   in Loop: Header=BB4_2406 Depth=2
	v_dual_lshrrev_b32 v19, 3, v23 :: v_dual_bitop2_b32 v54, 7, v22 bitop3:0x40
	s_mov_b32 s28, exec_lo
	v_cmpx_gt_u32_e32 8, v23
; %bb.2718:                             ;   in Loop: Header=BB4_2406 Depth=2
	s_delay_alu instid0(VALU_DEP_2) | instskip(NEXT) | instid1(VALU_DEP_1)
	v_clz_i32_u32_e32 v19, v54
	v_min_u32_e32 v19, 32, v19
	s_delay_alu instid0(VALU_DEP_1) | instskip(NEXT) | instid1(VALU_DEP_1)
	v_subrev_nc_u32_e32 v23, 28, v19
	v_lshlrev_b64_e32 v[56:57], v23, v[54:55]
	s_delay_alu instid0(VALU_DEP_1)
	v_dual_sub_nc_u32 v19, 29, v19 :: v_dual_bitop2_b32 v54, 7, v56 bitop3:0x40
; %bb.2719:                             ;   in Loop: Header=BB4_2406 Depth=2
	s_or_b32 exec_lo, exec_lo, s28
	v_lshlrev_b32_e32 v22, 24, v22
	s_delay_alu instid0(VALU_DEP_2) | instskip(NEXT) | instid1(VALU_DEP_3)
	v_lshlrev_b32_e32 v23, 20, v54
	v_lshl_add_u32 v19, v19, 23, 0x3c000000
	s_delay_alu instid0(VALU_DEP_3) | instskip(NEXT) | instid1(VALU_DEP_1)
	v_and_b32_e32 v22, 0x80000000, v22
	v_or3_b32 v19, v23, v22, v19
.LBB4_2720:                             ;   in Loop: Header=BB4_2406 Depth=2
	s_or_b32 exec_lo, exec_lo, s27
.LBB4_2721:                             ;   in Loop: Header=BB4_2406 Depth=2
	s_delay_alu instid0(SALU_CYCLE_1)
	s_or_b32 exec_lo, exec_lo, s26
.LBB4_2722:                             ;   in Loop: Header=BB4_2406 Depth=2
	s_delay_alu instid0(SALU_CYCLE_1) | instskip(SKIP_2) | instid1(VALU_DEP_1)
	s_or_b32 exec_lo, exec_lo, s7
	v_lshrrev_b32_e32 v22, 16, v20
	s_mov_b32 s7, exec_lo
	v_and_b32_e32 v23, 0xff, v22
	s_delay_alu instid0(VALU_DEP_1)
	v_cmpx_ne_u16_e32 0, v23
	s_cbranch_execz .LBB4_2730
; %bb.2723:                             ;   in Loop: Header=BB4_2406 Depth=2
	v_bfrev_b32_e32 v18, 1
	s_mov_b32 s26, exec_lo
	v_cmpx_ne_u16_e32 0x80, v23
	s_cbranch_execz .LBB4_2729
; %bb.2724:                             ;   in Loop: Header=BB4_2406 Depth=2
	v_bfe_u32 v23, v20, 16, 7
	v_mov_b32_e32 v18, 0x7f800001
	s_mov_b32 s27, exec_lo
	s_delay_alu instid0(VALU_DEP_2)
	v_cmpx_ne_u32_e32 0x7f, v23
	s_cbranch_execz .LBB4_2728
; %bb.2725:                             ;   in Loop: Header=BB4_2406 Depth=2
	v_dual_lshrrev_b32 v18, 3, v23 :: v_dual_bitop2_b32 v54, 7, v22 bitop3:0x40
	s_mov_b32 s28, exec_lo
	v_cmpx_gt_u32_e32 8, v23
; %bb.2726:                             ;   in Loop: Header=BB4_2406 Depth=2
	s_delay_alu instid0(VALU_DEP_2) | instskip(NEXT) | instid1(VALU_DEP_1)
	v_clz_i32_u32_e32 v18, v54
	v_min_u32_e32 v18, 32, v18
	s_delay_alu instid0(VALU_DEP_1) | instskip(SKIP_1) | instid1(VALU_DEP_2)
	v_subrev_nc_u32_e32 v22, 28, v18
	v_sub_nc_u32_e32 v18, 29, v18
	v_lshlrev_b64_e32 v[22:23], v22, v[54:55]
	s_delay_alu instid0(VALU_DEP_1)
	v_and_b32_e32 v54, 7, v22
; %bb.2727:                             ;   in Loop: Header=BB4_2406 Depth=2
	s_or_b32 exec_lo, exec_lo, s28
	s_delay_alu instid0(VALU_DEP_1) | instskip(SKIP_1) | instid1(VALU_DEP_2)
	v_dual_lshlrev_b32 v22, 8, v20 :: v_dual_lshlrev_b32 v23, 20, v54
	v_lshl_add_u32 v18, v18, 23, 0x3c000000
	v_and_b32_e32 v22, 0x80000000, v22
	s_delay_alu instid0(VALU_DEP_1)
	v_or3_b32 v18, v23, v22, v18
.LBB4_2728:                             ;   in Loop: Header=BB4_2406 Depth=2
	s_or_b32 exec_lo, exec_lo, s27
.LBB4_2729:                             ;   in Loop: Header=BB4_2406 Depth=2
	s_delay_alu instid0(SALU_CYCLE_1)
	s_or_b32 exec_lo, exec_lo, s26
.LBB4_2730:                             ;   in Loop: Header=BB4_2406 Depth=2
	s_delay_alu instid0(SALU_CYCLE_1) | instskip(NEXT) | instid1(VALU_DEP_1)
	s_or_b32 exec_lo, exec_lo, s7
	v_mul_f32_e32 v18, v19, v18
                                        ; implicit-def: $vgpr47
	s_mov_b32 s7, exec_lo
	s_delay_alu instid0(VALU_DEP_1) | instskip(SKIP_1) | instid1(VALU_DEP_2)
	v_and_b32_e32 v54, 0x7f800000, v18
	v_lshrrev_b32_e32 v19, 24, v18
	v_cmpx_ne_u64_e32 0x7f800000, v[54:55]
	s_xor_b32 s26, exec_lo, s7
	s_cbranch_execz .LBB4_2744
; %bb.2731:                             ;   in Loop: Header=BB4_2406 Depth=2
	v_and_b32_e32 v54, 0x7fffffff, v18
	v_and_b32_e32 v56, 0x80, v19
                                        ; implicit-def: $vgpr47
	s_mov_b32 s7, exec_lo
	s_delay_alu instid0(VALU_DEP_2)
	v_cmpx_gt_u64_e32 0x43e00001, v[54:55]
	s_xor_b32 s27, exec_lo, s7
	s_cbranch_execz .LBB4_2741
; %bb.2732:                             ;   in Loop: Header=BB4_2406 Depth=2
	v_mov_b32_e32 v47, 0
	s_mov_b32 s28, exec_lo
	v_cmpx_ne_u32_e32 0, v18
	s_cbranch_execz .LBB4_2740
; %bb.2733:                             ;   in Loop: Header=BB4_2406 Depth=2
	v_bfe_u32 v47, v18, 23, 8
	v_and_b32_e32 v22, 0x7fffff, v18
	s_delay_alu instid0(VALU_DEP_2) | instskip(NEXT) | instid1(VALU_DEP_2)
	v_cmp_gt_u32_e32 vcc_lo, 0x7a, v47
	v_or_b32_e32 v23, 0x800000, v22
	v_sub_nc_u32_e32 v19, 0x79, v47
	s_delay_alu instid0(VALU_DEP_1) | instskip(SKIP_1) | instid1(VALU_DEP_2)
	v_cndmask_b32_e32 v19, 0, v19, vcc_lo
	v_cmp_eq_u32_e32 vcc_lo, 0, v47
	v_cndmask_b32_e64 v57, v19, 0x78, vcc_lo
	s_delay_alu instid0(VALU_DEP_1) | instskip(SKIP_1) | instid1(VALU_DEP_2)
	v_dual_cndmask_b32 v54, v23, v22, vcc_lo :: v_dual_add_nc_u32 v18, 20, v57
	v_add_nc_u32_e32 v58, 19, v57
	v_lshlrev_b64_e64 v[18:19], v18, -1
	s_delay_alu instid0(VALU_DEP_2) | instskip(NEXT) | instid1(VALU_DEP_2)
	v_lshlrev_b64_e64 v[22:23], v58, 1
	v_bfi_b32 v59, v19, 0, 0
	s_delay_alu instid0(VALU_DEP_3) | instskip(SKIP_1) | instid1(VALU_DEP_2)
	v_bfi_b32 v58, v18, 0, v54
	v_lshrrev_b64 v[18:19], v57, v[54:55]
	v_cmp_eq_u64_e64 s7, v[58:59], v[22:23]
	s_delay_alu instid0(VALU_DEP_2)
	v_mov_b64_e32 v[22:23], v[18:19]
	s_and_saveexec_b32 s29, s7
; %bb.2734:                             ;   in Loop: Header=BB4_2406 Depth=2
	v_bfe_u32 v54, v18, 20, 1
	s_delay_alu instid0(VALU_DEP_1) | instskip(NEXT) | instid1(VALU_DEP_1)
	v_add_nc_u64_e32 v[22:23], v[18:19], v[54:55]
	v_add_nc_u64_e32 v[22:23], -1, v[22:23]
; %bb.2735:                             ;   in Loop: Header=BB4_2406 Depth=2
	s_or_b32 exec_lo, exec_lo, s29
	v_add_nc_u32_e32 v19, 0xffffff81, v47
	v_lshrrev_b32_e32 v23, 23, v18
	s_mov_b32 s7, exec_lo
	s_delay_alu instid0(VALU_DEP_2) | instskip(NEXT) | instid1(VALU_DEP_1)
	v_cndmask_b32_e64 v19, v19, 0xffffff82, vcc_lo
	v_add3_u32 v23, v57, v19, v23
	v_and_b32_e32 v19, 0xfffff, v22
                                        ; implicit-def: $vgpr22
	s_delay_alu instid0(VALU_DEP_1) | instskip(NEXT) | instid1(VALU_DEP_1)
	v_dual_add_nc_u32 v47, 6, v23 :: v_dual_add_nc_u32 v54, v19, v18
                                        ; implicit-def: $vgpr18_vgpr19
	v_cmpx_ne_u32_e32 0, v47
	s_xor_b32 s7, exec_lo, s7
; %bb.2736:                             ;   in Loop: Header=BB4_2406 Depth=2
	s_delay_alu instid0(VALU_DEP_2) | instskip(SKIP_1) | instid1(VALU_DEP_1)
	v_cmp_lt_u64_e32 vcc_lo, 0xffffff, v[54:55]
	v_add_nc_u32_e32 v18, 7, v23
	v_cndmask_b32_e32 v22, v47, v18, vcc_lo
	v_cndmask_b32_e64 v18, 0, 1, vcc_lo
	s_delay_alu instid0(VALU_DEP_1)
	v_lshrrev_b64 v[18:19], v18, v[54:55]
; %bb.2737:                             ;   in Loop: Header=BB4_2406 Depth=2
	s_and_not1_saveexec_b32 s7, s7
; %bb.2738:                             ;   in Loop: Header=BB4_2406 Depth=2
	v_mov_b64_e32 v[18:19], v[54:55]
	v_bfe_u32 v22, v54, 23, 1
; %bb.2739:                             ;   in Loop: Header=BB4_2406 Depth=2
	s_or_b32 exec_lo, exec_lo, s7
	s_delay_alu instid0(VALU_DEP_2) | instskip(NEXT) | instid1(VALU_DEP_2)
	v_lshrrev_b64 v[18:19], 20, v[18:19]
	v_cmp_gt_i32_e32 vcc_lo, 16, v22
	v_min_i32_e32 v23, 15, v22
	v_cmp_eq_u32_e64 s7, 0, v22
	s_delay_alu instid0(VALU_DEP_4) | instskip(NEXT) | instid1(VALU_DEP_3)
	v_cndmask_b32_e32 v19, 0, v19, vcc_lo
	v_dual_cndmask_b32 v18, 7, v18 :: v_dual_lshlrev_b32 v23, 3, v23
	s_delay_alu instid0(VALU_DEP_1) | instskip(NEXT) | instid1(VALU_DEP_2)
	v_and_b32_e32 v23, 0xf8, v23
	v_cmp_eq_u64_e32 vcc_lo, 0, v[18:19]
	s_delay_alu instid0(VALU_DEP_2)
	v_and_or_b32 v18, v18, 7, v23
	s_and_b32 s7, s7, vcc_lo
	s_delay_alu instid0(VALU_DEP_1) | instid1(SALU_CYCLE_1)
	v_cndmask_b32_e64 v18, v18, 0, s7
	s_delay_alu instid0(VALU_DEP_1)
	v_or_b32_e32 v47, v18, v56
.LBB4_2740:                             ;   in Loop: Header=BB4_2406 Depth=2
	s_or_b32 exec_lo, exec_lo, s28
                                        ; implicit-def: $vgpr56
.LBB4_2741:                             ;   in Loop: Header=BB4_2406 Depth=2
	s_and_not1_saveexec_b32 s7, s27
; %bb.2742:                             ;   in Loop: Header=BB4_2406 Depth=2
	v_or_b32_e32 v47, 0x7e, v56
; %bb.2743:                             ;   in Loop: Header=BB4_2406 Depth=2
	s_or_b32 exec_lo, exec_lo, s7
                                        ; implicit-def: $vgpr19
.LBB4_2744:                             ;   in Loop: Header=BB4_2406 Depth=2
	s_and_not1_saveexec_b32 s7, s26
; %bb.2745:                             ;   in Loop: Header=BB4_2406 Depth=2
	v_or_b32_e32 v47, 0x7f, v19
; %bb.2746:                             ;   in Loop: Header=BB4_2406 Depth=2
	s_or_b32 exec_lo, exec_lo, s7
	v_dual_mov_b32 v18, 0 :: v_dual_mov_b32 v19, 0
	s_mov_b32 s7, exec_lo
	v_cmpx_lt_u32_e32 0xffffff, v24
	s_cbranch_execz .LBB4_2754
; %bb.2747:                             ;   in Loop: Header=BB4_2406 Depth=2
	v_lshrrev_b32_e32 v22, 24, v24
	v_bfrev_b32_e32 v19, 1
	s_mov_b32 s26, exec_lo
	s_delay_alu instid0(VALU_DEP_2)
	v_cmpx_ne_u32_e32 0x80, v22
	s_cbranch_execz .LBB4_2753
; %bb.2748:                             ;   in Loop: Header=BB4_2406 Depth=2
	v_bfe_u32 v23, v24, 24, 7
	v_mov_b32_e32 v19, 0x7f800001
	s_mov_b32 s27, exec_lo
	s_delay_alu instid0(VALU_DEP_2)
	v_cmpx_ne_u32_e32 0x7f, v23
	s_cbranch_execz .LBB4_2752
; %bb.2749:                             ;   in Loop: Header=BB4_2406 Depth=2
	v_dual_lshrrev_b32 v19, 3, v23 :: v_dual_bitop2_b32 v54, 7, v22 bitop3:0x40
	s_mov_b32 s28, exec_lo
	v_cmpx_gt_u32_e32 8, v23
; %bb.2750:                             ;   in Loop: Header=BB4_2406 Depth=2
	s_delay_alu instid0(VALU_DEP_2) | instskip(NEXT) | instid1(VALU_DEP_1)
	v_clz_i32_u32_e32 v19, v54
	v_min_u32_e32 v19, 32, v19
	s_delay_alu instid0(VALU_DEP_1) | instskip(NEXT) | instid1(VALU_DEP_1)
	v_subrev_nc_u32_e32 v23, 28, v19
	v_lshlrev_b64_e32 v[56:57], v23, v[54:55]
	s_delay_alu instid0(VALU_DEP_1)
	v_dual_sub_nc_u32 v19, 29, v19 :: v_dual_bitop2_b32 v54, 7, v56 bitop3:0x40
; %bb.2751:                             ;   in Loop: Header=BB4_2406 Depth=2
	s_or_b32 exec_lo, exec_lo, s28
	v_lshlrev_b32_e32 v22, 24, v22
	s_delay_alu instid0(VALU_DEP_2) | instskip(NEXT) | instid1(VALU_DEP_3)
	v_lshlrev_b32_e32 v23, 20, v54
	v_lshl_add_u32 v19, v19, 23, 0x3c000000
	s_delay_alu instid0(VALU_DEP_3) | instskip(NEXT) | instid1(VALU_DEP_1)
	v_and_b32_e32 v22, 0x80000000, v22
	v_or3_b32 v19, v23, v22, v19
.LBB4_2752:                             ;   in Loop: Header=BB4_2406 Depth=2
	s_or_b32 exec_lo, exec_lo, s27
.LBB4_2753:                             ;   in Loop: Header=BB4_2406 Depth=2
	s_delay_alu instid0(SALU_CYCLE_1)
	s_or_b32 exec_lo, exec_lo, s26
.LBB4_2754:                             ;   in Loop: Header=BB4_2406 Depth=2
	s_delay_alu instid0(SALU_CYCLE_1) | instskip(NEXT) | instid1(SALU_CYCLE_1)
	s_or_b32 exec_lo, exec_lo, s7
	s_mov_b32 s7, exec_lo
	v_cmpx_lt_u32_e32 0xffffff, v20
	s_cbranch_execz .LBB4_2762
; %bb.2755:                             ;   in Loop: Header=BB4_2406 Depth=2
	v_lshrrev_b32_e32 v22, 24, v20
	v_bfrev_b32_e32 v18, 1
	s_mov_b32 s26, exec_lo
	s_delay_alu instid0(VALU_DEP_2)
	v_cmpx_ne_u32_e32 0x80, v22
	s_cbranch_execz .LBB4_2761
; %bb.2756:                             ;   in Loop: Header=BB4_2406 Depth=2
	v_bfe_u32 v23, v20, 24, 7
	v_mov_b32_e32 v18, 0x7f800001
	s_mov_b32 s27, exec_lo
	s_delay_alu instid0(VALU_DEP_2)
	v_cmpx_ne_u32_e32 0x7f, v23
	s_cbranch_execz .LBB4_2760
; %bb.2757:                             ;   in Loop: Header=BB4_2406 Depth=2
	v_dual_lshrrev_b32 v18, 3, v23 :: v_dual_bitop2_b32 v54, 7, v22 bitop3:0x40
	s_mov_b32 s28, exec_lo
	v_cmpx_gt_u32_e32 8, v23
; %bb.2758:                             ;   in Loop: Header=BB4_2406 Depth=2
	s_delay_alu instid0(VALU_DEP_2) | instskip(NEXT) | instid1(VALU_DEP_1)
	v_clz_i32_u32_e32 v18, v54
	v_min_u32_e32 v18, 32, v18
	s_delay_alu instid0(VALU_DEP_1) | instskip(NEXT) | instid1(VALU_DEP_1)
	v_subrev_nc_u32_e32 v23, 28, v18
	v_lshlrev_b64_e32 v[56:57], v23, v[54:55]
	s_delay_alu instid0(VALU_DEP_1)
	v_dual_sub_nc_u32 v18, 29, v18 :: v_dual_bitop2_b32 v54, 7, v56 bitop3:0x40
; %bb.2759:                             ;   in Loop: Header=BB4_2406 Depth=2
	s_or_b32 exec_lo, exec_lo, s28
	v_lshlrev_b32_e32 v22, 24, v22
	s_delay_alu instid0(VALU_DEP_2) | instskip(NEXT) | instid1(VALU_DEP_3)
	v_lshlrev_b32_e32 v23, 20, v54
	v_lshl_add_u32 v18, v18, 23, 0x3c000000
	s_delay_alu instid0(VALU_DEP_3) | instskip(NEXT) | instid1(VALU_DEP_1)
	v_and_b32_e32 v22, 0x80000000, v22
	v_or3_b32 v18, v23, v22, v18
.LBB4_2760:                             ;   in Loop: Header=BB4_2406 Depth=2
	s_or_b32 exec_lo, exec_lo, s27
.LBB4_2761:                             ;   in Loop: Header=BB4_2406 Depth=2
	s_delay_alu instid0(SALU_CYCLE_1)
	s_or_b32 exec_lo, exec_lo, s26
.LBB4_2762:                             ;   in Loop: Header=BB4_2406 Depth=2
	s_delay_alu instid0(SALU_CYCLE_1) | instskip(NEXT) | instid1(VALU_DEP_1)
	s_or_b32 exec_lo, exec_lo, s7
	v_mul_f32_e32 v18, v19, v18
                                        ; implicit-def: $vgpr56
	s_mov_b32 s7, exec_lo
	s_delay_alu instid0(VALU_DEP_1) | instskip(SKIP_1) | instid1(VALU_DEP_2)
	v_and_b32_e32 v54, 0x7f800000, v18
	v_lshrrev_b32_e32 v19, 24, v18
	v_cmpx_ne_u64_e32 0x7f800000, v[54:55]
	s_xor_b32 s26, exec_lo, s7
	s_cbranch_execz .LBB4_2776
; %bb.2763:                             ;   in Loop: Header=BB4_2406 Depth=2
	v_and_b32_e32 v54, 0x7fffffff, v18
	v_and_b32_e32 v57, 0x80, v19
                                        ; implicit-def: $vgpr56
	s_mov_b32 s7, exec_lo
	s_delay_alu instid0(VALU_DEP_2)
	v_cmpx_gt_u64_e32 0x43e00001, v[54:55]
	s_xor_b32 s27, exec_lo, s7
	s_cbranch_execz .LBB4_2773
; %bb.2764:                             ;   in Loop: Header=BB4_2406 Depth=2
	v_mov_b32_e32 v56, 0
	s_mov_b32 s28, exec_lo
	v_cmpx_ne_u32_e32 0, v18
	s_cbranch_execz .LBB4_2772
; %bb.2765:                             ;   in Loop: Header=BB4_2406 Depth=2
	v_bfe_u32 v56, v18, 23, 8
	v_and_b32_e32 v22, 0x7fffff, v18
	s_delay_alu instid0(VALU_DEP_2) | instskip(NEXT) | instid1(VALU_DEP_2)
	v_cmp_gt_u32_e32 vcc_lo, 0x7a, v56
	v_or_b32_e32 v23, 0x800000, v22
	v_sub_nc_u32_e32 v19, 0x79, v56
	s_delay_alu instid0(VALU_DEP_1) | instskip(SKIP_1) | instid1(VALU_DEP_2)
	v_cndmask_b32_e32 v19, 0, v19, vcc_lo
	v_cmp_eq_u32_e32 vcc_lo, 0, v56
	v_cndmask_b32_e64 v58, v19, 0x78, vcc_lo
	v_cndmask_b32_e32 v54, v23, v22, vcc_lo
	s_delay_alu instid0(VALU_DEP_2) | instskip(NEXT) | instid1(VALU_DEP_1)
	v_dual_add_nc_u32 v18, 20, v58 :: v_dual_add_nc_u32 v59, 19, v58
	v_lshlrev_b64_e64 v[18:19], v18, -1
	s_delay_alu instid0(VALU_DEP_2) | instskip(NEXT) | instid1(VALU_DEP_2)
	v_lshlrev_b64_e64 v[22:23], v59, 1
	v_bfi_b32 v61, v19, 0, 0
	s_delay_alu instid0(VALU_DEP_3) | instskip(SKIP_1) | instid1(VALU_DEP_2)
	v_bfi_b32 v60, v18, 0, v54
	v_lshrrev_b64 v[18:19], v58, v[54:55]
	v_cmp_eq_u64_e64 s7, v[60:61], v[22:23]
	s_delay_alu instid0(VALU_DEP_2)
	v_mov_b64_e32 v[22:23], v[18:19]
	s_and_saveexec_b32 s29, s7
; %bb.2766:                             ;   in Loop: Header=BB4_2406 Depth=2
	v_bfe_u32 v54, v18, 20, 1
	s_delay_alu instid0(VALU_DEP_1) | instskip(NEXT) | instid1(VALU_DEP_1)
	v_add_nc_u64_e32 v[22:23], v[18:19], v[54:55]
	v_add_nc_u64_e32 v[22:23], -1, v[22:23]
; %bb.2767:                             ;   in Loop: Header=BB4_2406 Depth=2
	s_or_b32 exec_lo, exec_lo, s29
	v_add_nc_u32_e32 v19, 0xffffff81, v56
	v_lshrrev_b32_e32 v23, 23, v18
	s_mov_b32 s7, exec_lo
	s_delay_alu instid0(VALU_DEP_2) | instskip(NEXT) | instid1(VALU_DEP_1)
	v_cndmask_b32_e64 v19, v19, 0xffffff82, vcc_lo
	v_add3_u32 v23, v58, v19, v23
	v_and_b32_e32 v19, 0xfffff, v22
                                        ; implicit-def: $vgpr22
	s_delay_alu instid0(VALU_DEP_1) | instskip(NEXT) | instid1(VALU_DEP_1)
	v_dual_add_nc_u32 v56, 6, v23 :: v_dual_add_nc_u32 v54, v19, v18
                                        ; implicit-def: $vgpr18_vgpr19
	v_cmpx_ne_u32_e32 0, v56
	s_xor_b32 s7, exec_lo, s7
; %bb.2768:                             ;   in Loop: Header=BB4_2406 Depth=2
	s_delay_alu instid0(VALU_DEP_2) | instskip(SKIP_1) | instid1(VALU_DEP_1)
	v_cmp_lt_u64_e32 vcc_lo, 0xffffff, v[54:55]
	v_add_nc_u32_e32 v18, 7, v23
	v_cndmask_b32_e32 v22, v56, v18, vcc_lo
	v_cndmask_b32_e64 v18, 0, 1, vcc_lo
	s_delay_alu instid0(VALU_DEP_1)
	v_lshrrev_b64 v[18:19], v18, v[54:55]
; %bb.2769:                             ;   in Loop: Header=BB4_2406 Depth=2
	s_and_not1_saveexec_b32 s7, s7
; %bb.2770:                             ;   in Loop: Header=BB4_2406 Depth=2
	v_mov_b64_e32 v[18:19], v[54:55]
	v_bfe_u32 v22, v54, 23, 1
; %bb.2771:                             ;   in Loop: Header=BB4_2406 Depth=2
	s_or_b32 exec_lo, exec_lo, s7
	s_delay_alu instid0(VALU_DEP_2) | instskip(NEXT) | instid1(VALU_DEP_2)
	v_lshrrev_b64 v[18:19], 20, v[18:19]
	v_cmp_gt_i32_e32 vcc_lo, 16, v22
	v_min_i32_e32 v23, 15, v22
	v_cmp_eq_u32_e64 s7, 0, v22
	s_delay_alu instid0(VALU_DEP_4) | instskip(NEXT) | instid1(VALU_DEP_3)
	v_cndmask_b32_e32 v19, 0, v19, vcc_lo
	v_dual_cndmask_b32 v18, 7, v18 :: v_dual_lshlrev_b32 v23, 3, v23
	s_delay_alu instid0(VALU_DEP_1) | instskip(NEXT) | instid1(VALU_DEP_2)
	v_and_b32_e32 v23, 0xf8, v23
	v_cmp_eq_u64_e32 vcc_lo, 0, v[18:19]
	s_delay_alu instid0(VALU_DEP_2)
	v_and_or_b32 v18, v18, 7, v23
	s_and_b32 s7, s7, vcc_lo
	s_delay_alu instid0(VALU_DEP_1) | instid1(SALU_CYCLE_1)
	v_cndmask_b32_e64 v18, v18, 0, s7
	s_delay_alu instid0(VALU_DEP_1)
	v_or_b32_e32 v56, v18, v57
.LBB4_2772:                             ;   in Loop: Header=BB4_2406 Depth=2
	s_or_b32 exec_lo, exec_lo, s28
                                        ; implicit-def: $vgpr57
.LBB4_2773:                             ;   in Loop: Header=BB4_2406 Depth=2
	s_and_not1_saveexec_b32 s7, s27
; %bb.2774:                             ;   in Loop: Header=BB4_2406 Depth=2
	v_or_b32_e32 v56, 0x7e, v57
; %bb.2775:                             ;   in Loop: Header=BB4_2406 Depth=2
	s_or_b32 exec_lo, exec_lo, s7
                                        ; implicit-def: $vgpr19
.LBB4_2776:                             ;   in Loop: Header=BB4_2406 Depth=2
	s_and_not1_saveexec_b32 s7, s26
; %bb.2777:                             ;   in Loop: Header=BB4_2406 Depth=2
	v_or_b32_e32 v56, 0x7f, v19
; %bb.2778:                             ;   in Loop: Header=BB4_2406 Depth=2
	s_or_b32 exec_lo, exec_lo, s7
	v_and_b32_e32 v22, 0xff, v25
	v_dual_mov_b32 v54, v25 :: v_dual_mov_b32 v19, 0
	v_mov_b32_e32 v18, 0
	s_mov_b32 s7, exec_lo
	s_delay_alu instid0(VALU_DEP_3)
	v_cmpx_ne_u16_e32 0, v22
	s_cbranch_execz .LBB4_2784
; %bb.2779:                             ;   in Loop: Header=BB4_2406 Depth=2
	v_bfrev_b32_e32 v18, 1
	s_mov_b32 s26, exec_lo
	v_cmpx_ne_u16_e32 0x80, v22
	s_cbranch_execz .LBB4_2783
; %bb.2780:                             ;   in Loop: Header=BB4_2406 Depth=2
	v_and_b32_e32 v22, 0x7f, v25
	v_mov_b32_e32 v18, 0x7f800001
	s_mov_b32 s27, exec_lo
	s_delay_alu instid0(VALU_DEP_2)
	v_cmpx_ne_u32_e32 0x7f, v22
	s_cbranch_execz .LBB4_2782
; %bb.2781:                             ;   in Loop: Header=BB4_2406 Depth=2
	v_dual_lshrrev_b32 v23, 3, v22 :: v_dual_bitop2_b32 v18, 7, v25 bitop3:0x40
	v_cmp_gt_u32_e32 vcc_lo, 8, v22
	s_delay_alu instid0(VALU_DEP_2) | instskip(NEXT) | instid1(VALU_DEP_1)
	v_clz_i32_u32_e32 v18, v18
	v_min_u32_e32 v18, 32, v18
	s_delay_alu instid0(VALU_DEP_1) | instskip(NEXT) | instid1(VALU_DEP_1)
	v_subrev_nc_u32_e32 v57, 28, v18
	v_dual_sub_nc_u32 v18, 29, v18 :: v_dual_cndmask_b32 v22, 0, v57, vcc_lo
	s_delay_alu instid0(VALU_DEP_1) | instskip(NEXT) | instid1(VALU_DEP_2)
	v_cndmask_b32_e32 v18, v23, v18, vcc_lo
	v_lshlrev_b64_e32 v[22:23], v22, v[54:55]
	v_lshlrev_b32_e32 v23, 24, v54
	s_delay_alu instid0(VALU_DEP_3) | instskip(NEXT) | instid1(VALU_DEP_2)
	v_lshl_add_u32 v18, v18, 23, 0x3c000000
	v_and_b32_e32 v23, 0x80000000, v23
	s_delay_alu instid0(VALU_DEP_4) | instskip(NEXT) | instid1(VALU_DEP_1)
	v_lshlrev_b32_e32 v22, 20, v22
	v_and_b32_e32 v22, 0x700000, v22
	s_delay_alu instid0(VALU_DEP_1)
	v_or3_b32 v18, v22, v23, v18
.LBB4_2782:                             ;   in Loop: Header=BB4_2406 Depth=2
	s_or_b32 exec_lo, exec_lo, s27
.LBB4_2783:                             ;   in Loop: Header=BB4_2406 Depth=2
	s_delay_alu instid0(SALU_CYCLE_1)
	s_or_b32 exec_lo, exec_lo, s26
.LBB4_2784:                             ;   in Loop: Header=BB4_2406 Depth=2
	s_delay_alu instid0(SALU_CYCLE_1) | instskip(SKIP_2) | instid1(VALU_DEP_1)
	s_or_b32 exec_lo, exec_lo, s7
	v_and_b32_e32 v22, 0xff, v21
	s_mov_b32 s7, exec_lo
	v_cmpx_ne_u16_e32 0, v22
	s_cbranch_execz .LBB4_2790
; %bb.2785:                             ;   in Loop: Header=BB4_2406 Depth=2
	v_bfrev_b32_e32 v19, 1
	s_mov_b32 s26, exec_lo
	v_cmpx_ne_u16_e32 0x80, v22
	s_cbranch_execz .LBB4_2789
; %bb.2786:                             ;   in Loop: Header=BB4_2406 Depth=2
	v_and_b32_e32 v22, 0x7f, v21
	v_mov_b32_e32 v19, 0x7f800001
	s_mov_b32 s27, exec_lo
	s_delay_alu instid0(VALU_DEP_2)
	v_cmpx_ne_u32_e32 0x7f, v22
	s_cbranch_execz .LBB4_2788
; %bb.2787:                             ;   in Loop: Header=BB4_2406 Depth=2
	v_dual_lshrrev_b32 v57, 3, v22 :: v_dual_bitop2_b32 v19, 7, v21 bitop3:0x40
	v_cmp_gt_u32_e32 vcc_lo, 8, v22
	v_mov_b32_e32 v22, v21
	s_delay_alu instid0(VALU_DEP_3) | instskip(NEXT) | instid1(VALU_DEP_1)
	v_clz_i32_u32_e32 v19, v19
	v_min_u32_e32 v19, 32, v19
	s_delay_alu instid0(VALU_DEP_1) | instskip(SKIP_1) | instid1(VALU_DEP_2)
	v_sub_nc_u32_e32 v58, 29, v19
	v_subrev_nc_u32_e32 v19, 28, v19
	v_dual_mov_b32 v23, v55 :: v_dual_cndmask_b32 v57, v57, v58, vcc_lo
	s_delay_alu instid0(VALU_DEP_2) | instskip(NEXT) | instid1(VALU_DEP_1)
	v_cndmask_b32_e32 v19, 0, v19, vcc_lo
	v_lshlrev_b64_e32 v[58:59], v19, v[22:23]
	v_lshlrev_b32_e32 v19, 24, v22
	s_delay_alu instid0(VALU_DEP_4) | instskip(NEXT) | instid1(VALU_DEP_2)
	v_lshl_add_u32 v23, v57, 23, 0x3c000000
	v_and_b32_e32 v19, 0x80000000, v19
	s_delay_alu instid0(VALU_DEP_4) | instskip(NEXT) | instid1(VALU_DEP_1)
	v_lshlrev_b32_e32 v22, 20, v58
	v_and_b32_e32 v22, 0x700000, v22
	s_delay_alu instid0(VALU_DEP_1)
	v_or3_b32 v19, v22, v19, v23
.LBB4_2788:                             ;   in Loop: Header=BB4_2406 Depth=2
	s_or_b32 exec_lo, exec_lo, s27
.LBB4_2789:                             ;   in Loop: Header=BB4_2406 Depth=2
	s_delay_alu instid0(SALU_CYCLE_1)
	s_or_b32 exec_lo, exec_lo, s26
.LBB4_2790:                             ;   in Loop: Header=BB4_2406 Depth=2
	s_delay_alu instid0(SALU_CYCLE_1) | instskip(NEXT) | instid1(VALU_DEP_1)
	s_or_b32 exec_lo, exec_lo, s7
	v_dual_mul_f32 v18, v18, v19 :: v_dual_mov_b32 v23, v55
                                        ; implicit-def: $vgpr57
	s_mov_b32 s7, exec_lo
	s_delay_alu instid0(VALU_DEP_1) | instskip(SKIP_1) | instid1(VALU_DEP_2)
	v_and_b32_e32 v22, 0x7f800000, v18
	v_lshrrev_b32_e32 v19, 24, v18
	v_cmpx_ne_u64_e32 0x7f800000, v[22:23]
	s_xor_b32 s26, exec_lo, s7
	s_cbranch_execz .LBB4_2804
; %bb.2791:                             ;   in Loop: Header=BB4_2406 Depth=2
	v_and_b32_e32 v22, 0x7fffffff, v18
	v_mov_b32_e32 v23, v55
	v_and_b32_e32 v58, 0x80, v19
                                        ; implicit-def: $vgpr57
	s_mov_b32 s7, exec_lo
	s_delay_alu instid0(VALU_DEP_2)
	v_cmpx_gt_u64_e32 0x43e00001, v[22:23]
	s_xor_b32 s27, exec_lo, s7
	s_cbranch_execz .LBB4_2801
; %bb.2792:                             ;   in Loop: Header=BB4_2406 Depth=2
	v_mov_b32_e32 v57, 0
	s_mov_b32 s28, exec_lo
	v_cmpx_ne_u32_e32 0, v18
	s_cbranch_execz .LBB4_2800
; %bb.2793:                             ;   in Loop: Header=BB4_2406 Depth=2
	v_bfe_u32 v57, v18, 23, 8
	v_and_b32_e32 v22, 0x7fffff, v18
	s_mov_b32 s29, exec_lo
	s_delay_alu instid0(VALU_DEP_2) | instskip(NEXT) | instid1(VALU_DEP_2)
	v_cmp_gt_u32_e32 vcc_lo, 0x7a, v57
	v_or_b32_e32 v23, 0x800000, v22
	v_sub_nc_u32_e32 v19, 0x79, v57
	s_delay_alu instid0(VALU_DEP_1) | instskip(SKIP_1) | instid1(VALU_DEP_4)
	v_cndmask_b32_e32 v19, 0, v19, vcc_lo
	v_cmp_eq_u32_e32 vcc_lo, 0, v57
	v_cndmask_b32_e32 v22, v23, v22, vcc_lo
	v_mov_b32_e32 v23, v55
	s_delay_alu instid0(VALU_DEP_4) | instskip(NEXT) | instid1(VALU_DEP_1)
	v_cndmask_b32_e64 v59, v19, 0x78, vcc_lo
	v_dual_add_nc_u32 v18, 20, v59 :: v_dual_add_nc_u32 v60, 19, v59
	s_delay_alu instid0(VALU_DEP_1) | instskip(NEXT) | instid1(VALU_DEP_2)
	v_lshlrev_b64_e64 v[18:19], v18, -1
	v_lshlrev_b64_e64 v[60:61], v60, 1
	s_delay_alu instid0(VALU_DEP_2) | instskip(NEXT) | instid1(VALU_DEP_3)
	v_bfi_b32 v63, v19, 0, 0
	v_bfi_b32 v62, v18, 0, v22
	v_lshrrev_b64 v[18:19], v59, v[22:23]
	s_delay_alu instid0(VALU_DEP_1) | instskip(NEXT) | instid1(VALU_DEP_3)
	v_mov_b64_e32 v[22:23], v[18:19]
	v_cmpx_eq_u64_e64 v[62:63], v[60:61]
; %bb.2794:                             ;   in Loop: Header=BB4_2406 Depth=2
	v_bfe_u32 v22, v18, 20, 1
	v_mov_b32_e32 v23, v55
	s_delay_alu instid0(VALU_DEP_1) | instskip(NEXT) | instid1(VALU_DEP_1)
	v_add_nc_u64_e32 v[22:23], v[18:19], v[22:23]
	v_add_nc_u64_e32 v[22:23], -1, v[22:23]
; %bb.2795:                             ;   in Loop: Header=BB4_2406 Depth=2
	s_or_b32 exec_lo, exec_lo, s29
	v_add_nc_u32_e32 v19, 0xffffff81, v57
	v_lshrrev_b32_e32 v23, 23, v18
	s_mov_b32 s7, exec_lo
	s_delay_alu instid0(VALU_DEP_2) | instskip(NEXT) | instid1(VALU_DEP_1)
	v_cndmask_b32_e64 v19, v19, 0xffffff82, vcc_lo
	v_add3_u32 v23, v59, v19, v23
	v_and_b32_e32 v19, 0xfffff, v22
                                        ; implicit-def: $vgpr22
	s_delay_alu instid0(VALU_DEP_1) | instskip(SKIP_1) | instid1(VALU_DEP_2)
	v_dual_add_nc_u32 v57, 6, v23 :: v_dual_add_nc_u32 v18, v19, v18
	v_mov_b32_e32 v19, v55
	v_cmpx_ne_u32_e32 0, v57
	s_xor_b32 s7, exec_lo, s7
; %bb.2796:                             ;   in Loop: Header=BB4_2406 Depth=2
	s_delay_alu instid0(VALU_DEP_2) | instskip(SKIP_2) | instid1(VALU_DEP_2)
	v_cmp_lt_u64_e32 vcc_lo, 0xffffff, v[18:19]
	v_add_nc_u32_e32 v22, 7, v23
	v_cndmask_b32_e64 v23, 0, 1, vcc_lo
	v_cndmask_b32_e32 v22, v57, v22, vcc_lo
	s_delay_alu instid0(VALU_DEP_2)
	v_lshrrev_b64 v[18:19], v23, v[18:19]
; %bb.2797:                             ;   in Loop: Header=BB4_2406 Depth=2
	s_and_not1_saveexec_b32 s7, s7
; %bb.2798:                             ;   in Loop: Header=BB4_2406 Depth=2
	s_delay_alu instid0(VALU_DEP_1)
	v_bfe_u32 v22, v18, 23, 1
; %bb.2799:                             ;   in Loop: Header=BB4_2406 Depth=2
	s_or_b32 exec_lo, exec_lo, s7
	s_delay_alu instid0(VALU_DEP_2) | instskip(NEXT) | instid1(VALU_DEP_2)
	v_lshrrev_b64 v[18:19], 20, v[18:19]
	v_cmp_gt_i32_e32 vcc_lo, 16, v22
	v_min_i32_e32 v23, 15, v22
	v_cmp_eq_u32_e64 s7, 0, v22
	s_delay_alu instid0(VALU_DEP_4) | instskip(NEXT) | instid1(VALU_DEP_3)
	v_cndmask_b32_e32 v19, 0, v19, vcc_lo
	v_dual_cndmask_b32 v18, 7, v18 :: v_dual_lshlrev_b32 v23, 3, v23
	s_delay_alu instid0(VALU_DEP_1) | instskip(NEXT) | instid1(VALU_DEP_2)
	v_and_b32_e32 v23, 0xf8, v23
	v_cmp_eq_u64_e32 vcc_lo, 0, v[18:19]
	s_delay_alu instid0(VALU_DEP_2)
	v_and_or_b32 v18, v18, 7, v23
	s_and_b32 s7, s7, vcc_lo
	s_delay_alu instid0(VALU_DEP_1) | instid1(SALU_CYCLE_1)
	v_cndmask_b32_e64 v18, v18, 0, s7
	s_delay_alu instid0(VALU_DEP_1)
	v_or_b32_e32 v57, v18, v58
.LBB4_2800:                             ;   in Loop: Header=BB4_2406 Depth=2
	s_or_b32 exec_lo, exec_lo, s28
                                        ; implicit-def: $vgpr58
.LBB4_2801:                             ;   in Loop: Header=BB4_2406 Depth=2
	s_and_not1_saveexec_b32 s7, s27
; %bb.2802:                             ;   in Loop: Header=BB4_2406 Depth=2
	v_or_b32_e32 v57, 0x7e, v58
; %bb.2803:                             ;   in Loop: Header=BB4_2406 Depth=2
	s_or_b32 exec_lo, exec_lo, s7
                                        ; implicit-def: $vgpr19
.LBB4_2804:                             ;   in Loop: Header=BB4_2406 Depth=2
	s_and_not1_saveexec_b32 s7, s26
; %bb.2805:                             ;   in Loop: Header=BB4_2406 Depth=2
	v_or_b32_e32 v57, 0x7f, v19
; %bb.2806:                             ;   in Loop: Header=BB4_2406 Depth=2
	s_or_b32 exec_lo, exec_lo, s7
	v_lshrrev_b16 v19, 8, v54
	v_dual_mov_b32 v22, 0 :: v_dual_mov_b32 v18, 0
	s_mov_b32 s7, exec_lo
	s_delay_alu instid0(VALU_DEP_2)
	v_cmpx_ne_u16_e32 0, v19
	s_cbranch_execz .LBB4_2814
; %bb.2807:                             ;   in Loop: Header=BB4_2406 Depth=2
	v_bfrev_b32_e32 v18, 1
	s_mov_b32 s26, exec_lo
	v_cmpx_ne_u16_e32 0x80, v19
	s_cbranch_execz .LBB4_2813
; %bb.2808:                             ;   in Loop: Header=BB4_2406 Depth=2
	v_and_b32_e32 v19, 0xffff, v19
	v_mov_b32_e32 v18, 0x7f800001
	s_mov_b32 s27, exec_lo
	s_delay_alu instid0(VALU_DEP_2) | instskip(NEXT) | instid1(VALU_DEP_1)
	v_and_b32_e32 v58, 0x7f, v19
	v_cmpx_ne_u32_e32 0x7f, v58
	s_cbranch_execz .LBB4_2812
; %bb.2809:                             ;   in Loop: Header=BB4_2406 Depth=2
	v_dual_mov_b32 v19, v55 :: v_dual_bitop2_b32 v18, 7, v19 bitop3:0x40
	v_lshrrev_b32_e32 v23, 3, v58
	s_mov_b32 s28, exec_lo
	v_cmpx_gt_u32_e32 8, v58
; %bb.2810:                             ;   in Loop: Header=BB4_2406 Depth=2
	s_delay_alu instid0(VALU_DEP_3) | instskip(NEXT) | instid1(VALU_DEP_1)
	v_clz_i32_u32_e32 v23, v18
	v_min_u32_e32 v23, 32, v23
	s_delay_alu instid0(VALU_DEP_1) | instskip(NEXT) | instid1(VALU_DEP_1)
	v_subrev_nc_u32_e32 v58, 28, v23
	v_lshlrev_b64_e32 v[18:19], v58, v[18:19]
	s_delay_alu instid0(VALU_DEP_1)
	v_dual_sub_nc_u32 v23, 29, v23 :: v_dual_bitop2_b32 v18, 7, v18 bitop3:0x40
; %bb.2811:                             ;   in Loop: Header=BB4_2406 Depth=2
	s_or_b32 exec_lo, exec_lo, s28
	v_lshlrev_b32_e32 v19, 16, v54
	s_delay_alu instid0(VALU_DEP_2) | instskip(NEXT) | instid1(VALU_DEP_3)
	v_lshlrev_b32_e32 v18, 20, v18
	v_lshl_add_u32 v23, v23, 23, 0x3c000000
	s_delay_alu instid0(VALU_DEP_3) | instskip(NEXT) | instid1(VALU_DEP_1)
	v_and_b32_e32 v19, 0x80000000, v19
	v_or3_b32 v18, v18, v19, v23
.LBB4_2812:                             ;   in Loop: Header=BB4_2406 Depth=2
	s_or_b32 exec_lo, exec_lo, s27
.LBB4_2813:                             ;   in Loop: Header=BB4_2406 Depth=2
	s_delay_alu instid0(SALU_CYCLE_1)
	s_or_b32 exec_lo, exec_lo, s26
.LBB4_2814:                             ;   in Loop: Header=BB4_2406 Depth=2
	s_delay_alu instid0(SALU_CYCLE_1) | instskip(SKIP_2) | instid1(VALU_DEP_1)
	s_or_b32 exec_lo, exec_lo, s7
	v_lshrrev_b16 v19, 8, v21
	s_mov_b32 s7, exec_lo
	v_cmpx_ne_u16_e32 0, v19
	s_cbranch_execz .LBB4_2822
; %bb.2815:                             ;   in Loop: Header=BB4_2406 Depth=2
	v_bfrev_b32_e32 v22, 1
	s_mov_b32 s26, exec_lo
	v_cmpx_ne_u16_e32 0x80, v19
	s_cbranch_execz .LBB4_2821
; %bb.2816:                             ;   in Loop: Header=BB4_2406 Depth=2
	v_and_b32_e32 v19, 0xffff, v19
	v_mov_b32_e32 v22, 0x7f800001
	s_mov_b32 s27, exec_lo
	s_delay_alu instid0(VALU_DEP_2) | instskip(NEXT) | instid1(VALU_DEP_1)
	v_and_b32_e32 v23, 0x7f, v19
	v_cmpx_ne_u32_e32 0x7f, v23
	s_cbranch_execz .LBB4_2820
; %bb.2817:                             ;   in Loop: Header=BB4_2406 Depth=2
	v_and_b32_e32 v54, 7, v19
	v_lshrrev_b32_e32 v19, 3, v23
	s_mov_b32 s28, exec_lo
	v_cmpx_gt_u32_e32 8, v23
; %bb.2818:                             ;   in Loop: Header=BB4_2406 Depth=2
	s_delay_alu instid0(VALU_DEP_3) | instskip(NEXT) | instid1(VALU_DEP_1)
	v_clz_i32_u32_e32 v19, v54
	v_min_u32_e32 v19, 32, v19
	s_delay_alu instid0(VALU_DEP_1) | instskip(NEXT) | instid1(VALU_DEP_1)
	v_subrev_nc_u32_e32 v22, 28, v19
	v_lshlrev_b64_e32 v[22:23], v22, v[54:55]
	s_delay_alu instid0(VALU_DEP_1)
	v_dual_sub_nc_u32 v19, 29, v19 :: v_dual_bitop2_b32 v54, 7, v22 bitop3:0x40
; %bb.2819:                             ;   in Loop: Header=BB4_2406 Depth=2
	s_or_b32 exec_lo, exec_lo, s28
	s_delay_alu instid0(VALU_DEP_1) | instskip(NEXT) | instid1(VALU_DEP_2)
	v_dual_lshlrev_b32 v22, 16, v21 :: v_dual_lshlrev_b32 v23, 20, v54
	v_lshl_add_u32 v19, v19, 23, 0x3c000000
	s_delay_alu instid0(VALU_DEP_2) | instskip(NEXT) | instid1(VALU_DEP_1)
	v_and_b32_e32 v22, 0x80000000, v22
	v_or3_b32 v22, v23, v22, v19
.LBB4_2820:                             ;   in Loop: Header=BB4_2406 Depth=2
	s_or_b32 exec_lo, exec_lo, s27
.LBB4_2821:                             ;   in Loop: Header=BB4_2406 Depth=2
	s_delay_alu instid0(SALU_CYCLE_1)
	s_or_b32 exec_lo, exec_lo, s26
.LBB4_2822:                             ;   in Loop: Header=BB4_2406 Depth=2
	s_delay_alu instid0(SALU_CYCLE_1) | instskip(NEXT) | instid1(VALU_DEP_1)
	s_or_b32 exec_lo, exec_lo, s7
	v_mul_f32_e32 v18, v18, v22
                                        ; implicit-def: $vgpr58
	s_mov_b32 s7, exec_lo
	s_delay_alu instid0(VALU_DEP_1) | instskip(SKIP_1) | instid1(VALU_DEP_2)
	v_and_b32_e32 v54, 0x7f800000, v18
	v_lshrrev_b32_e32 v19, 24, v18
	v_cmpx_ne_u64_e32 0x7f800000, v[54:55]
	s_xor_b32 s26, exec_lo, s7
	s_cbranch_execz .LBB4_2836
; %bb.2823:                             ;   in Loop: Header=BB4_2406 Depth=2
	v_and_b32_e32 v54, 0x7fffffff, v18
	v_and_b32_e32 v59, 0x80, v19
                                        ; implicit-def: $vgpr58
	s_mov_b32 s7, exec_lo
	s_delay_alu instid0(VALU_DEP_2)
	v_cmpx_gt_u64_e32 0x43e00001, v[54:55]
	s_xor_b32 s27, exec_lo, s7
	s_cbranch_execz .LBB4_2833
; %bb.2824:                             ;   in Loop: Header=BB4_2406 Depth=2
	v_mov_b32_e32 v58, 0
	s_mov_b32 s28, exec_lo
	v_cmpx_ne_u32_e32 0, v18
	s_cbranch_execz .LBB4_2832
; %bb.2825:                             ;   in Loop: Header=BB4_2406 Depth=2
	v_bfe_u32 v58, v18, 23, 8
	v_and_b32_e32 v22, 0x7fffff, v18
	s_delay_alu instid0(VALU_DEP_2) | instskip(SKIP_1) | instid1(VALU_DEP_3)
	v_sub_nc_u32_e32 v19, 0x79, v58
	v_cmp_gt_u32_e32 vcc_lo, 0x7a, v58
	v_or_b32_e32 v23, 0x800000, v22
	s_delay_alu instid0(VALU_DEP_3) | instskip(SKIP_1) | instid1(VALU_DEP_2)
	v_cndmask_b32_e32 v19, 0, v19, vcc_lo
	v_cmp_eq_u32_e32 vcc_lo, 0, v58
	v_cndmask_b32_e64 v60, v19, 0x78, vcc_lo
	s_delay_alu instid0(VALU_DEP_1) | instskip(SKIP_1) | instid1(VALU_DEP_2)
	v_dual_cndmask_b32 v54, v23, v22 :: v_dual_add_nc_u32 v61, 19, v60
	v_add_nc_u32_e32 v18, 20, v60
	v_lshlrev_b64_e64 v[22:23], v61, 1
	s_delay_alu instid0(VALU_DEP_2) | instskip(NEXT) | instid1(VALU_DEP_1)
	v_lshlrev_b64_e64 v[18:19], v18, -1
	v_bfi_b32 v63, v19, 0, 0
	s_delay_alu instid0(VALU_DEP_2) | instskip(SKIP_1) | instid1(VALU_DEP_2)
	v_bfi_b32 v62, v18, 0, v54
	v_lshrrev_b64 v[18:19], v60, v[54:55]
	v_cmp_eq_u64_e64 s7, v[62:63], v[22:23]
	s_delay_alu instid0(VALU_DEP_2)
	v_mov_b64_e32 v[22:23], v[18:19]
	s_and_saveexec_b32 s29, s7
; %bb.2826:                             ;   in Loop: Header=BB4_2406 Depth=2
	v_bfe_u32 v54, v18, 20, 1
	s_delay_alu instid0(VALU_DEP_1) | instskip(NEXT) | instid1(VALU_DEP_1)
	v_add_nc_u64_e32 v[22:23], v[18:19], v[54:55]
	v_add_nc_u64_e32 v[22:23], -1, v[22:23]
; %bb.2827:                             ;   in Loop: Header=BB4_2406 Depth=2
	s_or_b32 exec_lo, exec_lo, s29
	v_add_nc_u32_e32 v19, 0xffffff81, v58
	v_lshrrev_b32_e32 v23, 23, v18
	s_mov_b32 s7, exec_lo
	s_delay_alu instid0(VALU_DEP_2) | instskip(NEXT) | instid1(VALU_DEP_1)
	v_cndmask_b32_e64 v19, v19, 0xffffff82, vcc_lo
	v_add3_u32 v23, v60, v19, v23
	v_and_b32_e32 v19, 0xfffff, v22
                                        ; implicit-def: $vgpr22
	s_delay_alu instid0(VALU_DEP_1) | instskip(NEXT) | instid1(VALU_DEP_1)
	v_dual_add_nc_u32 v58, 6, v23 :: v_dual_add_nc_u32 v54, v19, v18
                                        ; implicit-def: $vgpr18_vgpr19
	v_cmpx_ne_u32_e32 0, v58
	s_xor_b32 s7, exec_lo, s7
; %bb.2828:                             ;   in Loop: Header=BB4_2406 Depth=2
	s_delay_alu instid0(VALU_DEP_2) | instskip(SKIP_1) | instid1(VALU_DEP_1)
	v_cmp_lt_u64_e32 vcc_lo, 0xffffff, v[54:55]
	v_add_nc_u32_e32 v18, 7, v23
	v_cndmask_b32_e32 v22, v58, v18, vcc_lo
	v_cndmask_b32_e64 v18, 0, 1, vcc_lo
	s_delay_alu instid0(VALU_DEP_1)
	v_lshrrev_b64 v[18:19], v18, v[54:55]
; %bb.2829:                             ;   in Loop: Header=BB4_2406 Depth=2
	s_and_not1_saveexec_b32 s7, s7
; %bb.2830:                             ;   in Loop: Header=BB4_2406 Depth=2
	v_mov_b64_e32 v[18:19], v[54:55]
	v_bfe_u32 v22, v54, 23, 1
; %bb.2831:                             ;   in Loop: Header=BB4_2406 Depth=2
	s_or_b32 exec_lo, exec_lo, s7
	s_delay_alu instid0(VALU_DEP_2) | instskip(NEXT) | instid1(VALU_DEP_2)
	v_lshrrev_b64 v[18:19], 20, v[18:19]
	v_cmp_gt_i32_e32 vcc_lo, 16, v22
	v_min_i32_e32 v23, 15, v22
	v_cmp_eq_u32_e64 s7, 0, v22
	s_delay_alu instid0(VALU_DEP_4) | instskip(NEXT) | instid1(VALU_DEP_3)
	v_cndmask_b32_e32 v19, 0, v19, vcc_lo
	v_dual_cndmask_b32 v18, 7, v18 :: v_dual_lshlrev_b32 v23, 3, v23
	s_delay_alu instid0(VALU_DEP_1) | instskip(NEXT) | instid1(VALU_DEP_2)
	v_and_b32_e32 v23, 0xf8, v23
	v_cmp_eq_u64_e32 vcc_lo, 0, v[18:19]
	s_delay_alu instid0(VALU_DEP_2)
	v_and_or_b32 v18, v18, 7, v23
	s_and_b32 s7, s7, vcc_lo
	s_delay_alu instid0(VALU_DEP_1) | instid1(SALU_CYCLE_1)
	v_cndmask_b32_e64 v18, v18, 0, s7
	s_delay_alu instid0(VALU_DEP_1)
	v_or_b32_e32 v58, v18, v59
.LBB4_2832:                             ;   in Loop: Header=BB4_2406 Depth=2
	s_or_b32 exec_lo, exec_lo, s28
                                        ; implicit-def: $vgpr59
.LBB4_2833:                             ;   in Loop: Header=BB4_2406 Depth=2
	s_and_not1_saveexec_b32 s7, s27
; %bb.2834:                             ;   in Loop: Header=BB4_2406 Depth=2
	v_or_b32_e32 v58, 0x7e, v59
; %bb.2835:                             ;   in Loop: Header=BB4_2406 Depth=2
	s_or_b32 exec_lo, exec_lo, s7
                                        ; implicit-def: $vgpr19
.LBB4_2836:                             ;   in Loop: Header=BB4_2406 Depth=2
	s_and_not1_saveexec_b32 s7, s26
; %bb.2837:                             ;   in Loop: Header=BB4_2406 Depth=2
	v_or_b32_e32 v58, 0x7f, v19
; %bb.2838:                             ;   in Loop: Header=BB4_2406 Depth=2
	s_or_b32 exec_lo, exec_lo, s7
	v_dual_lshrrev_b32 v22, 16, v25 :: v_dual_mov_b32 v18, 0
	v_mov_b32_e32 v19, 0
	s_mov_b32 s7, exec_lo
	s_delay_alu instid0(VALU_DEP_2) | instskip(NEXT) | instid1(VALU_DEP_1)
	v_and_b32_e32 v23, 0xff, v22
	v_cmpx_ne_u16_e32 0, v23
	s_cbranch_execz .LBB4_2846
; %bb.2839:                             ;   in Loop: Header=BB4_2406 Depth=2
	v_bfrev_b32_e32 v19, 1
	s_mov_b32 s26, exec_lo
	v_cmpx_ne_u16_e32 0x80, v23
	s_cbranch_execz .LBB4_2845
; %bb.2840:                             ;   in Loop: Header=BB4_2406 Depth=2
	v_bfe_u32 v23, v25, 16, 7
	v_mov_b32_e32 v19, 0x7f800001
	s_mov_b32 s27, exec_lo
	s_delay_alu instid0(VALU_DEP_2)
	v_cmpx_ne_u32_e32 0x7f, v23
	s_cbranch_execz .LBB4_2844
; %bb.2841:                             ;   in Loop: Header=BB4_2406 Depth=2
	v_dual_lshrrev_b32 v19, 3, v23 :: v_dual_bitop2_b32 v54, 7, v22 bitop3:0x40
	s_mov_b32 s28, exec_lo
	v_cmpx_gt_u32_e32 8, v23
; %bb.2842:                             ;   in Loop: Header=BB4_2406 Depth=2
	s_delay_alu instid0(VALU_DEP_2) | instskip(NEXT) | instid1(VALU_DEP_1)
	v_clz_i32_u32_e32 v19, v54
	v_min_u32_e32 v19, 32, v19
	s_delay_alu instid0(VALU_DEP_1) | instskip(NEXT) | instid1(VALU_DEP_1)
	v_subrev_nc_u32_e32 v23, 28, v19
	v_lshlrev_b64_e32 v[60:61], v23, v[54:55]
	s_delay_alu instid0(VALU_DEP_1)
	v_dual_sub_nc_u32 v19, 29, v19 :: v_dual_bitop2_b32 v54, 7, v60 bitop3:0x40
; %bb.2843:                             ;   in Loop: Header=BB4_2406 Depth=2
	s_or_b32 exec_lo, exec_lo, s28
	v_lshlrev_b32_e32 v22, 24, v22
	s_delay_alu instid0(VALU_DEP_2) | instskip(NEXT) | instid1(VALU_DEP_3)
	v_lshlrev_b32_e32 v23, 20, v54
	v_lshl_add_u32 v19, v19, 23, 0x3c000000
	s_delay_alu instid0(VALU_DEP_3) | instskip(NEXT) | instid1(VALU_DEP_1)
	v_and_b32_e32 v22, 0x80000000, v22
	v_or3_b32 v19, v23, v22, v19
.LBB4_2844:                             ;   in Loop: Header=BB4_2406 Depth=2
	s_or_b32 exec_lo, exec_lo, s27
.LBB4_2845:                             ;   in Loop: Header=BB4_2406 Depth=2
	s_delay_alu instid0(SALU_CYCLE_1)
	s_or_b32 exec_lo, exec_lo, s26
.LBB4_2846:                             ;   in Loop: Header=BB4_2406 Depth=2
	s_delay_alu instid0(SALU_CYCLE_1) | instskip(SKIP_2) | instid1(VALU_DEP_1)
	s_or_b32 exec_lo, exec_lo, s7
	v_lshrrev_b32_e32 v22, 16, v21
	s_mov_b32 s7, exec_lo
	v_and_b32_e32 v23, 0xff, v22
	s_delay_alu instid0(VALU_DEP_1)
	v_cmpx_ne_u16_e32 0, v23
	s_cbranch_execz .LBB4_2854
; %bb.2847:                             ;   in Loop: Header=BB4_2406 Depth=2
	v_bfrev_b32_e32 v18, 1
	s_mov_b32 s26, exec_lo
	v_cmpx_ne_u16_e32 0x80, v23
	s_cbranch_execz .LBB4_2853
; %bb.2848:                             ;   in Loop: Header=BB4_2406 Depth=2
	v_bfe_u32 v23, v21, 16, 7
	v_mov_b32_e32 v18, 0x7f800001
	s_mov_b32 s27, exec_lo
	s_delay_alu instid0(VALU_DEP_2)
	v_cmpx_ne_u32_e32 0x7f, v23
	s_cbranch_execz .LBB4_2852
; %bb.2849:                             ;   in Loop: Header=BB4_2406 Depth=2
	v_dual_lshrrev_b32 v18, 3, v23 :: v_dual_bitop2_b32 v54, 7, v22 bitop3:0x40
	s_mov_b32 s28, exec_lo
	v_cmpx_gt_u32_e32 8, v23
; %bb.2850:                             ;   in Loop: Header=BB4_2406 Depth=2
	s_delay_alu instid0(VALU_DEP_2) | instskip(NEXT) | instid1(VALU_DEP_1)
	v_clz_i32_u32_e32 v18, v54
	v_min_u32_e32 v18, 32, v18
	s_delay_alu instid0(VALU_DEP_1) | instskip(SKIP_1) | instid1(VALU_DEP_2)
	v_subrev_nc_u32_e32 v22, 28, v18
	v_sub_nc_u32_e32 v18, 29, v18
	v_lshlrev_b64_e32 v[22:23], v22, v[54:55]
	s_delay_alu instid0(VALU_DEP_1)
	v_and_b32_e32 v54, 7, v22
; %bb.2851:                             ;   in Loop: Header=BB4_2406 Depth=2
	s_or_b32 exec_lo, exec_lo, s28
	s_delay_alu instid0(VALU_DEP_1) | instskip(SKIP_1) | instid1(VALU_DEP_2)
	v_dual_lshlrev_b32 v22, 8, v21 :: v_dual_lshlrev_b32 v23, 20, v54
	v_lshl_add_u32 v18, v18, 23, 0x3c000000
	v_and_b32_e32 v22, 0x80000000, v22
	s_delay_alu instid0(VALU_DEP_1)
	v_or3_b32 v18, v23, v22, v18
.LBB4_2852:                             ;   in Loop: Header=BB4_2406 Depth=2
	s_or_b32 exec_lo, exec_lo, s27
.LBB4_2853:                             ;   in Loop: Header=BB4_2406 Depth=2
	s_delay_alu instid0(SALU_CYCLE_1)
	s_or_b32 exec_lo, exec_lo, s26
.LBB4_2854:                             ;   in Loop: Header=BB4_2406 Depth=2
	s_delay_alu instid0(SALU_CYCLE_1) | instskip(NEXT) | instid1(VALU_DEP_1)
	s_or_b32 exec_lo, exec_lo, s7
	v_mul_f32_e32 v18, v19, v18
                                        ; implicit-def: $vgpr22
	s_mov_b32 s7, exec_lo
	s_delay_alu instid0(VALU_DEP_1) | instskip(SKIP_1) | instid1(VALU_DEP_2)
	v_and_b32_e32 v54, 0x7f800000, v18
	v_lshrrev_b32_e32 v19, 24, v18
	v_cmpx_ne_u64_e32 0x7f800000, v[54:55]
	s_xor_b32 s26, exec_lo, s7
	s_cbranch_execz .LBB4_2868
; %bb.2855:                             ;   in Loop: Header=BB4_2406 Depth=2
	v_and_b32_e32 v54, 0x7fffffff, v18
	v_and_b32_e32 v59, 0x80, v19
                                        ; implicit-def: $vgpr22
	s_mov_b32 s7, exec_lo
	s_delay_alu instid0(VALU_DEP_2)
	v_cmpx_gt_u64_e32 0x43e00001, v[54:55]
	s_xor_b32 s27, exec_lo, s7
	s_cbranch_execz .LBB4_2865
; %bb.2856:                             ;   in Loop: Header=BB4_2406 Depth=2
	v_mov_b32_e32 v22, 0
	s_mov_b32 s28, exec_lo
	v_cmpx_ne_u32_e32 0, v18
	s_cbranch_execz .LBB4_2864
; %bb.2857:                             ;   in Loop: Header=BB4_2406 Depth=2
	v_bfe_u32 v60, v18, 23, 8
	v_and_b32_e32 v22, 0x7fffff, v18
	s_delay_alu instid0(VALU_DEP_2) | instskip(NEXT) | instid1(VALU_DEP_2)
	v_cmp_gt_u32_e32 vcc_lo, 0x7a, v60
	v_or_b32_e32 v23, 0x800000, v22
	v_sub_nc_u32_e32 v19, 0x79, v60
	s_delay_alu instid0(VALU_DEP_1) | instskip(SKIP_1) | instid1(VALU_DEP_2)
	v_cndmask_b32_e32 v19, 0, v19, vcc_lo
	v_cmp_eq_u32_e32 vcc_lo, 0, v60
	v_cndmask_b32_e64 v61, v19, 0x78, vcc_lo
	s_delay_alu instid0(VALU_DEP_1) | instskip(SKIP_1) | instid1(VALU_DEP_2)
	v_dual_cndmask_b32 v54, v23, v22, vcc_lo :: v_dual_add_nc_u32 v18, 20, v61
	v_add_nc_u32_e32 v62, 19, v61
	v_lshlrev_b64_e64 v[18:19], v18, -1
	s_delay_alu instid0(VALU_DEP_2) | instskip(NEXT) | instid1(VALU_DEP_2)
	v_lshlrev_b64_e64 v[22:23], v62, 1
	v_bfi_b32 v63, v19, 0, 0
	s_delay_alu instid0(VALU_DEP_3) | instskip(SKIP_1) | instid1(VALU_DEP_2)
	v_bfi_b32 v62, v18, 0, v54
	v_lshrrev_b64 v[18:19], v61, v[54:55]
	v_cmp_eq_u64_e64 s7, v[62:63], v[22:23]
	s_delay_alu instid0(VALU_DEP_2)
	v_mov_b64_e32 v[22:23], v[18:19]
	s_and_saveexec_b32 s29, s7
; %bb.2858:                             ;   in Loop: Header=BB4_2406 Depth=2
	v_bfe_u32 v54, v18, 20, 1
	s_delay_alu instid0(VALU_DEP_1) | instskip(NEXT) | instid1(VALU_DEP_1)
	v_add_nc_u64_e32 v[22:23], v[18:19], v[54:55]
	v_add_nc_u64_e32 v[22:23], -1, v[22:23]
; %bb.2859:                             ;   in Loop: Header=BB4_2406 Depth=2
	s_or_b32 exec_lo, exec_lo, s29
	v_add_nc_u32_e32 v19, 0xffffff81, v60
	v_lshrrev_b32_e32 v23, 23, v18
	s_mov_b32 s7, exec_lo
	s_delay_alu instid0(VALU_DEP_2) | instskip(NEXT) | instid1(VALU_DEP_1)
	v_cndmask_b32_e64 v19, v19, 0xffffff82, vcc_lo
	v_add3_u32 v23, v61, v19, v23
	v_and_b32_e32 v19, 0xfffff, v22
                                        ; implicit-def: $vgpr22
	s_delay_alu instid0(VALU_DEP_1) | instskip(NEXT) | instid1(VALU_DEP_1)
	v_dual_add_nc_u32 v60, 6, v23 :: v_dual_add_nc_u32 v54, v19, v18
                                        ; implicit-def: $vgpr18_vgpr19
	v_cmpx_ne_u32_e32 0, v60
	s_xor_b32 s7, exec_lo, s7
; %bb.2860:                             ;   in Loop: Header=BB4_2406 Depth=2
	s_delay_alu instid0(VALU_DEP_2) | instskip(SKIP_1) | instid1(VALU_DEP_1)
	v_cmp_lt_u64_e32 vcc_lo, 0xffffff, v[54:55]
	v_add_nc_u32_e32 v18, 7, v23
	v_cndmask_b32_e32 v22, v60, v18, vcc_lo
	v_cndmask_b32_e64 v18, 0, 1, vcc_lo
	s_delay_alu instid0(VALU_DEP_1)
	v_lshrrev_b64 v[18:19], v18, v[54:55]
; %bb.2861:                             ;   in Loop: Header=BB4_2406 Depth=2
	s_and_not1_saveexec_b32 s7, s7
; %bb.2862:                             ;   in Loop: Header=BB4_2406 Depth=2
	v_mov_b64_e32 v[18:19], v[54:55]
	v_bfe_u32 v22, v54, 23, 1
; %bb.2863:                             ;   in Loop: Header=BB4_2406 Depth=2
	s_or_b32 exec_lo, exec_lo, s7
	s_delay_alu instid0(VALU_DEP_2) | instskip(NEXT) | instid1(VALU_DEP_2)
	v_lshrrev_b64 v[18:19], 20, v[18:19]
	v_cmp_gt_i32_e32 vcc_lo, 16, v22
	v_min_i32_e32 v23, 15, v22
	v_cmp_eq_u32_e64 s7, 0, v22
	s_delay_alu instid0(VALU_DEP_4) | instskip(NEXT) | instid1(VALU_DEP_3)
	v_cndmask_b32_e32 v19, 0, v19, vcc_lo
	v_dual_cndmask_b32 v18, 7, v18 :: v_dual_lshlrev_b32 v23, 3, v23
	s_delay_alu instid0(VALU_DEP_1) | instskip(NEXT) | instid1(VALU_DEP_2)
	v_and_b32_e32 v23, 0xf8, v23
	v_cmp_eq_u64_e32 vcc_lo, 0, v[18:19]
	s_delay_alu instid0(VALU_DEP_2)
	v_and_or_b32 v18, v18, 7, v23
	s_and_b32 s7, s7, vcc_lo
	s_delay_alu instid0(VALU_DEP_1) | instid1(SALU_CYCLE_1)
	v_cndmask_b32_e64 v18, v18, 0, s7
	s_delay_alu instid0(VALU_DEP_1)
	v_or_b32_e32 v22, v18, v59
.LBB4_2864:                             ;   in Loop: Header=BB4_2406 Depth=2
	s_or_b32 exec_lo, exec_lo, s28
                                        ; implicit-def: $vgpr59
.LBB4_2865:                             ;   in Loop: Header=BB4_2406 Depth=2
	s_and_not1_saveexec_b32 s7, s27
; %bb.2866:                             ;   in Loop: Header=BB4_2406 Depth=2
	v_or_b32_e32 v22, 0x7e, v59
; %bb.2867:                             ;   in Loop: Header=BB4_2406 Depth=2
	s_or_b32 exec_lo, exec_lo, s7
                                        ; implicit-def: $vgpr19
.LBB4_2868:                             ;   in Loop: Header=BB4_2406 Depth=2
	s_and_not1_saveexec_b32 s7, s26
; %bb.2869:                             ;   in Loop: Header=BB4_2406 Depth=2
	v_or_b32_e32 v22, 0x7f, v19
; %bb.2870:                             ;   in Loop: Header=BB4_2406 Depth=2
	s_or_b32 exec_lo, exec_lo, s7
	v_dual_mov_b32 v18, 0 :: v_dual_mov_b32 v19, 0
	s_mov_b32 s7, exec_lo
	v_cmpx_lt_u64_e64 s[12:13], v[24:25]
	s_cbranch_execz .LBB4_2878
; %bb.2871:                             ;   in Loop: Header=BB4_2406 Depth=2
	v_lshrrev_b32_e32 v23, 24, v25
	v_bfrev_b32_e32 v19, 1
	s_mov_b32 s26, exec_lo
	s_delay_alu instid0(VALU_DEP_2)
	v_cmpx_ne_u32_e32 0x80, v23
	s_cbranch_execz .LBB4_2877
; %bb.2872:                             ;   in Loop: Header=BB4_2406 Depth=2
	v_bfe_u32 v24, v25, 24, 7
	v_mov_b32_e32 v19, 0x7f800001
	s_mov_b32 s27, exec_lo
	s_delay_alu instid0(VALU_DEP_2)
	v_cmpx_ne_u32_e32 0x7f, v24
	s_cbranch_execz .LBB4_2876
; %bb.2873:                             ;   in Loop: Header=BB4_2406 Depth=2
	v_dual_lshrrev_b32 v19, 3, v24 :: v_dual_bitop2_b32 v54, 7, v23 bitop3:0x40
	s_mov_b32 s28, exec_lo
	v_cmpx_gt_u32_e32 8, v24
; %bb.2874:                             ;   in Loop: Header=BB4_2406 Depth=2
	s_delay_alu instid0(VALU_DEP_2) | instskip(NEXT) | instid1(VALU_DEP_1)
	v_clz_i32_u32_e32 v19, v54
	v_min_u32_e32 v19, 32, v19
	s_delay_alu instid0(VALU_DEP_1) | instskip(NEXT) | instid1(VALU_DEP_1)
	v_subrev_nc_u32_e32 v24, 28, v19
	v_lshlrev_b64_e32 v[24:25], v24, v[54:55]
	s_delay_alu instid0(VALU_DEP_1)
	v_dual_sub_nc_u32 v19, 29, v19 :: v_dual_bitop2_b32 v54, 7, v24 bitop3:0x40
; %bb.2875:                             ;   in Loop: Header=BB4_2406 Depth=2
	s_or_b32 exec_lo, exec_lo, s28
	s_delay_alu instid0(VALU_DEP_1) | instskip(NEXT) | instid1(VALU_DEP_2)
	v_dual_lshlrev_b32 v23, 24, v23 :: v_dual_lshlrev_b32 v24, 20, v54
	v_lshl_add_u32 v19, v19, 23, 0x3c000000
	s_delay_alu instid0(VALU_DEP_2) | instskip(NEXT) | instid1(VALU_DEP_1)
	v_and_b32_e32 v23, 0x80000000, v23
	v_or3_b32 v19, v24, v23, v19
.LBB4_2876:                             ;   in Loop: Header=BB4_2406 Depth=2
	s_or_b32 exec_lo, exec_lo, s27
.LBB4_2877:                             ;   in Loop: Header=BB4_2406 Depth=2
	s_delay_alu instid0(SALU_CYCLE_1)
	s_or_b32 exec_lo, exec_lo, s26
.LBB4_2878:                             ;   in Loop: Header=BB4_2406 Depth=2
	s_delay_alu instid0(SALU_CYCLE_1) | instskip(NEXT) | instid1(SALU_CYCLE_1)
	s_or_b32 exec_lo, exec_lo, s7
	s_mov_b32 s7, exec_lo
	v_cmpx_lt_u64_e64 s[12:13], v[20:21]
	s_cbranch_execz .LBB4_2886
; %bb.2879:                             ;   in Loop: Header=BB4_2406 Depth=2
	v_lshrrev_b32_e32 v20, 24, v21
	v_bfrev_b32_e32 v18, 1
	s_mov_b32 s26, exec_lo
	s_delay_alu instid0(VALU_DEP_2)
	v_cmpx_ne_u32_e32 0x80, v20
	s_cbranch_execz .LBB4_2885
; %bb.2880:                             ;   in Loop: Header=BB4_2406 Depth=2
	v_bfe_u32 v21, v21, 24, 7
	v_mov_b32_e32 v18, 0x7f800001
	s_mov_b32 s27, exec_lo
	s_delay_alu instid0(VALU_DEP_2)
	v_cmpx_ne_u32_e32 0x7f, v21
	s_cbranch_execz .LBB4_2884
; %bb.2881:                             ;   in Loop: Header=BB4_2406 Depth=2
	v_dual_lshrrev_b32 v18, 3, v21 :: v_dual_bitop2_b32 v54, 7, v20 bitop3:0x40
	s_mov_b32 s28, exec_lo
	v_cmpx_gt_u32_e32 8, v21
; %bb.2882:                             ;   in Loop: Header=BB4_2406 Depth=2
	s_delay_alu instid0(VALU_DEP_2) | instskip(NEXT) | instid1(VALU_DEP_1)
	v_clz_i32_u32_e32 v18, v54
	v_min_u32_e32 v18, 32, v18
	s_delay_alu instid0(VALU_DEP_1) | instskip(NEXT) | instid1(VALU_DEP_1)
	v_subrev_nc_u32_e32 v21, 28, v18
	v_lshlrev_b64_e32 v[24:25], v21, v[54:55]
	s_delay_alu instid0(VALU_DEP_1)
	v_dual_sub_nc_u32 v18, 29, v18 :: v_dual_bitop2_b32 v54, 7, v24 bitop3:0x40
; %bb.2883:                             ;   in Loop: Header=BB4_2406 Depth=2
	s_or_b32 exec_lo, exec_lo, s28
	s_delay_alu instid0(VALU_DEP_1) | instskip(NEXT) | instid1(VALU_DEP_2)
	v_dual_lshlrev_b32 v20, 24, v20 :: v_dual_lshlrev_b32 v21, 20, v54
	v_lshl_add_u32 v18, v18, 23, 0x3c000000
	s_delay_alu instid0(VALU_DEP_2) | instskip(NEXT) | instid1(VALU_DEP_1)
	v_and_b32_e32 v20, 0x80000000, v20
	v_or3_b32 v18, v21, v20, v18
.LBB4_2884:                             ;   in Loop: Header=BB4_2406 Depth=2
	s_or_b32 exec_lo, exec_lo, s27
.LBB4_2885:                             ;   in Loop: Header=BB4_2406 Depth=2
	s_delay_alu instid0(SALU_CYCLE_1)
	s_or_b32 exec_lo, exec_lo, s26
.LBB4_2886:                             ;   in Loop: Header=BB4_2406 Depth=2
	s_delay_alu instid0(SALU_CYCLE_1) | instskip(NEXT) | instid1(VALU_DEP_1)
	s_or_b32 exec_lo, exec_lo, s7
	v_mul_f32_e32 v18, v19, v18
                                        ; implicit-def: $vgpr23
	s_mov_b32 s7, exec_lo
	s_delay_alu instid0(VALU_DEP_1) | instskip(SKIP_1) | instid1(VALU_DEP_2)
	v_and_b32_e32 v54, 0x7f800000, v18
	v_lshrrev_b32_e32 v19, 24, v18
	v_cmpx_ne_u64_e32 0x7f800000, v[54:55]
	s_xor_b32 s26, exec_lo, s7
	s_cbranch_execz .LBB4_2900
; %bb.2887:                             ;   in Loop: Header=BB4_2406 Depth=2
	v_and_b32_e32 v54, 0x7fffffff, v18
	v_and_b32_e32 v24, 0x80, v19
                                        ; implicit-def: $vgpr23
	s_mov_b32 s7, exec_lo
	s_delay_alu instid0(VALU_DEP_2)
	v_cmpx_gt_u64_e32 0x43e00001, v[54:55]
	s_xor_b32 s27, exec_lo, s7
	s_cbranch_execz .LBB4_2897
; %bb.2888:                             ;   in Loop: Header=BB4_2406 Depth=2
	v_mov_b32_e32 v23, 0
	s_mov_b32 s28, exec_lo
	v_cmpx_ne_u32_e32 0, v18
	s_cbranch_execz .LBB4_2896
; %bb.2889:                             ;   in Loop: Header=BB4_2406 Depth=2
	v_bfe_u32 v23, v18, 23, 8
	v_and_b32_e32 v20, 0x7fffff, v18
	s_delay_alu instid0(VALU_DEP_2) | instskip(NEXT) | instid1(VALU_DEP_2)
	v_cmp_gt_u32_e32 vcc_lo, 0x7a, v23
	v_or_b32_e32 v21, 0x800000, v20
	v_sub_nc_u32_e32 v19, 0x79, v23
	s_delay_alu instid0(VALU_DEP_1) | instskip(SKIP_1) | instid1(VALU_DEP_2)
	v_cndmask_b32_e32 v19, 0, v19, vcc_lo
	v_cmp_eq_u32_e32 vcc_lo, 0, v23
	v_cndmask_b32_e64 v25, v19, 0x78, vcc_lo
	s_delay_alu instid0(VALU_DEP_1) | instskip(SKIP_1) | instid1(VALU_DEP_2)
	v_dual_cndmask_b32 v54, v21, v20, vcc_lo :: v_dual_add_nc_u32 v18, 20, v25
	v_add_nc_u32_e32 v59, 19, v25
	v_lshlrev_b64_e64 v[18:19], v18, -1
	s_delay_alu instid0(VALU_DEP_2) | instskip(NEXT) | instid1(VALU_DEP_2)
	v_lshlrev_b64_e64 v[20:21], v59, 1
	v_bfi_b32 v61, v19, 0, 0
	s_delay_alu instid0(VALU_DEP_3) | instskip(SKIP_1) | instid1(VALU_DEP_2)
	v_bfi_b32 v60, v18, 0, v54
	v_lshrrev_b64 v[18:19], v25, v[54:55]
	v_cmp_eq_u64_e64 s7, v[60:61], v[20:21]
	s_delay_alu instid0(VALU_DEP_2)
	v_mov_b64_e32 v[20:21], v[18:19]
	s_and_saveexec_b32 s29, s7
; %bb.2890:                             ;   in Loop: Header=BB4_2406 Depth=2
	v_bfe_u32 v54, v18, 20, 1
	s_delay_alu instid0(VALU_DEP_1) | instskip(NEXT) | instid1(VALU_DEP_1)
	v_add_nc_u64_e32 v[20:21], v[18:19], v[54:55]
	v_add_nc_u64_e32 v[20:21], -1, v[20:21]
; %bb.2891:                             ;   in Loop: Header=BB4_2406 Depth=2
	s_or_b32 exec_lo, exec_lo, s29
	v_add_nc_u32_e32 v19, 0xffffff81, v23
	v_lshrrev_b32_e32 v21, 23, v18
	s_mov_b32 s7, exec_lo
	s_delay_alu instid0(VALU_DEP_2) | instskip(NEXT) | instid1(VALU_DEP_1)
	v_cndmask_b32_e64 v19, v19, 0xffffff82, vcc_lo
	v_add3_u32 v21, v25, v19, v21
	v_and_b32_e32 v19, 0xfffff, v20
                                        ; implicit-def: $vgpr20
	s_delay_alu instid0(VALU_DEP_1) | instskip(NEXT) | instid1(VALU_DEP_1)
	v_dual_add_nc_u32 v23, 6, v21 :: v_dual_add_nc_u32 v54, v19, v18
                                        ; implicit-def: $vgpr18_vgpr19
	v_cmpx_ne_u32_e32 0, v23
	s_xor_b32 s7, exec_lo, s7
; %bb.2892:                             ;   in Loop: Header=BB4_2406 Depth=2
	s_delay_alu instid0(VALU_DEP_2) | instskip(SKIP_1) | instid1(VALU_DEP_1)
	v_cmp_lt_u64_e32 vcc_lo, 0xffffff, v[54:55]
	v_add_nc_u32_e32 v18, 7, v21
	v_cndmask_b32_e32 v20, v23, v18, vcc_lo
	v_cndmask_b32_e64 v18, 0, 1, vcc_lo
	s_delay_alu instid0(VALU_DEP_1)
	v_lshrrev_b64 v[18:19], v18, v[54:55]
; %bb.2893:                             ;   in Loop: Header=BB4_2406 Depth=2
	s_and_not1_saveexec_b32 s7, s7
; %bb.2894:                             ;   in Loop: Header=BB4_2406 Depth=2
	v_mov_b64_e32 v[18:19], v[54:55]
	v_bfe_u32 v20, v54, 23, 1
; %bb.2895:                             ;   in Loop: Header=BB4_2406 Depth=2
	s_or_b32 exec_lo, exec_lo, s7
	s_delay_alu instid0(VALU_DEP_2) | instskip(NEXT) | instid1(VALU_DEP_2)
	v_lshrrev_b64 v[18:19], 20, v[18:19]
	v_cmp_gt_i32_e32 vcc_lo, 16, v20
	v_min_i32_e32 v21, 15, v20
	v_cmp_eq_u32_e64 s7, 0, v20
	s_delay_alu instid0(VALU_DEP_2) | instskip(SKIP_1) | instid1(VALU_DEP_2)
	v_dual_cndmask_b32 v19, 0, v19, vcc_lo :: v_dual_lshlrev_b32 v21, 3, v21
	v_cndmask_b32_e32 v18, 7, v18, vcc_lo
	v_and_b32_e32 v21, 0xf8, v21
	s_delay_alu instid0(VALU_DEP_2) | instskip(NEXT) | instid1(VALU_DEP_2)
	v_cmp_eq_u64_e32 vcc_lo, 0, v[18:19]
	v_and_or_b32 v18, v18, 7, v21
	s_and_b32 s7, s7, vcc_lo
	s_delay_alu instid0(VALU_DEP_1) | instid1(SALU_CYCLE_1)
	v_cndmask_b32_e64 v18, v18, 0, s7
	s_delay_alu instid0(VALU_DEP_1)
	v_or_b32_e32 v23, v18, v24
.LBB4_2896:                             ;   in Loop: Header=BB4_2406 Depth=2
	s_or_b32 exec_lo, exec_lo, s28
                                        ; implicit-def: $vgpr24
.LBB4_2897:                             ;   in Loop: Header=BB4_2406 Depth=2
	s_and_not1_saveexec_b32 s7, s27
; %bb.2898:                             ;   in Loop: Header=BB4_2406 Depth=2
	v_or_b32_e32 v23, 0x7e, v24
; %bb.2899:                             ;   in Loop: Header=BB4_2406 Depth=2
	s_or_b32 exec_lo, exec_lo, s7
                                        ; implicit-def: $vgpr19
.LBB4_2900:                             ;   in Loop: Header=BB4_2406 Depth=2
	s_and_not1_saveexec_b32 s7, s26
; %bb.2901:                             ;   in Loop: Header=BB4_2406 Depth=2
	v_or_b32_e32 v23, 0x7f, v19
; %bb.2902:                             ;   in Loop: Header=BB4_2406 Depth=2
	s_or_b32 exec_lo, exec_lo, s7
	v_and_b32_e32 v20, 0xff, v14
	v_dual_mov_b32 v18, 0 :: v_dual_mov_b32 v19, 0
	s_mov_b32 s7, exec_lo
	s_delay_alu instid0(VALU_DEP_2)
	v_cmpx_ne_u16_e32 0, v20
	s_cbranch_execz .LBB4_2908
; %bb.2903:                             ;   in Loop: Header=BB4_2406 Depth=2
	v_bfrev_b32_e32 v19, 1
	s_mov_b32 s26, exec_lo
	v_cmpx_ne_u16_e32 0x80, v20
	s_cbranch_execz .LBB4_2907
; %bb.2904:                             ;   in Loop: Header=BB4_2406 Depth=2
	v_and_b32_e32 v20, 0x7f, v14
	v_mov_b32_e32 v19, 0x7f800001
	s_mov_b32 s27, exec_lo
	s_delay_alu instid0(VALU_DEP_2)
	v_cmpx_ne_u32_e32 0x7f, v20
	s_cbranch_execz .LBB4_2906
; %bb.2905:                             ;   in Loop: Header=BB4_2406 Depth=2
	v_dual_lshrrev_b32 v21, 3, v20 :: v_dual_bitop2_b32 v19, 7, v14 bitop3:0x40
	v_cmp_gt_u32_e32 vcc_lo, 8, v20
	s_delay_alu instid0(VALU_DEP_2) | instskip(NEXT) | instid1(VALU_DEP_1)
	v_clz_i32_u32_e32 v19, v19
	v_min_u32_e32 v19, 32, v19
	s_delay_alu instid0(VALU_DEP_1) | instskip(NEXT) | instid1(VALU_DEP_1)
	v_subrev_nc_u32_e32 v24, 28, v19
	v_dual_cndmask_b32 v20, 0, v24 :: v_dual_sub_nc_u32 v19, 29, v19
	s_delay_alu instid0(VALU_DEP_1) | instskip(NEXT) | instid1(VALU_DEP_2)
	v_cndmask_b32_e32 v19, v21, v19, vcc_lo
	v_lshlrev_b64_e32 v[20:21], v20, v[14:15]
	v_lshlrev_b32_e32 v21, 24, v14
	s_delay_alu instid0(VALU_DEP_3) | instskip(NEXT) | instid1(VALU_DEP_2)
	v_lshl_add_u32 v19, v19, 23, 0x3c000000
	v_and_b32_e32 v21, 0x80000000, v21
	s_delay_alu instid0(VALU_DEP_4) | instskip(NEXT) | instid1(VALU_DEP_1)
	v_lshlrev_b32_e32 v20, 20, v20
	v_and_b32_e32 v20, 0x700000, v20
	s_delay_alu instid0(VALU_DEP_1)
	v_or3_b32 v19, v20, v21, v19
.LBB4_2906:                             ;   in Loop: Header=BB4_2406 Depth=2
	s_or_b32 exec_lo, exec_lo, s27
.LBB4_2907:                             ;   in Loop: Header=BB4_2406 Depth=2
	s_delay_alu instid0(SALU_CYCLE_1)
	s_or_b32 exec_lo, exec_lo, s26
.LBB4_2908:                             ;   in Loop: Header=BB4_2406 Depth=2
	s_delay_alu instid0(SALU_CYCLE_1) | instskip(SKIP_3) | instid1(VALU_DEP_1)
	s_or_b32 exec_lo, exec_lo, s7
	s_wait_loadcnt 0x0
	v_and_b32_e32 v20, 0xff, v10
	s_mov_b32 s7, exec_lo
	v_cmpx_ne_u16_e32 0, v20
	s_cbranch_execz .LBB4_2914
; %bb.2909:                             ;   in Loop: Header=BB4_2406 Depth=2
	v_bfrev_b32_e32 v18, 1
	s_mov_b32 s26, exec_lo
	v_cmpx_ne_u16_e32 0x80, v20
	s_cbranch_execz .LBB4_2913
; %bb.2910:                             ;   in Loop: Header=BB4_2406 Depth=2
	v_and_b32_e32 v20, 0x7f, v10
	v_mov_b32_e32 v18, 0x7f800001
	s_mov_b32 s27, exec_lo
	s_delay_alu instid0(VALU_DEP_2)
	v_cmpx_ne_u32_e32 0x7f, v20
	s_cbranch_execz .LBB4_2912
; %bb.2911:                             ;   in Loop: Header=BB4_2406 Depth=2
	v_dual_lshrrev_b32 v21, 3, v20 :: v_dual_bitop2_b32 v18, 7, v10 bitop3:0x40
	v_cmp_gt_u32_e32 vcc_lo, 8, v20
	s_delay_alu instid0(VALU_DEP_2) | instskip(NEXT) | instid1(VALU_DEP_1)
	v_clz_i32_u32_e32 v18, v18
	v_min_u32_e32 v18, 32, v18
	s_delay_alu instid0(VALU_DEP_1) | instskip(NEXT) | instid1(VALU_DEP_1)
	v_subrev_nc_u32_e32 v24, 28, v18
	v_dual_sub_nc_u32 v18, 29, v18 :: v_dual_cndmask_b32 v20, 0, v24, vcc_lo
	s_delay_alu instid0(VALU_DEP_1) | instskip(NEXT) | instid1(VALU_DEP_2)
	v_cndmask_b32_e32 v18, v21, v18, vcc_lo
	v_lshlrev_b64_e32 v[20:21], v20, v[10:11]
	v_lshlrev_b32_e32 v21, 24, v10
	s_delay_alu instid0(VALU_DEP_1) | instskip(NEXT) | instid1(VALU_DEP_3)
	v_and_b32_e32 v21, 0x80000000, v21
	v_lshlrev_b32_e32 v20, 20, v20
	v_lshl_add_u32 v18, v18, 23, 0x3c000000
	s_delay_alu instid0(VALU_DEP_2) | instskip(NEXT) | instid1(VALU_DEP_1)
	v_and_b32_e32 v20, 0x700000, v20
	v_or3_b32 v18, v20, v21, v18
.LBB4_2912:                             ;   in Loop: Header=BB4_2406 Depth=2
	s_or_b32 exec_lo, exec_lo, s27
.LBB4_2913:                             ;   in Loop: Header=BB4_2406 Depth=2
	s_delay_alu instid0(SALU_CYCLE_1)
	s_or_b32 exec_lo, exec_lo, s26
.LBB4_2914:                             ;   in Loop: Header=BB4_2406 Depth=2
	s_delay_alu instid0(SALU_CYCLE_1) | instskip(NEXT) | instid1(VALU_DEP_1)
	s_or_b32 exec_lo, exec_lo, s7
	v_mul_f32_e32 v18, v19, v18
                                        ; implicit-def: $vgpr24
	s_mov_b32 s7, exec_lo
	s_delay_alu instid0(VALU_DEP_1) | instskip(SKIP_1) | instid1(VALU_DEP_2)
	v_and_b32_e32 v54, 0x7f800000, v18
	v_lshrrev_b32_e32 v19, 24, v18
	v_cmpx_ne_u64_e32 0x7f800000, v[54:55]
	s_xor_b32 s26, exec_lo, s7
	s_cbranch_execz .LBB4_2928
; %bb.2915:                             ;   in Loop: Header=BB4_2406 Depth=2
	v_and_b32_e32 v54, 0x7fffffff, v18
	v_and_b32_e32 v25, 0x80, v19
                                        ; implicit-def: $vgpr24
	s_mov_b32 s7, exec_lo
	s_delay_alu instid0(VALU_DEP_2)
	v_cmpx_gt_u64_e32 0x43e00001, v[54:55]
	s_xor_b32 s27, exec_lo, s7
	s_cbranch_execz .LBB4_2925
; %bb.2916:                             ;   in Loop: Header=BB4_2406 Depth=2
	v_mov_b32_e32 v24, 0
	s_mov_b32 s28, exec_lo
	v_cmpx_ne_u32_e32 0, v18
	s_cbranch_execz .LBB4_2924
; %bb.2917:                             ;   in Loop: Header=BB4_2406 Depth=2
	v_bfe_u32 v24, v18, 23, 8
	v_and_b32_e32 v20, 0x7fffff, v18
	s_delay_alu instid0(VALU_DEP_2) | instskip(SKIP_1) | instid1(VALU_DEP_3)
	v_sub_nc_u32_e32 v19, 0x79, v24
	v_cmp_gt_u32_e32 vcc_lo, 0x7a, v24
	v_or_b32_e32 v21, 0x800000, v20
	s_delay_alu instid0(VALU_DEP_3) | instskip(SKIP_1) | instid1(VALU_DEP_3)
	v_cndmask_b32_e32 v19, 0, v19, vcc_lo
	v_cmp_eq_u32_e32 vcc_lo, 0, v24
	v_cndmask_b32_e32 v54, v21, v20, vcc_lo
	s_delay_alu instid0(VALU_DEP_3) | instskip(NEXT) | instid1(VALU_DEP_1)
	v_cndmask_b32_e64 v59, v19, 0x78, vcc_lo
	v_dual_add_nc_u32 v18, 20, v59 :: v_dual_add_nc_u32 v60, 19, v59
	s_delay_alu instid0(VALU_DEP_1) | instskip(NEXT) | instid1(VALU_DEP_2)
	v_lshlrev_b64_e64 v[18:19], v18, -1
	v_lshlrev_b64_e64 v[20:21], v60, 1
	s_delay_alu instid0(VALU_DEP_2) | instskip(NEXT) | instid1(VALU_DEP_3)
	v_bfi_b32 v61, v19, 0, 0
	v_bfi_b32 v60, v18, 0, v54
	v_lshrrev_b64 v[18:19], v59, v[54:55]
	s_delay_alu instid0(VALU_DEP_2) | instskip(NEXT) | instid1(VALU_DEP_2)
	v_cmp_eq_u64_e64 s7, v[60:61], v[20:21]
	v_mov_b64_e32 v[20:21], v[18:19]
	s_and_saveexec_b32 s29, s7
; %bb.2918:                             ;   in Loop: Header=BB4_2406 Depth=2
	v_bfe_u32 v54, v18, 20, 1
	s_delay_alu instid0(VALU_DEP_1) | instskip(NEXT) | instid1(VALU_DEP_1)
	v_add_nc_u64_e32 v[20:21], v[18:19], v[54:55]
	v_add_nc_u64_e32 v[20:21], -1, v[20:21]
; %bb.2919:                             ;   in Loop: Header=BB4_2406 Depth=2
	s_or_b32 exec_lo, exec_lo, s29
	v_add_nc_u32_e32 v19, 0xffffff81, v24
	v_lshrrev_b32_e32 v21, 23, v18
	s_mov_b32 s7, exec_lo
	s_delay_alu instid0(VALU_DEP_2) | instskip(NEXT) | instid1(VALU_DEP_1)
	v_cndmask_b32_e64 v19, v19, 0xffffff82, vcc_lo
	v_add3_u32 v21, v59, v19, v21
	v_and_b32_e32 v19, 0xfffff, v20
                                        ; implicit-def: $vgpr20
	s_delay_alu instid0(VALU_DEP_1) | instskip(NEXT) | instid1(VALU_DEP_1)
	v_dual_add_nc_u32 v24, 6, v21 :: v_dual_add_nc_u32 v54, v19, v18
                                        ; implicit-def: $vgpr18_vgpr19
	v_cmpx_ne_u32_e32 0, v24
	s_xor_b32 s7, exec_lo, s7
; %bb.2920:                             ;   in Loop: Header=BB4_2406 Depth=2
	s_delay_alu instid0(VALU_DEP_2) | instskip(SKIP_1) | instid1(VALU_DEP_1)
	v_cmp_lt_u64_e32 vcc_lo, 0xffffff, v[54:55]
	v_add_nc_u32_e32 v18, 7, v21
	v_cndmask_b32_e32 v20, v24, v18, vcc_lo
	v_cndmask_b32_e64 v18, 0, 1, vcc_lo
	s_delay_alu instid0(VALU_DEP_1)
	v_lshrrev_b64 v[18:19], v18, v[54:55]
; %bb.2921:                             ;   in Loop: Header=BB4_2406 Depth=2
	s_and_not1_saveexec_b32 s7, s7
; %bb.2922:                             ;   in Loop: Header=BB4_2406 Depth=2
	v_mov_b64_e32 v[18:19], v[54:55]
	v_bfe_u32 v20, v54, 23, 1
; %bb.2923:                             ;   in Loop: Header=BB4_2406 Depth=2
	s_or_b32 exec_lo, exec_lo, s7
	s_delay_alu instid0(VALU_DEP_2) | instskip(NEXT) | instid1(VALU_DEP_2)
	v_lshrrev_b64 v[18:19], 20, v[18:19]
	v_cmp_gt_i32_e32 vcc_lo, 16, v20
	v_min_i32_e32 v21, 15, v20
	v_cmp_eq_u32_e64 s7, 0, v20
	s_delay_alu instid0(VALU_DEP_2) | instskip(SKIP_1) | instid1(VALU_DEP_2)
	v_dual_cndmask_b32 v19, 0, v19, vcc_lo :: v_dual_lshlrev_b32 v21, 3, v21
	v_cndmask_b32_e32 v18, 7, v18, vcc_lo
	v_and_b32_e32 v21, 0xf8, v21
	s_delay_alu instid0(VALU_DEP_2) | instskip(NEXT) | instid1(VALU_DEP_2)
	v_cmp_eq_u64_e32 vcc_lo, 0, v[18:19]
	v_and_or_b32 v18, v18, 7, v21
	s_and_b32 s7, s7, vcc_lo
	s_delay_alu instid0(VALU_DEP_1) | instid1(SALU_CYCLE_1)
	v_cndmask_b32_e64 v18, v18, 0, s7
	s_delay_alu instid0(VALU_DEP_1)
	v_or_b32_e32 v24, v18, v25
.LBB4_2924:                             ;   in Loop: Header=BB4_2406 Depth=2
	s_or_b32 exec_lo, exec_lo, s28
                                        ; implicit-def: $vgpr25
.LBB4_2925:                             ;   in Loop: Header=BB4_2406 Depth=2
	s_and_not1_saveexec_b32 s7, s27
; %bb.2926:                             ;   in Loop: Header=BB4_2406 Depth=2
	v_or_b32_e32 v24, 0x7e, v25
; %bb.2927:                             ;   in Loop: Header=BB4_2406 Depth=2
	s_or_b32 exec_lo, exec_lo, s7
                                        ; implicit-def: $vgpr19
.LBB4_2928:                             ;   in Loop: Header=BB4_2406 Depth=2
	s_and_not1_saveexec_b32 s7, s26
; %bb.2929:                             ;   in Loop: Header=BB4_2406 Depth=2
	v_or_b32_e32 v24, 0x7f, v19
; %bb.2930:                             ;   in Loop: Header=BB4_2406 Depth=2
	s_or_b32 exec_lo, exec_lo, s7
	v_lshrrev_b16 v20, 8, v14
	v_dual_mov_b32 v18, 0 :: v_dual_mov_b32 v19, 0
	s_mov_b32 s7, exec_lo
	s_delay_alu instid0(VALU_DEP_2)
	v_cmpx_ne_u16_e32 0, v20
	s_cbranch_execz .LBB4_2938
; %bb.2931:                             ;   in Loop: Header=BB4_2406 Depth=2
	v_bfrev_b32_e32 v19, 1
	s_mov_b32 s26, exec_lo
	v_cmpx_ne_u16_e32 0x80, v20
	s_cbranch_execz .LBB4_2937
; %bb.2932:                             ;   in Loop: Header=BB4_2406 Depth=2
	v_and_b32_e32 v21, 0xffff, v20
	v_mov_b32_e32 v19, 0x7f800001
	s_mov_b32 s27, exec_lo
	s_delay_alu instid0(VALU_DEP_2) | instskip(NEXT) | instid1(VALU_DEP_1)
	v_and_b32_e32 v20, 0x7f, v21
	v_cmpx_ne_u32_e32 0x7f, v20
	s_cbranch_execz .LBB4_2936
; %bb.2933:                             ;   in Loop: Header=BB4_2406 Depth=2
	v_dual_lshrrev_b32 v19, 3, v20 :: v_dual_bitop2_b32 v54, 7, v21 bitop3:0x40
	s_mov_b32 s28, exec_lo
	v_cmpx_gt_u32_e32 8, v20
; %bb.2934:                             ;   in Loop: Header=BB4_2406 Depth=2
	s_delay_alu instid0(VALU_DEP_2) | instskip(NEXT) | instid1(VALU_DEP_1)
	v_clz_i32_u32_e32 v19, v54
	v_min_u32_e32 v19, 32, v19
	s_delay_alu instid0(VALU_DEP_1) | instskip(NEXT) | instid1(VALU_DEP_1)
	v_subrev_nc_u32_e32 v20, 28, v19
	v_lshlrev_b64_e32 v[20:21], v20, v[54:55]
	s_delay_alu instid0(VALU_DEP_1)
	v_dual_sub_nc_u32 v19, 29, v19 :: v_dual_bitop2_b32 v54, 7, v20 bitop3:0x40
; %bb.2935:                             ;   in Loop: Header=BB4_2406 Depth=2
	s_or_b32 exec_lo, exec_lo, s28
	v_lshlrev_b32_e32 v20, 16, v14
	s_delay_alu instid0(VALU_DEP_2) | instskip(NEXT) | instid1(VALU_DEP_3)
	v_lshlrev_b32_e32 v21, 20, v54
	v_lshl_add_u32 v19, v19, 23, 0x3c000000
	s_delay_alu instid0(VALU_DEP_3) | instskip(NEXT) | instid1(VALU_DEP_1)
	v_and_b32_e32 v20, 0x80000000, v20
	v_or3_b32 v19, v21, v20, v19
.LBB4_2936:                             ;   in Loop: Header=BB4_2406 Depth=2
	s_or_b32 exec_lo, exec_lo, s27
.LBB4_2937:                             ;   in Loop: Header=BB4_2406 Depth=2
	s_delay_alu instid0(SALU_CYCLE_1)
	s_or_b32 exec_lo, exec_lo, s26
.LBB4_2938:                             ;   in Loop: Header=BB4_2406 Depth=2
	s_delay_alu instid0(SALU_CYCLE_1) | instskip(SKIP_2) | instid1(VALU_DEP_1)
	s_or_b32 exec_lo, exec_lo, s7
	v_lshrrev_b16 v20, 8, v10
	s_mov_b32 s7, exec_lo
	v_cmpx_ne_u16_e32 0, v20
	s_cbranch_execz .LBB4_2946
; %bb.2939:                             ;   in Loop: Header=BB4_2406 Depth=2
	v_bfrev_b32_e32 v18, 1
	s_mov_b32 s26, exec_lo
	v_cmpx_ne_u16_e32 0x80, v20
	s_cbranch_execz .LBB4_2945
; %bb.2940:                             ;   in Loop: Header=BB4_2406 Depth=2
	v_and_b32_e32 v21, 0xffff, v20
	v_mov_b32_e32 v18, 0x7f800001
	s_mov_b32 s27, exec_lo
	s_delay_alu instid0(VALU_DEP_2) | instskip(NEXT) | instid1(VALU_DEP_1)
	v_and_b32_e32 v20, 0x7f, v21
	v_cmpx_ne_u32_e32 0x7f, v20
	s_cbranch_execz .LBB4_2944
; %bb.2941:                             ;   in Loop: Header=BB4_2406 Depth=2
	v_dual_lshrrev_b32 v18, 3, v20 :: v_dual_bitop2_b32 v54, 7, v21 bitop3:0x40
	s_mov_b32 s28, exec_lo
	v_cmpx_gt_u32_e32 8, v20
; %bb.2942:                             ;   in Loop: Header=BB4_2406 Depth=2
	s_delay_alu instid0(VALU_DEP_2) | instskip(NEXT) | instid1(VALU_DEP_1)
	v_clz_i32_u32_e32 v18, v54
	v_min_u32_e32 v18, 32, v18
	s_delay_alu instid0(VALU_DEP_1) | instskip(NEXT) | instid1(VALU_DEP_1)
	v_subrev_nc_u32_e32 v20, 28, v18
	v_lshlrev_b64_e32 v[20:21], v20, v[54:55]
	s_delay_alu instid0(VALU_DEP_1)
	v_dual_sub_nc_u32 v18, 29, v18 :: v_dual_bitop2_b32 v54, 7, v20 bitop3:0x40
; %bb.2943:                             ;   in Loop: Header=BB4_2406 Depth=2
	s_or_b32 exec_lo, exec_lo, s28
	v_lshlrev_b32_e32 v20, 16, v10
	s_delay_alu instid0(VALU_DEP_2) | instskip(NEXT) | instid1(VALU_DEP_3)
	v_lshlrev_b32_e32 v21, 20, v54
	v_lshl_add_u32 v18, v18, 23, 0x3c000000
	s_delay_alu instid0(VALU_DEP_3) | instskip(NEXT) | instid1(VALU_DEP_1)
	v_and_b32_e32 v20, 0x80000000, v20
	v_or3_b32 v18, v21, v20, v18
.LBB4_2944:                             ;   in Loop: Header=BB4_2406 Depth=2
	s_or_b32 exec_lo, exec_lo, s27
.LBB4_2945:                             ;   in Loop: Header=BB4_2406 Depth=2
	s_delay_alu instid0(SALU_CYCLE_1)
	s_or_b32 exec_lo, exec_lo, s26
.LBB4_2946:                             ;   in Loop: Header=BB4_2406 Depth=2
	s_delay_alu instid0(SALU_CYCLE_1) | instskip(NEXT) | instid1(VALU_DEP_1)
	s_or_b32 exec_lo, exec_lo, s7
	v_mul_f32_e32 v18, v19, v18
                                        ; implicit-def: $vgpr25
	s_mov_b32 s7, exec_lo
	s_delay_alu instid0(VALU_DEP_1) | instskip(SKIP_1) | instid1(VALU_DEP_2)
	v_and_b32_e32 v54, 0x7f800000, v18
	v_lshrrev_b32_e32 v19, 24, v18
	v_cmpx_ne_u64_e32 0x7f800000, v[54:55]
	s_xor_b32 s26, exec_lo, s7
	s_cbranch_execz .LBB4_2960
; %bb.2947:                             ;   in Loop: Header=BB4_2406 Depth=2
	v_and_b32_e32 v54, 0x7fffffff, v18
	v_and_b32_e32 v59, 0x80, v19
                                        ; implicit-def: $vgpr25
	s_mov_b32 s7, exec_lo
	s_delay_alu instid0(VALU_DEP_2)
	v_cmpx_gt_u64_e32 0x43e00001, v[54:55]
	s_xor_b32 s27, exec_lo, s7
	s_cbranch_execz .LBB4_2957
; %bb.2948:                             ;   in Loop: Header=BB4_2406 Depth=2
	v_mov_b32_e32 v25, 0
	s_mov_b32 s28, exec_lo
	v_cmpx_ne_u32_e32 0, v18
	s_cbranch_execz .LBB4_2956
; %bb.2949:                             ;   in Loop: Header=BB4_2406 Depth=2
	v_bfe_u32 v25, v18, 23, 8
	v_and_b32_e32 v20, 0x7fffff, v18
	s_delay_alu instid0(VALU_DEP_2) | instskip(NEXT) | instid1(VALU_DEP_2)
	v_cmp_gt_u32_e32 vcc_lo, 0x7a, v25
	v_or_b32_e32 v21, 0x800000, v20
	v_sub_nc_u32_e32 v19, 0x79, v25
	s_delay_alu instid0(VALU_DEP_1) | instskip(SKIP_1) | instid1(VALU_DEP_2)
	v_cndmask_b32_e32 v19, 0, v19, vcc_lo
	v_cmp_eq_u32_e32 vcc_lo, 0, v25
	v_cndmask_b32_e64 v60, v19, 0x78, vcc_lo
	v_cndmask_b32_e32 v54, v21, v20, vcc_lo
	s_delay_alu instid0(VALU_DEP_2) | instskip(NEXT) | instid1(VALU_DEP_1)
	v_dual_add_nc_u32 v18, 20, v60 :: v_dual_add_nc_u32 v61, 19, v60
	v_lshlrev_b64_e64 v[18:19], v18, -1
	s_delay_alu instid0(VALU_DEP_2) | instskip(NEXT) | instid1(VALU_DEP_2)
	v_lshlrev_b64_e64 v[20:21], v61, 1
	v_bfi_b32 v63, v19, 0, 0
	s_delay_alu instid0(VALU_DEP_3) | instskip(SKIP_1) | instid1(VALU_DEP_2)
	v_bfi_b32 v62, v18, 0, v54
	v_lshrrev_b64 v[18:19], v60, v[54:55]
	v_cmp_eq_u64_e64 s7, v[62:63], v[20:21]
	s_delay_alu instid0(VALU_DEP_2)
	v_mov_b64_e32 v[20:21], v[18:19]
	s_and_saveexec_b32 s29, s7
; %bb.2950:                             ;   in Loop: Header=BB4_2406 Depth=2
	v_bfe_u32 v54, v18, 20, 1
	s_delay_alu instid0(VALU_DEP_1) | instskip(NEXT) | instid1(VALU_DEP_1)
	v_add_nc_u64_e32 v[20:21], v[18:19], v[54:55]
	v_add_nc_u64_e32 v[20:21], -1, v[20:21]
; %bb.2951:                             ;   in Loop: Header=BB4_2406 Depth=2
	s_or_b32 exec_lo, exec_lo, s29
	v_add_nc_u32_e32 v19, 0xffffff81, v25
	v_lshrrev_b32_e32 v21, 23, v18
	s_mov_b32 s7, exec_lo
	s_delay_alu instid0(VALU_DEP_2) | instskip(NEXT) | instid1(VALU_DEP_1)
	v_cndmask_b32_e64 v19, v19, 0xffffff82, vcc_lo
	v_add3_u32 v21, v60, v19, v21
	v_and_b32_e32 v19, 0xfffff, v20
                                        ; implicit-def: $vgpr20
	s_delay_alu instid0(VALU_DEP_1) | instskip(NEXT) | instid1(VALU_DEP_1)
	v_dual_add_nc_u32 v25, 6, v21 :: v_dual_add_nc_u32 v54, v19, v18
                                        ; implicit-def: $vgpr18_vgpr19
	v_cmpx_ne_u32_e32 0, v25
	s_xor_b32 s7, exec_lo, s7
; %bb.2952:                             ;   in Loop: Header=BB4_2406 Depth=2
	s_delay_alu instid0(VALU_DEP_2) | instskip(SKIP_1) | instid1(VALU_DEP_1)
	v_cmp_lt_u64_e32 vcc_lo, 0xffffff, v[54:55]
	v_add_nc_u32_e32 v18, 7, v21
	v_cndmask_b32_e32 v20, v25, v18, vcc_lo
	v_cndmask_b32_e64 v18, 0, 1, vcc_lo
	s_delay_alu instid0(VALU_DEP_1)
	v_lshrrev_b64 v[18:19], v18, v[54:55]
; %bb.2953:                             ;   in Loop: Header=BB4_2406 Depth=2
	s_and_not1_saveexec_b32 s7, s7
; %bb.2954:                             ;   in Loop: Header=BB4_2406 Depth=2
	v_mov_b64_e32 v[18:19], v[54:55]
	v_bfe_u32 v20, v54, 23, 1
; %bb.2955:                             ;   in Loop: Header=BB4_2406 Depth=2
	s_or_b32 exec_lo, exec_lo, s7
	s_delay_alu instid0(VALU_DEP_2) | instskip(NEXT) | instid1(VALU_DEP_2)
	v_lshrrev_b64 v[18:19], 20, v[18:19]
	v_cmp_gt_i32_e32 vcc_lo, 16, v20
	v_min_i32_e32 v21, 15, v20
	v_cmp_eq_u32_e64 s7, 0, v20
	s_delay_alu instid0(VALU_DEP_2) | instskip(SKIP_1) | instid1(VALU_DEP_2)
	v_dual_cndmask_b32 v19, 0, v19, vcc_lo :: v_dual_lshlrev_b32 v21, 3, v21
	v_cndmask_b32_e32 v18, 7, v18, vcc_lo
	v_and_b32_e32 v21, 0xf8, v21
	s_delay_alu instid0(VALU_DEP_2) | instskip(NEXT) | instid1(VALU_DEP_2)
	v_cmp_eq_u64_e32 vcc_lo, 0, v[18:19]
	v_and_or_b32 v18, v18, 7, v21
	s_and_b32 s7, s7, vcc_lo
	s_delay_alu instid0(VALU_DEP_1) | instid1(SALU_CYCLE_1)
	v_cndmask_b32_e64 v18, v18, 0, s7
	s_delay_alu instid0(VALU_DEP_1)
	v_or_b32_e32 v25, v18, v59
.LBB4_2956:                             ;   in Loop: Header=BB4_2406 Depth=2
	s_or_b32 exec_lo, exec_lo, s28
                                        ; implicit-def: $vgpr59
.LBB4_2957:                             ;   in Loop: Header=BB4_2406 Depth=2
	s_and_not1_saveexec_b32 s7, s27
; %bb.2958:                             ;   in Loop: Header=BB4_2406 Depth=2
	v_or_b32_e32 v25, 0x7e, v59
; %bb.2959:                             ;   in Loop: Header=BB4_2406 Depth=2
	s_or_b32 exec_lo, exec_lo, s7
                                        ; implicit-def: $vgpr19
.LBB4_2960:                             ;   in Loop: Header=BB4_2406 Depth=2
	s_and_not1_saveexec_b32 s7, s26
; %bb.2961:                             ;   in Loop: Header=BB4_2406 Depth=2
	v_or_b32_e32 v25, 0x7f, v19
; %bb.2962:                             ;   in Loop: Header=BB4_2406 Depth=2
	s_or_b32 exec_lo, exec_lo, s7
	v_dual_lshrrev_b32 v20, 16, v14 :: v_dual_mov_b32 v18, 0
	v_mov_b32_e32 v19, 0
	s_mov_b32 s7, exec_lo
	s_delay_alu instid0(VALU_DEP_2) | instskip(NEXT) | instid1(VALU_DEP_1)
	v_and_b32_e32 v21, 0xff, v20
	v_cmpx_ne_u16_e32 0, v21
	s_cbranch_execz .LBB4_2970
; %bb.2963:                             ;   in Loop: Header=BB4_2406 Depth=2
	v_bfrev_b32_e32 v19, 1
	s_mov_b32 s26, exec_lo
	v_cmpx_ne_u16_e32 0x80, v21
	s_cbranch_execz .LBB4_2969
; %bb.2964:                             ;   in Loop: Header=BB4_2406 Depth=2
	v_bfe_u32 v21, v14, 16, 7
	v_mov_b32_e32 v19, 0x7f800001
	s_mov_b32 s27, exec_lo
	s_delay_alu instid0(VALU_DEP_2)
	v_cmpx_ne_u32_e32 0x7f, v21
	s_cbranch_execz .LBB4_2968
; %bb.2965:                             ;   in Loop: Header=BB4_2406 Depth=2
	v_dual_lshrrev_b32 v19, 3, v21 :: v_dual_bitop2_b32 v54, 7, v20 bitop3:0x40
	s_mov_b32 s28, exec_lo
	v_cmpx_gt_u32_e32 8, v21
; %bb.2966:                             ;   in Loop: Header=BB4_2406 Depth=2
	s_delay_alu instid0(VALU_DEP_2) | instskip(NEXT) | instid1(VALU_DEP_1)
	v_clz_i32_u32_e32 v19, v54
	v_min_u32_e32 v19, 32, v19
	s_delay_alu instid0(VALU_DEP_1) | instskip(NEXT) | instid1(VALU_DEP_1)
	v_subrev_nc_u32_e32 v21, 28, v19
	v_lshlrev_b64_e32 v[60:61], v21, v[54:55]
	s_delay_alu instid0(VALU_DEP_1)
	v_dual_sub_nc_u32 v19, 29, v19 :: v_dual_bitop2_b32 v54, 7, v60 bitop3:0x40
; %bb.2967:                             ;   in Loop: Header=BB4_2406 Depth=2
	s_or_b32 exec_lo, exec_lo, s28
	s_delay_alu instid0(VALU_DEP_1) | instskip(NEXT) | instid1(VALU_DEP_2)
	v_dual_lshlrev_b32 v20, 24, v20 :: v_dual_lshlrev_b32 v21, 20, v54
	v_lshl_add_u32 v19, v19, 23, 0x3c000000
	s_delay_alu instid0(VALU_DEP_2) | instskip(NEXT) | instid1(VALU_DEP_1)
	v_and_b32_e32 v20, 0x80000000, v20
	v_or3_b32 v19, v21, v20, v19
.LBB4_2968:                             ;   in Loop: Header=BB4_2406 Depth=2
	s_or_b32 exec_lo, exec_lo, s27
.LBB4_2969:                             ;   in Loop: Header=BB4_2406 Depth=2
	s_delay_alu instid0(SALU_CYCLE_1)
	s_or_b32 exec_lo, exec_lo, s26
.LBB4_2970:                             ;   in Loop: Header=BB4_2406 Depth=2
	s_delay_alu instid0(SALU_CYCLE_1) | instskip(SKIP_2) | instid1(VALU_DEP_1)
	s_or_b32 exec_lo, exec_lo, s7
	v_lshrrev_b32_e32 v20, 16, v10
	s_mov_b32 s7, exec_lo
	v_and_b32_e32 v21, 0xff, v20
	s_delay_alu instid0(VALU_DEP_1)
	v_cmpx_ne_u16_e32 0, v21
	s_cbranch_execz .LBB4_2978
; %bb.2971:                             ;   in Loop: Header=BB4_2406 Depth=2
	v_bfrev_b32_e32 v18, 1
	s_mov_b32 s26, exec_lo
	v_cmpx_ne_u16_e32 0x80, v21
	s_cbranch_execz .LBB4_2977
; %bb.2972:                             ;   in Loop: Header=BB4_2406 Depth=2
	v_bfe_u32 v21, v10, 16, 7
	v_mov_b32_e32 v18, 0x7f800001
	s_mov_b32 s27, exec_lo
	s_delay_alu instid0(VALU_DEP_2)
	v_cmpx_ne_u32_e32 0x7f, v21
	s_cbranch_execz .LBB4_2976
; %bb.2973:                             ;   in Loop: Header=BB4_2406 Depth=2
	v_dual_lshrrev_b32 v18, 3, v21 :: v_dual_bitop2_b32 v54, 7, v20 bitop3:0x40
	s_mov_b32 s28, exec_lo
	v_cmpx_gt_u32_e32 8, v21
; %bb.2974:                             ;   in Loop: Header=BB4_2406 Depth=2
	s_delay_alu instid0(VALU_DEP_2) | instskip(NEXT) | instid1(VALU_DEP_1)
	v_clz_i32_u32_e32 v18, v54
	v_min_u32_e32 v18, 32, v18
	s_delay_alu instid0(VALU_DEP_1) | instskip(NEXT) | instid1(VALU_DEP_1)
	v_subrev_nc_u32_e32 v20, 28, v18
	v_lshlrev_b64_e32 v[20:21], v20, v[54:55]
	s_delay_alu instid0(VALU_DEP_1)
	v_dual_sub_nc_u32 v18, 29, v18 :: v_dual_bitop2_b32 v54, 7, v20 bitop3:0x40
; %bb.2975:                             ;   in Loop: Header=BB4_2406 Depth=2
	s_or_b32 exec_lo, exec_lo, s28
	v_lshlrev_b32_e32 v20, 8, v10
	s_delay_alu instid0(VALU_DEP_2) | instskip(NEXT) | instid1(VALU_DEP_3)
	v_lshlrev_b32_e32 v21, 20, v54
	v_lshl_add_u32 v18, v18, 23, 0x3c000000
	s_delay_alu instid0(VALU_DEP_3) | instskip(NEXT) | instid1(VALU_DEP_1)
	v_and_b32_e32 v20, 0x80000000, v20
	v_or3_b32 v18, v21, v20, v18
.LBB4_2976:                             ;   in Loop: Header=BB4_2406 Depth=2
	s_or_b32 exec_lo, exec_lo, s27
.LBB4_2977:                             ;   in Loop: Header=BB4_2406 Depth=2
	s_delay_alu instid0(SALU_CYCLE_1)
	s_or_b32 exec_lo, exec_lo, s26
.LBB4_2978:                             ;   in Loop: Header=BB4_2406 Depth=2
	s_delay_alu instid0(SALU_CYCLE_1) | instskip(NEXT) | instid1(VALU_DEP_1)
	s_or_b32 exec_lo, exec_lo, s7
	v_mul_f32_e32 v18, v19, v18
                                        ; implicit-def: $vgpr59
	s_mov_b32 s7, exec_lo
	s_delay_alu instid0(VALU_DEP_1) | instskip(SKIP_1) | instid1(VALU_DEP_2)
	v_and_b32_e32 v54, 0x7f800000, v18
	v_lshrrev_b32_e32 v19, 24, v18
	v_cmpx_ne_u64_e32 0x7f800000, v[54:55]
	s_xor_b32 s26, exec_lo, s7
	s_cbranch_execz .LBB4_2992
; %bb.2979:                             ;   in Loop: Header=BB4_2406 Depth=2
	v_and_b32_e32 v54, 0x7fffffff, v18
	v_and_b32_e32 v60, 0x80, v19
                                        ; implicit-def: $vgpr59
	s_mov_b32 s7, exec_lo
	s_delay_alu instid0(VALU_DEP_2)
	v_cmpx_gt_u64_e32 0x43e00001, v[54:55]
	s_xor_b32 s27, exec_lo, s7
	s_cbranch_execz .LBB4_2989
; %bb.2980:                             ;   in Loop: Header=BB4_2406 Depth=2
	v_mov_b32_e32 v59, 0
	s_mov_b32 s28, exec_lo
	v_cmpx_ne_u32_e32 0, v18
	s_cbranch_execz .LBB4_2988
; %bb.2981:                             ;   in Loop: Header=BB4_2406 Depth=2
	v_bfe_u32 v59, v18, 23, 8
	v_and_b32_e32 v20, 0x7fffff, v18
	s_delay_alu instid0(VALU_DEP_2) | instskip(NEXT) | instid1(VALU_DEP_2)
	v_cmp_gt_u32_e32 vcc_lo, 0x7a, v59
	v_or_b32_e32 v21, 0x800000, v20
	v_sub_nc_u32_e32 v19, 0x79, v59
	s_delay_alu instid0(VALU_DEP_1) | instskip(SKIP_1) | instid1(VALU_DEP_2)
	v_cndmask_b32_e32 v19, 0, v19, vcc_lo
	v_cmp_eq_u32_e32 vcc_lo, 0, v59
	v_cndmask_b32_e64 v61, v19, 0x78, vcc_lo
	s_delay_alu instid0(VALU_DEP_1) | instskip(SKIP_1) | instid1(VALU_DEP_2)
	v_dual_cndmask_b32 v54, v21, v20, vcc_lo :: v_dual_add_nc_u32 v18, 20, v61
	v_add_nc_u32_e32 v62, 19, v61
	v_lshlrev_b64_e64 v[18:19], v18, -1
	s_delay_alu instid0(VALU_DEP_2) | instskip(NEXT) | instid1(VALU_DEP_2)
	v_lshlrev_b64_e64 v[20:21], v62, 1
	v_bfi_b32 v63, v19, 0, 0
	s_delay_alu instid0(VALU_DEP_3) | instskip(SKIP_1) | instid1(VALU_DEP_2)
	v_bfi_b32 v62, v18, 0, v54
	v_lshrrev_b64 v[18:19], v61, v[54:55]
	v_cmp_eq_u64_e64 s7, v[62:63], v[20:21]
	s_delay_alu instid0(VALU_DEP_2)
	v_mov_b64_e32 v[20:21], v[18:19]
	s_and_saveexec_b32 s29, s7
; %bb.2982:                             ;   in Loop: Header=BB4_2406 Depth=2
	v_bfe_u32 v54, v18, 20, 1
	s_delay_alu instid0(VALU_DEP_1) | instskip(NEXT) | instid1(VALU_DEP_1)
	v_add_nc_u64_e32 v[20:21], v[18:19], v[54:55]
	v_add_nc_u64_e32 v[20:21], -1, v[20:21]
; %bb.2983:                             ;   in Loop: Header=BB4_2406 Depth=2
	s_or_b32 exec_lo, exec_lo, s29
	v_add_nc_u32_e32 v19, 0xffffff81, v59
	v_lshrrev_b32_e32 v21, 23, v18
	s_mov_b32 s7, exec_lo
	s_delay_alu instid0(VALU_DEP_2) | instskip(NEXT) | instid1(VALU_DEP_1)
	v_cndmask_b32_e64 v19, v19, 0xffffff82, vcc_lo
	v_add3_u32 v21, v61, v19, v21
	v_and_b32_e32 v19, 0xfffff, v20
                                        ; implicit-def: $vgpr20
	s_delay_alu instid0(VALU_DEP_1) | instskip(NEXT) | instid1(VALU_DEP_1)
	v_dual_add_nc_u32 v59, 6, v21 :: v_dual_add_nc_u32 v54, v19, v18
                                        ; implicit-def: $vgpr18_vgpr19
	v_cmpx_ne_u32_e32 0, v59
	s_xor_b32 s7, exec_lo, s7
; %bb.2984:                             ;   in Loop: Header=BB4_2406 Depth=2
	s_delay_alu instid0(VALU_DEP_2) | instskip(SKIP_1) | instid1(VALU_DEP_1)
	v_cmp_lt_u64_e32 vcc_lo, 0xffffff, v[54:55]
	v_add_nc_u32_e32 v18, 7, v21
	v_cndmask_b32_e32 v20, v59, v18, vcc_lo
	v_cndmask_b32_e64 v18, 0, 1, vcc_lo
	s_delay_alu instid0(VALU_DEP_1)
	v_lshrrev_b64 v[18:19], v18, v[54:55]
; %bb.2985:                             ;   in Loop: Header=BB4_2406 Depth=2
	s_and_not1_saveexec_b32 s7, s7
; %bb.2986:                             ;   in Loop: Header=BB4_2406 Depth=2
	v_mov_b64_e32 v[18:19], v[54:55]
	v_bfe_u32 v20, v54, 23, 1
; %bb.2987:                             ;   in Loop: Header=BB4_2406 Depth=2
	s_or_b32 exec_lo, exec_lo, s7
	s_delay_alu instid0(VALU_DEP_2) | instskip(NEXT) | instid1(VALU_DEP_2)
	v_lshrrev_b64 v[18:19], 20, v[18:19]
	v_cmp_gt_i32_e32 vcc_lo, 16, v20
	v_min_i32_e32 v21, 15, v20
	v_cmp_eq_u32_e64 s7, 0, v20
	s_delay_alu instid0(VALU_DEP_2) | instskip(SKIP_1) | instid1(VALU_DEP_2)
	v_dual_cndmask_b32 v19, 0, v19, vcc_lo :: v_dual_lshlrev_b32 v21, 3, v21
	v_cndmask_b32_e32 v18, 7, v18, vcc_lo
	v_and_b32_e32 v21, 0xf8, v21
	s_delay_alu instid0(VALU_DEP_2) | instskip(NEXT) | instid1(VALU_DEP_2)
	v_cmp_eq_u64_e32 vcc_lo, 0, v[18:19]
	v_and_or_b32 v18, v18, 7, v21
	s_and_b32 s7, s7, vcc_lo
	s_delay_alu instid0(VALU_DEP_1) | instid1(SALU_CYCLE_1)
	v_cndmask_b32_e64 v18, v18, 0, s7
	s_delay_alu instid0(VALU_DEP_1)
	v_or_b32_e32 v59, v18, v60
.LBB4_2988:                             ;   in Loop: Header=BB4_2406 Depth=2
	s_or_b32 exec_lo, exec_lo, s28
                                        ; implicit-def: $vgpr60
.LBB4_2989:                             ;   in Loop: Header=BB4_2406 Depth=2
	s_and_not1_saveexec_b32 s7, s27
; %bb.2990:                             ;   in Loop: Header=BB4_2406 Depth=2
	v_or_b32_e32 v59, 0x7e, v60
; %bb.2991:                             ;   in Loop: Header=BB4_2406 Depth=2
	s_or_b32 exec_lo, exec_lo, s7
                                        ; implicit-def: $vgpr19
.LBB4_2992:                             ;   in Loop: Header=BB4_2406 Depth=2
	s_and_not1_saveexec_b32 s7, s26
; %bb.2993:                             ;   in Loop: Header=BB4_2406 Depth=2
	v_or_b32_e32 v59, 0x7f, v19
; %bb.2994:                             ;   in Loop: Header=BB4_2406 Depth=2
	s_or_b32 exec_lo, exec_lo, s7
	v_dual_mov_b32 v18, 0 :: v_dual_mov_b32 v19, 0
	s_mov_b32 s7, exec_lo
	v_cmpx_lt_u32_e32 0xffffff, v14
	s_cbranch_execz .LBB4_3002
; %bb.2995:                             ;   in Loop: Header=BB4_2406 Depth=2
	v_lshrrev_b32_e32 v20, 24, v14
	v_bfrev_b32_e32 v19, 1
	s_mov_b32 s26, exec_lo
	s_delay_alu instid0(VALU_DEP_2)
	v_cmpx_ne_u32_e32 0x80, v20
	s_cbranch_execz .LBB4_3001
; %bb.2996:                             ;   in Loop: Header=BB4_2406 Depth=2
	v_bfe_u32 v21, v14, 24, 7
	v_mov_b32_e32 v19, 0x7f800001
	s_mov_b32 s27, exec_lo
	s_delay_alu instid0(VALU_DEP_2)
	v_cmpx_ne_u32_e32 0x7f, v21
	s_cbranch_execz .LBB4_3000
; %bb.2997:                             ;   in Loop: Header=BB4_2406 Depth=2
	v_dual_lshrrev_b32 v19, 3, v21 :: v_dual_bitop2_b32 v54, 7, v20 bitop3:0x40
	s_mov_b32 s28, exec_lo
	v_cmpx_gt_u32_e32 8, v21
; %bb.2998:                             ;   in Loop: Header=BB4_2406 Depth=2
	s_delay_alu instid0(VALU_DEP_2) | instskip(NEXT) | instid1(VALU_DEP_1)
	v_clz_i32_u32_e32 v19, v54
	v_min_u32_e32 v19, 32, v19
	s_delay_alu instid0(VALU_DEP_1) | instskip(NEXT) | instid1(VALU_DEP_1)
	v_subrev_nc_u32_e32 v21, 28, v19
	v_lshlrev_b64_e32 v[60:61], v21, v[54:55]
	s_delay_alu instid0(VALU_DEP_1)
	v_dual_sub_nc_u32 v19, 29, v19 :: v_dual_bitop2_b32 v54, 7, v60 bitop3:0x40
; %bb.2999:                             ;   in Loop: Header=BB4_2406 Depth=2
	s_or_b32 exec_lo, exec_lo, s28
	s_delay_alu instid0(VALU_DEP_1) | instskip(NEXT) | instid1(VALU_DEP_2)
	v_dual_lshlrev_b32 v20, 24, v20 :: v_dual_lshlrev_b32 v21, 20, v54
	v_lshl_add_u32 v19, v19, 23, 0x3c000000
	s_delay_alu instid0(VALU_DEP_2) | instskip(NEXT) | instid1(VALU_DEP_1)
	v_and_b32_e32 v20, 0x80000000, v20
	v_or3_b32 v19, v21, v20, v19
.LBB4_3000:                             ;   in Loop: Header=BB4_2406 Depth=2
	s_or_b32 exec_lo, exec_lo, s27
.LBB4_3001:                             ;   in Loop: Header=BB4_2406 Depth=2
	s_delay_alu instid0(SALU_CYCLE_1)
	s_or_b32 exec_lo, exec_lo, s26
.LBB4_3002:                             ;   in Loop: Header=BB4_2406 Depth=2
	s_delay_alu instid0(SALU_CYCLE_1) | instskip(NEXT) | instid1(SALU_CYCLE_1)
	s_or_b32 exec_lo, exec_lo, s7
	s_mov_b32 s7, exec_lo
	v_cmpx_lt_u32_e32 0xffffff, v10
	s_cbranch_execz .LBB4_3010
; %bb.3003:                             ;   in Loop: Header=BB4_2406 Depth=2
	v_lshrrev_b32_e32 v20, 24, v10
	v_bfrev_b32_e32 v18, 1
	s_mov_b32 s26, exec_lo
	s_delay_alu instid0(VALU_DEP_2)
	v_cmpx_ne_u32_e32 0x80, v20
	s_cbranch_execz .LBB4_3009
; %bb.3004:                             ;   in Loop: Header=BB4_2406 Depth=2
	v_bfe_u32 v21, v10, 24, 7
	v_mov_b32_e32 v18, 0x7f800001
	s_mov_b32 s27, exec_lo
	s_delay_alu instid0(VALU_DEP_2)
	v_cmpx_ne_u32_e32 0x7f, v21
	s_cbranch_execz .LBB4_3008
; %bb.3005:                             ;   in Loop: Header=BB4_2406 Depth=2
	v_dual_lshrrev_b32 v18, 3, v21 :: v_dual_bitop2_b32 v54, 7, v20 bitop3:0x40
	s_mov_b32 s28, exec_lo
	v_cmpx_gt_u32_e32 8, v21
; %bb.3006:                             ;   in Loop: Header=BB4_2406 Depth=2
	s_delay_alu instid0(VALU_DEP_2) | instskip(NEXT) | instid1(VALU_DEP_1)
	v_clz_i32_u32_e32 v18, v54
	v_min_u32_e32 v18, 32, v18
	s_delay_alu instid0(VALU_DEP_1) | instskip(NEXT) | instid1(VALU_DEP_1)
	v_subrev_nc_u32_e32 v21, 28, v18
	v_lshlrev_b64_e32 v[60:61], v21, v[54:55]
	s_delay_alu instid0(VALU_DEP_1)
	v_dual_sub_nc_u32 v18, 29, v18 :: v_dual_bitop2_b32 v54, 7, v60 bitop3:0x40
; %bb.3007:                             ;   in Loop: Header=BB4_2406 Depth=2
	s_or_b32 exec_lo, exec_lo, s28
	s_delay_alu instid0(VALU_DEP_1) | instskip(NEXT) | instid1(VALU_DEP_2)
	v_dual_lshlrev_b32 v20, 24, v20 :: v_dual_lshlrev_b32 v21, 20, v54
	v_lshl_add_u32 v18, v18, 23, 0x3c000000
	s_delay_alu instid0(VALU_DEP_2) | instskip(NEXT) | instid1(VALU_DEP_1)
	v_and_b32_e32 v20, 0x80000000, v20
	v_or3_b32 v18, v21, v20, v18
.LBB4_3008:                             ;   in Loop: Header=BB4_2406 Depth=2
	s_or_b32 exec_lo, exec_lo, s27
.LBB4_3009:                             ;   in Loop: Header=BB4_2406 Depth=2
	s_delay_alu instid0(SALU_CYCLE_1)
	s_or_b32 exec_lo, exec_lo, s26
.LBB4_3010:                             ;   in Loop: Header=BB4_2406 Depth=2
	s_delay_alu instid0(SALU_CYCLE_1) | instskip(NEXT) | instid1(VALU_DEP_1)
	s_or_b32 exec_lo, exec_lo, s7
	v_mul_f32_e32 v18, v19, v18
                                        ; implicit-def: $vgpr60
	s_mov_b32 s7, exec_lo
	s_delay_alu instid0(VALU_DEP_1) | instskip(SKIP_1) | instid1(VALU_DEP_2)
	v_and_b32_e32 v54, 0x7f800000, v18
	v_lshrrev_b32_e32 v19, 24, v18
	v_cmpx_ne_u64_e32 0x7f800000, v[54:55]
	s_xor_b32 s26, exec_lo, s7
	s_cbranch_execz .LBB4_3024
; %bb.3011:                             ;   in Loop: Header=BB4_2406 Depth=2
	v_and_b32_e32 v54, 0x7fffffff, v18
	v_and_b32_e32 v61, 0x80, v19
                                        ; implicit-def: $vgpr60
	s_mov_b32 s7, exec_lo
	s_delay_alu instid0(VALU_DEP_2)
	v_cmpx_gt_u64_e32 0x43e00001, v[54:55]
	s_xor_b32 s27, exec_lo, s7
	s_cbranch_execz .LBB4_3021
; %bb.3012:                             ;   in Loop: Header=BB4_2406 Depth=2
	v_mov_b32_e32 v60, 0
	s_mov_b32 s28, exec_lo
	v_cmpx_ne_u32_e32 0, v18
	s_cbranch_execz .LBB4_3020
; %bb.3013:                             ;   in Loop: Header=BB4_2406 Depth=2
	v_bfe_u32 v60, v18, 23, 8
	v_and_b32_e32 v20, 0x7fffff, v18
	s_delay_alu instid0(VALU_DEP_2) | instskip(SKIP_1) | instid1(VALU_DEP_3)
	v_sub_nc_u32_e32 v19, 0x79, v60
	v_cmp_gt_u32_e32 vcc_lo, 0x7a, v60
	v_or_b32_e32 v21, 0x800000, v20
	s_delay_alu instid0(VALU_DEP_3) | instskip(SKIP_1) | instid1(VALU_DEP_2)
	v_cndmask_b32_e32 v19, 0, v19, vcc_lo
	v_cmp_eq_u32_e32 vcc_lo, 0, v60
	v_cndmask_b32_e64 v62, v19, 0x78, vcc_lo
	s_delay_alu instid0(VALU_DEP_1) | instskip(SKIP_1) | instid1(VALU_DEP_2)
	v_dual_cndmask_b32 v54, v21, v20 :: v_dual_add_nc_u32 v63, 19, v62
	v_add_nc_u32_e32 v18, 20, v62
	v_lshlrev_b64_e64 v[20:21], v63, 1
	s_delay_alu instid0(VALU_DEP_2) | instskip(NEXT) | instid1(VALU_DEP_1)
	v_lshlrev_b64_e64 v[18:19], v18, -1
	v_bfi_b32 v73, v19, 0, 0
	s_delay_alu instid0(VALU_DEP_2) | instskip(SKIP_1) | instid1(VALU_DEP_2)
	v_bfi_b32 v72, v18, 0, v54
	v_lshrrev_b64 v[18:19], v62, v[54:55]
	v_cmp_eq_u64_e64 s7, v[72:73], v[20:21]
	s_delay_alu instid0(VALU_DEP_2)
	v_mov_b64_e32 v[20:21], v[18:19]
	s_and_saveexec_b32 s29, s7
; %bb.3014:                             ;   in Loop: Header=BB4_2406 Depth=2
	v_bfe_u32 v54, v18, 20, 1
	s_delay_alu instid0(VALU_DEP_1) | instskip(NEXT) | instid1(VALU_DEP_1)
	v_add_nc_u64_e32 v[20:21], v[18:19], v[54:55]
	v_add_nc_u64_e32 v[20:21], -1, v[20:21]
; %bb.3015:                             ;   in Loop: Header=BB4_2406 Depth=2
	s_or_b32 exec_lo, exec_lo, s29
	v_add_nc_u32_e32 v19, 0xffffff81, v60
	v_lshrrev_b32_e32 v21, 23, v18
	s_mov_b32 s7, exec_lo
	s_delay_alu instid0(VALU_DEP_2) | instskip(NEXT) | instid1(VALU_DEP_1)
	v_cndmask_b32_e64 v19, v19, 0xffffff82, vcc_lo
	v_add3_u32 v21, v62, v19, v21
	v_and_b32_e32 v19, 0xfffff, v20
                                        ; implicit-def: $vgpr20
	s_delay_alu instid0(VALU_DEP_1) | instskip(NEXT) | instid1(VALU_DEP_1)
	v_dual_add_nc_u32 v60, 6, v21 :: v_dual_add_nc_u32 v54, v19, v18
                                        ; implicit-def: $vgpr18_vgpr19
	v_cmpx_ne_u32_e32 0, v60
	s_xor_b32 s7, exec_lo, s7
; %bb.3016:                             ;   in Loop: Header=BB4_2406 Depth=2
	s_delay_alu instid0(VALU_DEP_2) | instskip(SKIP_1) | instid1(VALU_DEP_1)
	v_cmp_lt_u64_e32 vcc_lo, 0xffffff, v[54:55]
	v_add_nc_u32_e32 v18, 7, v21
	v_cndmask_b32_e32 v20, v60, v18, vcc_lo
	v_cndmask_b32_e64 v18, 0, 1, vcc_lo
	s_delay_alu instid0(VALU_DEP_1)
	v_lshrrev_b64 v[18:19], v18, v[54:55]
; %bb.3017:                             ;   in Loop: Header=BB4_2406 Depth=2
	s_and_not1_saveexec_b32 s7, s7
; %bb.3018:                             ;   in Loop: Header=BB4_2406 Depth=2
	v_mov_b64_e32 v[18:19], v[54:55]
	v_bfe_u32 v20, v54, 23, 1
; %bb.3019:                             ;   in Loop: Header=BB4_2406 Depth=2
	s_or_b32 exec_lo, exec_lo, s7
	s_delay_alu instid0(VALU_DEP_2) | instskip(NEXT) | instid1(VALU_DEP_2)
	v_lshrrev_b64 v[18:19], 20, v[18:19]
	v_cmp_gt_i32_e32 vcc_lo, 16, v20
	v_min_i32_e32 v21, 15, v20
	v_cmp_eq_u32_e64 s7, 0, v20
	s_delay_alu instid0(VALU_DEP_2) | instskip(SKIP_1) | instid1(VALU_DEP_2)
	v_dual_cndmask_b32 v19, 0, v19, vcc_lo :: v_dual_lshlrev_b32 v21, 3, v21
	v_cndmask_b32_e32 v18, 7, v18, vcc_lo
	v_and_b32_e32 v21, 0xf8, v21
	s_delay_alu instid0(VALU_DEP_2) | instskip(NEXT) | instid1(VALU_DEP_2)
	v_cmp_eq_u64_e32 vcc_lo, 0, v[18:19]
	v_and_or_b32 v18, v18, 7, v21
	s_and_b32 s7, s7, vcc_lo
	s_delay_alu instid0(VALU_DEP_1) | instid1(SALU_CYCLE_1)
	v_cndmask_b32_e64 v18, v18, 0, s7
	s_delay_alu instid0(VALU_DEP_1)
	v_or_b32_e32 v60, v18, v61
.LBB4_3020:                             ;   in Loop: Header=BB4_2406 Depth=2
	s_or_b32 exec_lo, exec_lo, s28
                                        ; implicit-def: $vgpr61
.LBB4_3021:                             ;   in Loop: Header=BB4_2406 Depth=2
	s_and_not1_saveexec_b32 s7, s27
; %bb.3022:                             ;   in Loop: Header=BB4_2406 Depth=2
	v_or_b32_e32 v60, 0x7e, v61
; %bb.3023:                             ;   in Loop: Header=BB4_2406 Depth=2
	s_or_b32 exec_lo, exec_lo, s7
                                        ; implicit-def: $vgpr19
.LBB4_3024:                             ;   in Loop: Header=BB4_2406 Depth=2
	s_and_not1_saveexec_b32 s7, s26
; %bb.3025:                             ;   in Loop: Header=BB4_2406 Depth=2
	v_or_b32_e32 v60, 0x7f, v19
; %bb.3026:                             ;   in Loop: Header=BB4_2406 Depth=2
	s_or_b32 exec_lo, exec_lo, s7
	v_and_b32_e32 v20, 0xff, v15
	v_dual_mov_b32 v54, v15 :: v_dual_mov_b32 v19, 0
	v_mov_b32_e32 v18, 0
	s_mov_b32 s7, exec_lo
	s_delay_alu instid0(VALU_DEP_3)
	v_cmpx_ne_u16_e32 0, v20
	s_cbranch_execz .LBB4_3032
; %bb.3027:                             ;   in Loop: Header=BB4_2406 Depth=2
	v_bfrev_b32_e32 v18, 1
	s_mov_b32 s26, exec_lo
	v_cmpx_ne_u16_e32 0x80, v20
	s_cbranch_execz .LBB4_3031
; %bb.3028:                             ;   in Loop: Header=BB4_2406 Depth=2
	v_and_b32_e32 v20, 0x7f, v15
	v_mov_b32_e32 v18, 0x7f800001
	s_mov_b32 s27, exec_lo
	s_delay_alu instid0(VALU_DEP_2)
	v_cmpx_ne_u32_e32 0x7f, v20
	s_cbranch_execz .LBB4_3030
; %bb.3029:                             ;   in Loop: Header=BB4_2406 Depth=2
	v_dual_lshrrev_b32 v21, 3, v20 :: v_dual_bitop2_b32 v18, 7, v15 bitop3:0x40
	v_cmp_gt_u32_e32 vcc_lo, 8, v20
	s_delay_alu instid0(VALU_DEP_2) | instskip(NEXT) | instid1(VALU_DEP_1)
	v_clz_i32_u32_e32 v18, v18
	v_min_u32_e32 v18, 32, v18
	s_delay_alu instid0(VALU_DEP_1) | instskip(NEXT) | instid1(VALU_DEP_1)
	v_subrev_nc_u32_e32 v61, 28, v18
	v_dual_sub_nc_u32 v18, 29, v18 :: v_dual_cndmask_b32 v20, 0, v61, vcc_lo
	s_delay_alu instid0(VALU_DEP_1) | instskip(NEXT) | instid1(VALU_DEP_2)
	v_cndmask_b32_e32 v18, v21, v18, vcc_lo
	v_lshlrev_b64_e32 v[20:21], v20, v[54:55]
	v_lshlrev_b32_e32 v21, 24, v54
	s_delay_alu instid0(VALU_DEP_1) | instskip(NEXT) | instid1(VALU_DEP_3)
	v_and_b32_e32 v21, 0x80000000, v21
	v_lshlrev_b32_e32 v20, 20, v20
	v_lshl_add_u32 v18, v18, 23, 0x3c000000
	s_delay_alu instid0(VALU_DEP_2) | instskip(NEXT) | instid1(VALU_DEP_1)
	v_and_b32_e32 v20, 0x700000, v20
	v_or3_b32 v18, v20, v21, v18
.LBB4_3030:                             ;   in Loop: Header=BB4_2406 Depth=2
	s_or_b32 exec_lo, exec_lo, s27
.LBB4_3031:                             ;   in Loop: Header=BB4_2406 Depth=2
	s_delay_alu instid0(SALU_CYCLE_1)
	s_or_b32 exec_lo, exec_lo, s26
.LBB4_3032:                             ;   in Loop: Header=BB4_2406 Depth=2
	s_delay_alu instid0(SALU_CYCLE_1) | instskip(SKIP_2) | instid1(VALU_DEP_1)
	s_or_b32 exec_lo, exec_lo, s7
	v_and_b32_e32 v20, 0xff, v11
	s_mov_b32 s7, exec_lo
	v_cmpx_ne_u16_e32 0, v20
	s_cbranch_execz .LBB4_3038
; %bb.3033:                             ;   in Loop: Header=BB4_2406 Depth=2
	v_bfrev_b32_e32 v19, 1
	s_mov_b32 s26, exec_lo
	v_cmpx_ne_u16_e32 0x80, v20
	s_cbranch_execz .LBB4_3037
; %bb.3034:                             ;   in Loop: Header=BB4_2406 Depth=2
	v_and_b32_e32 v20, 0x7f, v11
	v_mov_b32_e32 v19, 0x7f800001
	s_mov_b32 s27, exec_lo
	s_delay_alu instid0(VALU_DEP_2)
	v_cmpx_ne_u32_e32 0x7f, v20
	s_cbranch_execz .LBB4_3036
; %bb.3035:                             ;   in Loop: Header=BB4_2406 Depth=2
	v_dual_lshrrev_b32 v61, 3, v20 :: v_dual_bitop2_b32 v19, 7, v11 bitop3:0x40
	v_cmp_gt_u32_e32 vcc_lo, 8, v20
	v_mov_b32_e32 v20, v11
	s_delay_alu instid0(VALU_DEP_3) | instskip(NEXT) | instid1(VALU_DEP_1)
	v_clz_i32_u32_e32 v19, v19
	v_min_u32_e32 v19, 32, v19
	s_delay_alu instid0(VALU_DEP_1) | instskip(SKIP_1) | instid1(VALU_DEP_2)
	v_sub_nc_u32_e32 v62, 29, v19
	v_subrev_nc_u32_e32 v19, 28, v19
	v_dual_mov_b32 v21, v55 :: v_dual_cndmask_b32 v61, v61, v62, vcc_lo
	s_delay_alu instid0(VALU_DEP_2) | instskip(NEXT) | instid1(VALU_DEP_1)
	v_cndmask_b32_e32 v19, 0, v19, vcc_lo
	v_lshlrev_b64_e32 v[62:63], v19, v[20:21]
	v_lshlrev_b32_e32 v19, 24, v20
	s_delay_alu instid0(VALU_DEP_4) | instskip(NEXT) | instid1(VALU_DEP_2)
	v_lshl_add_u32 v21, v61, 23, 0x3c000000
	v_and_b32_e32 v19, 0x80000000, v19
	s_delay_alu instid0(VALU_DEP_4) | instskip(NEXT) | instid1(VALU_DEP_1)
	v_lshlrev_b32_e32 v20, 20, v62
	v_and_b32_e32 v20, 0x700000, v20
	s_delay_alu instid0(VALU_DEP_1)
	v_or3_b32 v19, v20, v19, v21
.LBB4_3036:                             ;   in Loop: Header=BB4_2406 Depth=2
	s_or_b32 exec_lo, exec_lo, s27
.LBB4_3037:                             ;   in Loop: Header=BB4_2406 Depth=2
	s_delay_alu instid0(SALU_CYCLE_1)
	s_or_b32 exec_lo, exec_lo, s26
.LBB4_3038:                             ;   in Loop: Header=BB4_2406 Depth=2
	s_delay_alu instid0(SALU_CYCLE_1) | instskip(NEXT) | instid1(VALU_DEP_1)
	s_or_b32 exec_lo, exec_lo, s7
	v_dual_mul_f32 v18, v18, v19 :: v_dual_mov_b32 v21, v55
                                        ; implicit-def: $vgpr61
	s_mov_b32 s7, exec_lo
	s_delay_alu instid0(VALU_DEP_1) | instskip(SKIP_1) | instid1(VALU_DEP_2)
	v_and_b32_e32 v20, 0x7f800000, v18
	v_lshrrev_b32_e32 v19, 24, v18
	v_cmpx_ne_u64_e32 0x7f800000, v[20:21]
	s_xor_b32 s26, exec_lo, s7
	s_cbranch_execz .LBB4_3052
; %bb.3039:                             ;   in Loop: Header=BB4_2406 Depth=2
	v_and_b32_e32 v20, 0x7fffffff, v18
	v_mov_b32_e32 v21, v55
	v_and_b32_e32 v62, 0x80, v19
                                        ; implicit-def: $vgpr61
	s_mov_b32 s7, exec_lo
	s_delay_alu instid0(VALU_DEP_2)
	v_cmpx_gt_u64_e32 0x43e00001, v[20:21]
	s_xor_b32 s27, exec_lo, s7
	s_cbranch_execz .LBB4_3049
; %bb.3040:                             ;   in Loop: Header=BB4_2406 Depth=2
	v_mov_b32_e32 v61, 0
	s_mov_b32 s28, exec_lo
	v_cmpx_ne_u32_e32 0, v18
	s_cbranch_execz .LBB4_3048
; %bb.3041:                             ;   in Loop: Header=BB4_2406 Depth=2
	v_bfe_u32 v61, v18, 23, 8
	v_and_b32_e32 v20, 0x7fffff, v18
	s_mov_b32 s29, exec_lo
	s_delay_alu instid0(VALU_DEP_2) | instskip(NEXT) | instid1(VALU_DEP_2)
	v_cmp_gt_u32_e32 vcc_lo, 0x7a, v61
	v_or_b32_e32 v21, 0x800000, v20
	v_sub_nc_u32_e32 v19, 0x79, v61
	s_delay_alu instid0(VALU_DEP_1) | instskip(SKIP_1) | instid1(VALU_DEP_4)
	v_cndmask_b32_e32 v19, 0, v19, vcc_lo
	v_cmp_eq_u32_e32 vcc_lo, 0, v61
	v_dual_cndmask_b32 v20, v21, v20 :: v_dual_mov_b32 v21, v55
	s_delay_alu instid0(VALU_DEP_3) | instskip(NEXT) | instid1(VALU_DEP_1)
	v_cndmask_b32_e64 v63, v19, 0x78, vcc_lo
	v_dual_add_nc_u32 v18, 20, v63 :: v_dual_add_nc_u32 v72, 19, v63
	s_delay_alu instid0(VALU_DEP_1) | instskip(NEXT) | instid1(VALU_DEP_2)
	v_lshlrev_b64_e64 v[18:19], v18, -1
	v_lshlrev_b64_e64 v[72:73], v72, 1
	s_delay_alu instid0(VALU_DEP_2) | instskip(NEXT) | instid1(VALU_DEP_3)
	v_bfi_b32 v75, v19, 0, 0
	v_bfi_b32 v74, v18, 0, v20
	v_lshrrev_b64 v[18:19], v63, v[20:21]
	s_delay_alu instid0(VALU_DEP_1) | instskip(NEXT) | instid1(VALU_DEP_3)
	v_mov_b64_e32 v[20:21], v[18:19]
	v_cmpx_eq_u64_e64 v[74:75], v[72:73]
; %bb.3042:                             ;   in Loop: Header=BB4_2406 Depth=2
	v_bfe_u32 v20, v18, 20, 1
	v_mov_b32_e32 v21, v55
	s_delay_alu instid0(VALU_DEP_1) | instskip(NEXT) | instid1(VALU_DEP_1)
	v_add_nc_u64_e32 v[20:21], v[18:19], v[20:21]
	v_add_nc_u64_e32 v[20:21], -1, v[20:21]
; %bb.3043:                             ;   in Loop: Header=BB4_2406 Depth=2
	s_or_b32 exec_lo, exec_lo, s29
	v_add_nc_u32_e32 v19, 0xffffff81, v61
	v_lshrrev_b32_e32 v21, 23, v18
	s_mov_b32 s7, exec_lo
	s_delay_alu instid0(VALU_DEP_2) | instskip(NEXT) | instid1(VALU_DEP_1)
	v_cndmask_b32_e64 v19, v19, 0xffffff82, vcc_lo
	v_add3_u32 v21, v63, v19, v21
	v_and_b32_e32 v19, 0xfffff, v20
                                        ; implicit-def: $vgpr20
	s_delay_alu instid0(VALU_DEP_1) | instskip(SKIP_1) | instid1(VALU_DEP_2)
	v_dual_add_nc_u32 v61, 6, v21 :: v_dual_add_nc_u32 v18, v19, v18
	v_mov_b32_e32 v19, v55
	v_cmpx_ne_u32_e32 0, v61
	s_xor_b32 s7, exec_lo, s7
; %bb.3044:                             ;   in Loop: Header=BB4_2406 Depth=2
	s_delay_alu instid0(VALU_DEP_2) | instskip(SKIP_2) | instid1(VALU_DEP_2)
	v_cmp_lt_u64_e32 vcc_lo, 0xffffff, v[18:19]
	v_add_nc_u32_e32 v20, 7, v21
	v_cndmask_b32_e64 v21, 0, 1, vcc_lo
	v_cndmask_b32_e32 v20, v61, v20, vcc_lo
	s_delay_alu instid0(VALU_DEP_2)
	v_lshrrev_b64 v[18:19], v21, v[18:19]
; %bb.3045:                             ;   in Loop: Header=BB4_2406 Depth=2
	s_and_not1_saveexec_b32 s7, s7
; %bb.3046:                             ;   in Loop: Header=BB4_2406 Depth=2
	s_delay_alu instid0(VALU_DEP_1)
	v_bfe_u32 v20, v18, 23, 1
; %bb.3047:                             ;   in Loop: Header=BB4_2406 Depth=2
	s_or_b32 exec_lo, exec_lo, s7
	s_delay_alu instid0(VALU_DEP_2) | instskip(NEXT) | instid1(VALU_DEP_2)
	v_lshrrev_b64 v[18:19], 20, v[18:19]
	v_cmp_gt_i32_e32 vcc_lo, 16, v20
	v_min_i32_e32 v21, 15, v20
	v_cmp_eq_u32_e64 s7, 0, v20
	s_delay_alu instid0(VALU_DEP_2) | instskip(SKIP_1) | instid1(VALU_DEP_2)
	v_dual_cndmask_b32 v19, 0, v19, vcc_lo :: v_dual_lshlrev_b32 v21, 3, v21
	v_cndmask_b32_e32 v18, 7, v18, vcc_lo
	v_and_b32_e32 v21, 0xf8, v21
	s_delay_alu instid0(VALU_DEP_2) | instskip(NEXT) | instid1(VALU_DEP_2)
	v_cmp_eq_u64_e32 vcc_lo, 0, v[18:19]
	v_and_or_b32 v18, v18, 7, v21
	s_and_b32 s7, s7, vcc_lo
	s_delay_alu instid0(VALU_DEP_1) | instid1(SALU_CYCLE_1)
	v_cndmask_b32_e64 v18, v18, 0, s7
	s_delay_alu instid0(VALU_DEP_1)
	v_or_b32_e32 v61, v18, v62
.LBB4_3048:                             ;   in Loop: Header=BB4_2406 Depth=2
	s_or_b32 exec_lo, exec_lo, s28
                                        ; implicit-def: $vgpr62
.LBB4_3049:                             ;   in Loop: Header=BB4_2406 Depth=2
	s_and_not1_saveexec_b32 s7, s27
; %bb.3050:                             ;   in Loop: Header=BB4_2406 Depth=2
	v_or_b32_e32 v61, 0x7e, v62
; %bb.3051:                             ;   in Loop: Header=BB4_2406 Depth=2
	s_or_b32 exec_lo, exec_lo, s7
                                        ; implicit-def: $vgpr19
.LBB4_3052:                             ;   in Loop: Header=BB4_2406 Depth=2
	s_and_not1_saveexec_b32 s7, s26
; %bb.3053:                             ;   in Loop: Header=BB4_2406 Depth=2
	v_or_b32_e32 v61, 0x7f, v19
; %bb.3054:                             ;   in Loop: Header=BB4_2406 Depth=2
	s_or_b32 exec_lo, exec_lo, s7
	v_lshrrev_b16 v19, 8, v54
	v_dual_mov_b32 v20, 0 :: v_dual_mov_b32 v18, 0
	s_mov_b32 s7, exec_lo
	s_delay_alu instid0(VALU_DEP_2)
	v_cmpx_ne_u16_e32 0, v19
	s_cbranch_execz .LBB4_3062
; %bb.3055:                             ;   in Loop: Header=BB4_2406 Depth=2
	v_bfrev_b32_e32 v18, 1
	s_mov_b32 s26, exec_lo
	v_cmpx_ne_u16_e32 0x80, v19
	s_cbranch_execz .LBB4_3061
; %bb.3056:                             ;   in Loop: Header=BB4_2406 Depth=2
	v_and_b32_e32 v19, 0xffff, v19
	v_mov_b32_e32 v18, 0x7f800001
	s_mov_b32 s27, exec_lo
	s_delay_alu instid0(VALU_DEP_2) | instskip(NEXT) | instid1(VALU_DEP_1)
	v_and_b32_e32 v62, 0x7f, v19
	v_cmpx_ne_u32_e32 0x7f, v62
	s_cbranch_execz .LBB4_3060
; %bb.3057:                             ;   in Loop: Header=BB4_2406 Depth=2
	v_dual_mov_b32 v19, v55 :: v_dual_bitop2_b32 v18, 7, v19 bitop3:0x40
	v_lshrrev_b32_e32 v21, 3, v62
	s_mov_b32 s28, exec_lo
	v_cmpx_gt_u32_e32 8, v62
; %bb.3058:                             ;   in Loop: Header=BB4_2406 Depth=2
	s_delay_alu instid0(VALU_DEP_3) | instskip(NEXT) | instid1(VALU_DEP_1)
	v_clz_i32_u32_e32 v21, v18
	v_min_u32_e32 v21, 32, v21
	s_delay_alu instid0(VALU_DEP_1) | instskip(NEXT) | instid1(VALU_DEP_1)
	v_subrev_nc_u32_e32 v62, 28, v21
	v_lshlrev_b64_e32 v[18:19], v62, v[18:19]
	s_delay_alu instid0(VALU_DEP_1)
	v_dual_sub_nc_u32 v21, 29, v21 :: v_dual_bitop2_b32 v18, 7, v18 bitop3:0x40
; %bb.3059:                             ;   in Loop: Header=BB4_2406 Depth=2
	s_or_b32 exec_lo, exec_lo, s28
	v_lshlrev_b32_e32 v19, 16, v54
	s_delay_alu instid0(VALU_DEP_2) | instskip(NEXT) | instid1(VALU_DEP_3)
	v_lshlrev_b32_e32 v18, 20, v18
	v_lshl_add_u32 v21, v21, 23, 0x3c000000
	s_delay_alu instid0(VALU_DEP_3) | instskip(NEXT) | instid1(VALU_DEP_1)
	v_and_b32_e32 v19, 0x80000000, v19
	v_or3_b32 v18, v18, v19, v21
.LBB4_3060:                             ;   in Loop: Header=BB4_2406 Depth=2
	s_or_b32 exec_lo, exec_lo, s27
.LBB4_3061:                             ;   in Loop: Header=BB4_2406 Depth=2
	s_delay_alu instid0(SALU_CYCLE_1)
	s_or_b32 exec_lo, exec_lo, s26
.LBB4_3062:                             ;   in Loop: Header=BB4_2406 Depth=2
	s_delay_alu instid0(SALU_CYCLE_1) | instskip(SKIP_2) | instid1(VALU_DEP_1)
	s_or_b32 exec_lo, exec_lo, s7
	v_lshrrev_b16 v19, 8, v11
	s_mov_b32 s7, exec_lo
	v_cmpx_ne_u16_e32 0, v19
	s_cbranch_execz .LBB4_3070
; %bb.3063:                             ;   in Loop: Header=BB4_2406 Depth=2
	v_bfrev_b32_e32 v20, 1
	s_mov_b32 s26, exec_lo
	v_cmpx_ne_u16_e32 0x80, v19
	s_cbranch_execz .LBB4_3069
; %bb.3064:                             ;   in Loop: Header=BB4_2406 Depth=2
	v_and_b32_e32 v19, 0xffff, v19
	v_mov_b32_e32 v20, 0x7f800001
	s_mov_b32 s27, exec_lo
	s_delay_alu instid0(VALU_DEP_2) | instskip(NEXT) | instid1(VALU_DEP_1)
	v_and_b32_e32 v21, 0x7f, v19
	v_cmpx_ne_u32_e32 0x7f, v21
	s_cbranch_execz .LBB4_3068
; %bb.3065:                             ;   in Loop: Header=BB4_2406 Depth=2
	v_dual_lshrrev_b32 v19, 3, v21 :: v_dual_bitop2_b32 v54, 7, v19 bitop3:0x40
	s_mov_b32 s28, exec_lo
	v_cmpx_gt_u32_e32 8, v21
; %bb.3066:                             ;   in Loop: Header=BB4_2406 Depth=2
	s_delay_alu instid0(VALU_DEP_2) | instskip(NEXT) | instid1(VALU_DEP_1)
	v_clz_i32_u32_e32 v19, v54
	v_min_u32_e32 v19, 32, v19
	s_delay_alu instid0(VALU_DEP_1) | instskip(NEXT) | instid1(VALU_DEP_1)
	v_subrev_nc_u32_e32 v20, 28, v19
	v_lshlrev_b64_e32 v[20:21], v20, v[54:55]
	s_delay_alu instid0(VALU_DEP_1)
	v_dual_sub_nc_u32 v19, 29, v19 :: v_dual_bitop2_b32 v54, 7, v20 bitop3:0x40
; %bb.3067:                             ;   in Loop: Header=BB4_2406 Depth=2
	s_or_b32 exec_lo, exec_lo, s28
	s_delay_alu instid0(VALU_DEP_1) | instskip(NEXT) | instid1(VALU_DEP_2)
	v_dual_lshlrev_b32 v20, 16, v11 :: v_dual_lshlrev_b32 v21, 20, v54
	v_lshl_add_u32 v19, v19, 23, 0x3c000000
	s_delay_alu instid0(VALU_DEP_2) | instskip(NEXT) | instid1(VALU_DEP_1)
	v_and_b32_e32 v20, 0x80000000, v20
	v_or3_b32 v20, v21, v20, v19
.LBB4_3068:                             ;   in Loop: Header=BB4_2406 Depth=2
	s_or_b32 exec_lo, exec_lo, s27
.LBB4_3069:                             ;   in Loop: Header=BB4_2406 Depth=2
	s_delay_alu instid0(SALU_CYCLE_1)
	s_or_b32 exec_lo, exec_lo, s26
.LBB4_3070:                             ;   in Loop: Header=BB4_2406 Depth=2
	s_delay_alu instid0(SALU_CYCLE_1) | instskip(NEXT) | instid1(VALU_DEP_1)
	s_or_b32 exec_lo, exec_lo, s7
	v_mul_f32_e32 v18, v18, v20
                                        ; implicit-def: $vgpr62
	s_mov_b32 s7, exec_lo
	s_delay_alu instid0(VALU_DEP_1) | instskip(SKIP_1) | instid1(VALU_DEP_2)
	v_and_b32_e32 v54, 0x7f800000, v18
	v_lshrrev_b32_e32 v19, 24, v18
	v_cmpx_ne_u64_e32 0x7f800000, v[54:55]
	s_xor_b32 s26, exec_lo, s7
	s_cbranch_execz .LBB4_3084
; %bb.3071:                             ;   in Loop: Header=BB4_2406 Depth=2
	v_and_b32_e32 v54, 0x7fffffff, v18
	v_and_b32_e32 v63, 0x80, v19
                                        ; implicit-def: $vgpr62
	s_mov_b32 s7, exec_lo
	s_delay_alu instid0(VALU_DEP_2)
	v_cmpx_gt_u64_e32 0x43e00001, v[54:55]
	s_xor_b32 s27, exec_lo, s7
	s_cbranch_execz .LBB4_3081
; %bb.3072:                             ;   in Loop: Header=BB4_2406 Depth=2
	v_mov_b32_e32 v62, 0
	s_mov_b32 s28, exec_lo
	v_cmpx_ne_u32_e32 0, v18
	s_cbranch_execz .LBB4_3080
; %bb.3073:                             ;   in Loop: Header=BB4_2406 Depth=2
	v_bfe_u32 v62, v18, 23, 8
	v_and_b32_e32 v20, 0x7fffff, v18
	s_delay_alu instid0(VALU_DEP_2) | instskip(NEXT) | instid1(VALU_DEP_2)
	v_cmp_gt_u32_e32 vcc_lo, 0x7a, v62
	v_or_b32_e32 v21, 0x800000, v20
	v_sub_nc_u32_e32 v19, 0x79, v62
	s_delay_alu instid0(VALU_DEP_1) | instskip(SKIP_1) | instid1(VALU_DEP_2)
	v_cndmask_b32_e32 v19, 0, v19, vcc_lo
	v_cmp_eq_u32_e32 vcc_lo, 0, v62
	v_cndmask_b32_e64 v72, v19, 0x78, vcc_lo
	v_cndmask_b32_e32 v54, v21, v20, vcc_lo
	s_delay_alu instid0(VALU_DEP_2) | instskip(NEXT) | instid1(VALU_DEP_1)
	v_dual_add_nc_u32 v18, 20, v72 :: v_dual_add_nc_u32 v73, 19, v72
	v_lshlrev_b64_e64 v[18:19], v18, -1
	s_delay_alu instid0(VALU_DEP_2) | instskip(NEXT) | instid1(VALU_DEP_2)
	v_lshlrev_b64_e64 v[20:21], v73, 1
	v_bfi_b32 v75, v19, 0, 0
	s_delay_alu instid0(VALU_DEP_3) | instskip(SKIP_1) | instid1(VALU_DEP_2)
	v_bfi_b32 v74, v18, 0, v54
	v_lshrrev_b64 v[18:19], v72, v[54:55]
	v_cmp_eq_u64_e64 s7, v[74:75], v[20:21]
	s_delay_alu instid0(VALU_DEP_2)
	v_mov_b64_e32 v[20:21], v[18:19]
	s_and_saveexec_b32 s29, s7
; %bb.3074:                             ;   in Loop: Header=BB4_2406 Depth=2
	v_bfe_u32 v54, v18, 20, 1
	s_delay_alu instid0(VALU_DEP_1) | instskip(NEXT) | instid1(VALU_DEP_1)
	v_add_nc_u64_e32 v[20:21], v[18:19], v[54:55]
	v_add_nc_u64_e32 v[20:21], -1, v[20:21]
; %bb.3075:                             ;   in Loop: Header=BB4_2406 Depth=2
	s_or_b32 exec_lo, exec_lo, s29
	v_add_nc_u32_e32 v19, 0xffffff81, v62
	v_lshrrev_b32_e32 v21, 23, v18
	s_mov_b32 s7, exec_lo
	s_delay_alu instid0(VALU_DEP_2) | instskip(NEXT) | instid1(VALU_DEP_1)
	v_cndmask_b32_e64 v19, v19, 0xffffff82, vcc_lo
	v_add3_u32 v21, v72, v19, v21
	v_and_b32_e32 v19, 0xfffff, v20
                                        ; implicit-def: $vgpr20
	s_delay_alu instid0(VALU_DEP_1) | instskip(NEXT) | instid1(VALU_DEP_1)
	v_dual_add_nc_u32 v62, 6, v21 :: v_dual_add_nc_u32 v54, v19, v18
                                        ; implicit-def: $vgpr18_vgpr19
	v_cmpx_ne_u32_e32 0, v62
	s_xor_b32 s7, exec_lo, s7
; %bb.3076:                             ;   in Loop: Header=BB4_2406 Depth=2
	s_delay_alu instid0(VALU_DEP_2) | instskip(SKIP_1) | instid1(VALU_DEP_1)
	v_cmp_lt_u64_e32 vcc_lo, 0xffffff, v[54:55]
	v_add_nc_u32_e32 v18, 7, v21
	v_cndmask_b32_e32 v20, v62, v18, vcc_lo
	v_cndmask_b32_e64 v18, 0, 1, vcc_lo
	s_delay_alu instid0(VALU_DEP_1)
	v_lshrrev_b64 v[18:19], v18, v[54:55]
; %bb.3077:                             ;   in Loop: Header=BB4_2406 Depth=2
	s_and_not1_saveexec_b32 s7, s7
; %bb.3078:                             ;   in Loop: Header=BB4_2406 Depth=2
	v_mov_b64_e32 v[18:19], v[54:55]
	v_bfe_u32 v20, v54, 23, 1
; %bb.3079:                             ;   in Loop: Header=BB4_2406 Depth=2
	s_or_b32 exec_lo, exec_lo, s7
	s_delay_alu instid0(VALU_DEP_2) | instskip(NEXT) | instid1(VALU_DEP_2)
	v_lshrrev_b64 v[18:19], 20, v[18:19]
	v_cmp_gt_i32_e32 vcc_lo, 16, v20
	v_min_i32_e32 v21, 15, v20
	v_cmp_eq_u32_e64 s7, 0, v20
	s_delay_alu instid0(VALU_DEP_2) | instskip(SKIP_1) | instid1(VALU_DEP_2)
	v_dual_cndmask_b32 v19, 0, v19, vcc_lo :: v_dual_lshlrev_b32 v21, 3, v21
	v_cndmask_b32_e32 v18, 7, v18, vcc_lo
	v_and_b32_e32 v21, 0xf8, v21
	s_delay_alu instid0(VALU_DEP_2) | instskip(NEXT) | instid1(VALU_DEP_2)
	v_cmp_eq_u64_e32 vcc_lo, 0, v[18:19]
	v_and_or_b32 v18, v18, 7, v21
	s_and_b32 s7, s7, vcc_lo
	s_delay_alu instid0(VALU_DEP_1) | instid1(SALU_CYCLE_1)
	v_cndmask_b32_e64 v18, v18, 0, s7
	s_delay_alu instid0(VALU_DEP_1)
	v_or_b32_e32 v62, v18, v63
.LBB4_3080:                             ;   in Loop: Header=BB4_2406 Depth=2
	s_or_b32 exec_lo, exec_lo, s28
                                        ; implicit-def: $vgpr63
.LBB4_3081:                             ;   in Loop: Header=BB4_2406 Depth=2
	s_and_not1_saveexec_b32 s7, s27
; %bb.3082:                             ;   in Loop: Header=BB4_2406 Depth=2
	v_or_b32_e32 v62, 0x7e, v63
; %bb.3083:                             ;   in Loop: Header=BB4_2406 Depth=2
	s_or_b32 exec_lo, exec_lo, s7
                                        ; implicit-def: $vgpr19
.LBB4_3084:                             ;   in Loop: Header=BB4_2406 Depth=2
	s_and_not1_saveexec_b32 s7, s26
; %bb.3085:                             ;   in Loop: Header=BB4_2406 Depth=2
	v_or_b32_e32 v62, 0x7f, v19
; %bb.3086:                             ;   in Loop: Header=BB4_2406 Depth=2
	s_or_b32 exec_lo, exec_lo, s7
	v_dual_lshrrev_b32 v20, 16, v15 :: v_dual_mov_b32 v18, 0
	v_mov_b32_e32 v19, 0
	s_mov_b32 s7, exec_lo
	s_delay_alu instid0(VALU_DEP_2) | instskip(NEXT) | instid1(VALU_DEP_1)
	v_and_b32_e32 v21, 0xff, v20
	v_cmpx_ne_u16_e32 0, v21
	s_cbranch_execz .LBB4_3094
; %bb.3087:                             ;   in Loop: Header=BB4_2406 Depth=2
	v_bfrev_b32_e32 v19, 1
	s_mov_b32 s26, exec_lo
	v_cmpx_ne_u16_e32 0x80, v21
	s_cbranch_execz .LBB4_3093
; %bb.3088:                             ;   in Loop: Header=BB4_2406 Depth=2
	v_bfe_u32 v21, v15, 16, 7
	v_mov_b32_e32 v19, 0x7f800001
	s_mov_b32 s27, exec_lo
	s_delay_alu instid0(VALU_DEP_2)
	v_cmpx_ne_u32_e32 0x7f, v21
	s_cbranch_execz .LBB4_3092
; %bb.3089:                             ;   in Loop: Header=BB4_2406 Depth=2
	v_dual_lshrrev_b32 v19, 3, v21 :: v_dual_bitop2_b32 v54, 7, v20 bitop3:0x40
	s_mov_b32 s28, exec_lo
	v_cmpx_gt_u32_e32 8, v21
; %bb.3090:                             ;   in Loop: Header=BB4_2406 Depth=2
	s_delay_alu instid0(VALU_DEP_2) | instskip(NEXT) | instid1(VALU_DEP_1)
	v_clz_i32_u32_e32 v19, v54
	v_min_u32_e32 v19, 32, v19
	s_delay_alu instid0(VALU_DEP_1) | instskip(NEXT) | instid1(VALU_DEP_1)
	v_subrev_nc_u32_e32 v21, 28, v19
	v_lshlrev_b64_e32 v[72:73], v21, v[54:55]
	s_delay_alu instid0(VALU_DEP_1)
	v_dual_sub_nc_u32 v19, 29, v19 :: v_dual_bitop2_b32 v54, 7, v72 bitop3:0x40
; %bb.3091:                             ;   in Loop: Header=BB4_2406 Depth=2
	s_or_b32 exec_lo, exec_lo, s28
	s_delay_alu instid0(VALU_DEP_1) | instskip(NEXT) | instid1(VALU_DEP_2)
	v_dual_lshlrev_b32 v20, 24, v20 :: v_dual_lshlrev_b32 v21, 20, v54
	v_lshl_add_u32 v19, v19, 23, 0x3c000000
	s_delay_alu instid0(VALU_DEP_2) | instskip(NEXT) | instid1(VALU_DEP_1)
	v_and_b32_e32 v20, 0x80000000, v20
	v_or3_b32 v19, v21, v20, v19
.LBB4_3092:                             ;   in Loop: Header=BB4_2406 Depth=2
	s_or_b32 exec_lo, exec_lo, s27
.LBB4_3093:                             ;   in Loop: Header=BB4_2406 Depth=2
	s_delay_alu instid0(SALU_CYCLE_1)
	s_or_b32 exec_lo, exec_lo, s26
.LBB4_3094:                             ;   in Loop: Header=BB4_2406 Depth=2
	s_delay_alu instid0(SALU_CYCLE_1) | instskip(SKIP_2) | instid1(VALU_DEP_1)
	s_or_b32 exec_lo, exec_lo, s7
	v_lshrrev_b32_e32 v20, 16, v11
	s_mov_b32 s7, exec_lo
	v_and_b32_e32 v21, 0xff, v20
	s_delay_alu instid0(VALU_DEP_1)
	v_cmpx_ne_u16_e32 0, v21
	s_cbranch_execz .LBB4_3102
; %bb.3095:                             ;   in Loop: Header=BB4_2406 Depth=2
	v_bfrev_b32_e32 v18, 1
	s_mov_b32 s26, exec_lo
	v_cmpx_ne_u16_e32 0x80, v21
	s_cbranch_execz .LBB4_3101
; %bb.3096:                             ;   in Loop: Header=BB4_2406 Depth=2
	v_bfe_u32 v21, v11, 16, 7
	v_mov_b32_e32 v18, 0x7f800001
	s_mov_b32 s27, exec_lo
	s_delay_alu instid0(VALU_DEP_2)
	v_cmpx_ne_u32_e32 0x7f, v21
	s_cbranch_execz .LBB4_3100
; %bb.3097:                             ;   in Loop: Header=BB4_2406 Depth=2
	v_dual_lshrrev_b32 v18, 3, v21 :: v_dual_bitop2_b32 v54, 7, v20 bitop3:0x40
	s_mov_b32 s28, exec_lo
	v_cmpx_gt_u32_e32 8, v21
; %bb.3098:                             ;   in Loop: Header=BB4_2406 Depth=2
	s_delay_alu instid0(VALU_DEP_2) | instskip(NEXT) | instid1(VALU_DEP_1)
	v_clz_i32_u32_e32 v18, v54
	v_min_u32_e32 v18, 32, v18
	s_delay_alu instid0(VALU_DEP_1) | instskip(NEXT) | instid1(VALU_DEP_1)
	v_subrev_nc_u32_e32 v20, 28, v18
	v_lshlrev_b64_e32 v[20:21], v20, v[54:55]
	s_delay_alu instid0(VALU_DEP_1)
	v_dual_sub_nc_u32 v18, 29, v18 :: v_dual_bitop2_b32 v54, 7, v20 bitop3:0x40
; %bb.3099:                             ;   in Loop: Header=BB4_2406 Depth=2
	s_or_b32 exec_lo, exec_lo, s28
	s_delay_alu instid0(VALU_DEP_1) | instskip(NEXT) | instid1(VALU_DEP_2)
	v_dual_lshlrev_b32 v20, 8, v11 :: v_dual_lshlrev_b32 v21, 20, v54
	v_lshl_add_u32 v18, v18, 23, 0x3c000000
	s_delay_alu instid0(VALU_DEP_2) | instskip(NEXT) | instid1(VALU_DEP_1)
	v_and_b32_e32 v20, 0x80000000, v20
	v_or3_b32 v18, v21, v20, v18
.LBB4_3100:                             ;   in Loop: Header=BB4_2406 Depth=2
	s_or_b32 exec_lo, exec_lo, s27
.LBB4_3101:                             ;   in Loop: Header=BB4_2406 Depth=2
	s_delay_alu instid0(SALU_CYCLE_1)
	s_or_b32 exec_lo, exec_lo, s26
.LBB4_3102:                             ;   in Loop: Header=BB4_2406 Depth=2
	s_delay_alu instid0(SALU_CYCLE_1) | instskip(NEXT) | instid1(VALU_DEP_1)
	s_or_b32 exec_lo, exec_lo, s7
	v_mul_f32_e32 v19, v19, v18
                                        ; implicit-def: $vgpr18
	s_mov_b32 s7, exec_lo
	s_delay_alu instid0(VALU_DEP_1) | instskip(SKIP_1) | instid1(VALU_DEP_2)
	v_and_b32_e32 v54, 0x7f800000, v19
	v_lshrrev_b32_e32 v20, 24, v19
	v_cmpx_ne_u64_e32 0x7f800000, v[54:55]
	s_xor_b32 s26, exec_lo, s7
	s_cbranch_execz .LBB4_3116
; %bb.3103:                             ;   in Loop: Header=BB4_2406 Depth=2
	v_and_b32_e32 v54, 0x7fffffff, v19
	v_and_b32_e32 v63, 0x80, v20
                                        ; implicit-def: $vgpr18
	s_mov_b32 s7, exec_lo
	s_delay_alu instid0(VALU_DEP_2)
	v_cmpx_gt_u64_e32 0x43e00001, v[54:55]
	s_xor_b32 s27, exec_lo, s7
	s_cbranch_execz .LBB4_3113
; %bb.3104:                             ;   in Loop: Header=BB4_2406 Depth=2
	v_mov_b32_e32 v18, 0
	s_mov_b32 s28, exec_lo
	v_cmpx_ne_u32_e32 0, v19
	s_cbranch_execz .LBB4_3112
; %bb.3105:                             ;   in Loop: Header=BB4_2406 Depth=2
	v_bfe_u32 v72, v19, 23, 8
	v_and_b32_e32 v20, 0x7fffff, v19
	s_delay_alu instid0(VALU_DEP_2) | instskip(SKIP_1) | instid1(VALU_DEP_3)
	v_sub_nc_u32_e32 v18, 0x79, v72
	v_cmp_gt_u32_e32 vcc_lo, 0x7a, v72
	v_or_b32_e32 v21, 0x800000, v20
	s_delay_alu instid0(VALU_DEP_3) | instskip(SKIP_1) | instid1(VALU_DEP_2)
	v_cndmask_b32_e32 v18, 0, v18, vcc_lo
	v_cmp_eq_u32_e32 vcc_lo, 0, v72
	v_cndmask_b32_e64 v73, v18, 0x78, vcc_lo
	s_delay_alu instid0(VALU_DEP_1) | instskip(SKIP_1) | instid1(VALU_DEP_2)
	v_dual_cndmask_b32 v54, v21, v20, vcc_lo :: v_dual_add_nc_u32 v18, 20, v73
	v_add_nc_u32_e32 v74, 19, v73
	v_lshlrev_b64_e64 v[18:19], v18, -1
	s_delay_alu instid0(VALU_DEP_2) | instskip(NEXT) | instid1(VALU_DEP_2)
	v_lshlrev_b64_e64 v[20:21], v74, 1
	v_bfi_b32 v75, v19, 0, 0
	s_delay_alu instid0(VALU_DEP_3) | instskip(SKIP_1) | instid1(VALU_DEP_2)
	v_bfi_b32 v74, v18, 0, v54
	v_lshrrev_b64 v[18:19], v73, v[54:55]
	v_cmp_eq_u64_e64 s7, v[74:75], v[20:21]
	s_delay_alu instid0(VALU_DEP_2)
	v_mov_b64_e32 v[20:21], v[18:19]
	s_and_saveexec_b32 s29, s7
; %bb.3106:                             ;   in Loop: Header=BB4_2406 Depth=2
	v_bfe_u32 v54, v18, 20, 1
	s_delay_alu instid0(VALU_DEP_1) | instskip(NEXT) | instid1(VALU_DEP_1)
	v_add_nc_u64_e32 v[20:21], v[18:19], v[54:55]
	v_add_nc_u64_e32 v[20:21], -1, v[20:21]
; %bb.3107:                             ;   in Loop: Header=BB4_2406 Depth=2
	s_or_b32 exec_lo, exec_lo, s29
	v_add_nc_u32_e32 v19, 0xffffff81, v72
	v_lshrrev_b32_e32 v21, 23, v18
	s_mov_b32 s7, exec_lo
	s_delay_alu instid0(VALU_DEP_2) | instskip(NEXT) | instid1(VALU_DEP_1)
	v_cndmask_b32_e64 v19, v19, 0xffffff82, vcc_lo
	v_add3_u32 v21, v73, v19, v21
	v_and_b32_e32 v19, 0xfffff, v20
                                        ; implicit-def: $vgpr20
	s_delay_alu instid0(VALU_DEP_1) | instskip(NEXT) | instid1(VALU_DEP_1)
	v_dual_add_nc_u32 v72, 6, v21 :: v_dual_add_nc_u32 v54, v19, v18
                                        ; implicit-def: $vgpr18_vgpr19
	v_cmpx_ne_u32_e32 0, v72
	s_xor_b32 s7, exec_lo, s7
; %bb.3108:                             ;   in Loop: Header=BB4_2406 Depth=2
	s_delay_alu instid0(VALU_DEP_2) | instskip(SKIP_1) | instid1(VALU_DEP_1)
	v_cmp_lt_u64_e32 vcc_lo, 0xffffff, v[54:55]
	v_add_nc_u32_e32 v18, 7, v21
	v_cndmask_b32_e32 v20, v72, v18, vcc_lo
	v_cndmask_b32_e64 v18, 0, 1, vcc_lo
	s_delay_alu instid0(VALU_DEP_1)
	v_lshrrev_b64 v[18:19], v18, v[54:55]
; %bb.3109:                             ;   in Loop: Header=BB4_2406 Depth=2
	s_and_not1_saveexec_b32 s7, s7
; %bb.3110:                             ;   in Loop: Header=BB4_2406 Depth=2
	v_mov_b64_e32 v[18:19], v[54:55]
	v_bfe_u32 v20, v54, 23, 1
; %bb.3111:                             ;   in Loop: Header=BB4_2406 Depth=2
	s_or_b32 exec_lo, exec_lo, s7
	s_delay_alu instid0(VALU_DEP_2) | instskip(NEXT) | instid1(VALU_DEP_2)
	v_lshrrev_b64 v[18:19], 20, v[18:19]
	v_cmp_gt_i32_e32 vcc_lo, 16, v20
	v_min_i32_e32 v21, 15, v20
	v_cmp_eq_u32_e64 s7, 0, v20
	s_delay_alu instid0(VALU_DEP_2) | instskip(SKIP_1) | instid1(VALU_DEP_2)
	v_dual_cndmask_b32 v19, 0, v19, vcc_lo :: v_dual_lshlrev_b32 v21, 3, v21
	v_cndmask_b32_e32 v18, 7, v18, vcc_lo
	v_and_b32_e32 v21, 0xf8, v21
	s_delay_alu instid0(VALU_DEP_2) | instskip(NEXT) | instid1(VALU_DEP_2)
	v_cmp_eq_u64_e32 vcc_lo, 0, v[18:19]
	v_and_or_b32 v18, v18, 7, v21
	s_and_b32 s7, s7, vcc_lo
	s_delay_alu instid0(VALU_DEP_1) | instid1(SALU_CYCLE_1)
	v_cndmask_b32_e64 v18, v18, 0, s7
	s_delay_alu instid0(VALU_DEP_1)
	v_or_b32_e32 v18, v18, v63
.LBB4_3112:                             ;   in Loop: Header=BB4_2406 Depth=2
	s_or_b32 exec_lo, exec_lo, s28
                                        ; implicit-def: $vgpr63
.LBB4_3113:                             ;   in Loop: Header=BB4_2406 Depth=2
	s_and_not1_saveexec_b32 s7, s27
; %bb.3114:                             ;   in Loop: Header=BB4_2406 Depth=2
	v_or_b32_e32 v18, 0x7e, v63
; %bb.3115:                             ;   in Loop: Header=BB4_2406 Depth=2
	s_or_b32 exec_lo, exec_lo, s7
                                        ; implicit-def: $vgpr20
.LBB4_3116:                             ;   in Loop: Header=BB4_2406 Depth=2
	s_and_not1_saveexec_b32 s7, s26
; %bb.3117:                             ;   in Loop: Header=BB4_2406 Depth=2
	v_or_b32_e32 v18, 0x7f, v20
; %bb.3118:                             ;   in Loop: Header=BB4_2406 Depth=2
	s_or_b32 exec_lo, exec_lo, s7
	v_cmp_lt_u64_e32 vcc_lo, s[12:13], v[14:15]
	v_dual_mov_b32 v14, 0 :: v_dual_mov_b32 v19, 0
	s_and_saveexec_b32 s7, vcc_lo
	s_cbranch_execz .LBB4_3126
; %bb.3119:                             ;   in Loop: Header=BB4_2406 Depth=2
	v_lshrrev_b32_e32 v20, 24, v15
	v_bfrev_b32_e32 v19, 1
	s_mov_b32 s26, exec_lo
	s_delay_alu instid0(VALU_DEP_2)
	v_cmpx_ne_u32_e32 0x80, v20
	s_cbranch_execz .LBB4_3125
; %bb.3120:                             ;   in Loop: Header=BB4_2406 Depth=2
	v_bfe_u32 v21, v15, 24, 7
	v_mov_b32_e32 v19, 0x7f800001
	s_mov_b32 s27, exec_lo
	s_delay_alu instid0(VALU_DEP_2)
	v_cmpx_ne_u32_e32 0x7f, v21
	s_cbranch_execz .LBB4_3124
; %bb.3121:                             ;   in Loop: Header=BB4_2406 Depth=2
	v_dual_lshrrev_b32 v15, 3, v21 :: v_dual_bitop2_b32 v54, 7, v20 bitop3:0x40
	s_mov_b32 s28, exec_lo
	v_cmpx_gt_u32_e32 8, v21
; %bb.3122:                             ;   in Loop: Header=BB4_2406 Depth=2
	s_delay_alu instid0(VALU_DEP_2) | instskip(NEXT) | instid1(VALU_DEP_1)
	v_clz_i32_u32_e32 v15, v54
	v_min_u32_e32 v15, 32, v15
	s_delay_alu instid0(VALU_DEP_1) | instskip(NEXT) | instid1(VALU_DEP_1)
	v_subrev_nc_u32_e32 v19, 28, v15
	v_lshlrev_b64_e32 v[72:73], v19, v[54:55]
	s_delay_alu instid0(VALU_DEP_1)
	v_dual_sub_nc_u32 v15, 29, v15 :: v_dual_bitop2_b32 v54, 7, v72 bitop3:0x40
; %bb.3123:                             ;   in Loop: Header=BB4_2406 Depth=2
	s_or_b32 exec_lo, exec_lo, s28
	s_delay_alu instid0(VALU_DEP_1) | instskip(NEXT) | instid1(VALU_DEP_2)
	v_dual_lshlrev_b32 v19, 24, v20 :: v_dual_lshlrev_b32 v20, 20, v54
	v_lshl_add_u32 v15, v15, 23, 0x3c000000
	s_delay_alu instid0(VALU_DEP_2) | instskip(NEXT) | instid1(VALU_DEP_1)
	v_and_b32_e32 v19, 0x80000000, v19
	v_or3_b32 v19, v20, v19, v15
.LBB4_3124:                             ;   in Loop: Header=BB4_2406 Depth=2
	s_or_b32 exec_lo, exec_lo, s27
.LBB4_3125:                             ;   in Loop: Header=BB4_2406 Depth=2
	s_delay_alu instid0(SALU_CYCLE_1)
	s_or_b32 exec_lo, exec_lo, s26
.LBB4_3126:                             ;   in Loop: Header=BB4_2406 Depth=2
	s_delay_alu instid0(SALU_CYCLE_1) | instskip(NEXT) | instid1(SALU_CYCLE_1)
	s_or_b32 exec_lo, exec_lo, s7
	s_mov_b32 s7, exec_lo
	v_cmpx_lt_u64_e64 s[12:13], v[10:11]
	s_cbranch_execz .LBB4_3134
; %bb.3127:                             ;   in Loop: Header=BB4_2406 Depth=2
	v_lshrrev_b32_e32 v10, 24, v11
	v_bfrev_b32_e32 v14, 1
	s_mov_b32 s26, exec_lo
	s_delay_alu instid0(VALU_DEP_2)
	v_cmpx_ne_u32_e32 0x80, v10
	s_cbranch_execz .LBB4_3133
; %bb.3128:                             ;   in Loop: Header=BB4_2406 Depth=2
	v_bfe_u32 v15, v11, 24, 7
	v_mov_b32_e32 v14, 0x7f800001
	s_mov_b32 s27, exec_lo
	s_delay_alu instid0(VALU_DEP_2)
	v_cmpx_ne_u32_e32 0x7f, v15
	s_cbranch_execz .LBB4_3132
; %bb.3129:                             ;   in Loop: Header=BB4_2406 Depth=2
	v_dual_lshrrev_b32 v11, 3, v15 :: v_dual_bitop2_b32 v54, 7, v10 bitop3:0x40
	s_mov_b32 s28, exec_lo
	v_cmpx_gt_u32_e32 8, v15
; %bb.3130:                             ;   in Loop: Header=BB4_2406 Depth=2
	s_delay_alu instid0(VALU_DEP_2) | instskip(NEXT) | instid1(VALU_DEP_1)
	v_clz_i32_u32_e32 v11, v54
	v_min_u32_e32 v11, 32, v11
	s_delay_alu instid0(VALU_DEP_1) | instskip(NEXT) | instid1(VALU_DEP_1)
	v_subrev_nc_u32_e32 v14, 28, v11
	v_lshlrev_b64_e32 v[14:15], v14, v[54:55]
	s_delay_alu instid0(VALU_DEP_1)
	v_dual_sub_nc_u32 v11, 29, v11 :: v_dual_bitop2_b32 v54, 7, v14 bitop3:0x40
; %bb.3131:                             ;   in Loop: Header=BB4_2406 Depth=2
	s_or_b32 exec_lo, exec_lo, s28
	v_lshlrev_b32_e32 v10, 24, v10
	s_delay_alu instid0(VALU_DEP_2) | instskip(NEXT) | instid1(VALU_DEP_3)
	v_lshlrev_b32_e32 v14, 20, v54
	v_lshl_add_u32 v11, v11, 23, 0x3c000000
	s_delay_alu instid0(VALU_DEP_3) | instskip(NEXT) | instid1(VALU_DEP_1)
	v_and_b32_e32 v10, 0x80000000, v10
	v_or3_b32 v14, v14, v10, v11
.LBB4_3132:                             ;   in Loop: Header=BB4_2406 Depth=2
	s_or_b32 exec_lo, exec_lo, s27
.LBB4_3133:                             ;   in Loop: Header=BB4_2406 Depth=2
	s_delay_alu instid0(SALU_CYCLE_1)
	s_or_b32 exec_lo, exec_lo, s26
.LBB4_3134:                             ;   in Loop: Header=BB4_2406 Depth=2
	s_delay_alu instid0(SALU_CYCLE_1) | instskip(NEXT) | instid1(VALU_DEP_1)
	s_or_b32 exec_lo, exec_lo, s7
	v_mul_f32_e32 v10, v19, v14
                                        ; implicit-def: $vgpr19
	s_mov_b32 s7, exec_lo
	s_delay_alu instid0(VALU_DEP_1) | instskip(SKIP_1) | instid1(VALU_DEP_2)
	v_and_b32_e32 v54, 0x7f800000, v10
	v_lshrrev_b32_e32 v11, 24, v10
	v_cmpx_ne_u64_e32 0x7f800000, v[54:55]
	s_xor_b32 s26, exec_lo, s7
	s_cbranch_execz .LBB4_3148
; %bb.3135:                             ;   in Loop: Header=BB4_2406 Depth=2
	v_and_b32_e32 v54, 0x7fffffff, v10
	v_and_b32_e32 v20, 0x80, v11
                                        ; implicit-def: $vgpr19
	s_mov_b32 s7, exec_lo
	s_delay_alu instid0(VALU_DEP_2)
	v_cmpx_gt_u64_e32 0x43e00001, v[54:55]
	s_xor_b32 s27, exec_lo, s7
	s_cbranch_execz .LBB4_3145
; %bb.3136:                             ;   in Loop: Header=BB4_2406 Depth=2
	v_mov_b32_e32 v19, 0
	s_mov_b32 s28, exec_lo
	v_cmpx_ne_u32_e32 0, v10
	s_cbranch_execz .LBB4_3144
; %bb.3137:                             ;   in Loop: Header=BB4_2406 Depth=2
	v_bfe_u32 v19, v10, 23, 8
	v_and_b32_e32 v14, 0x7fffff, v10
	s_delay_alu instid0(VALU_DEP_2) | instskip(NEXT) | instid1(VALU_DEP_2)
	v_cmp_gt_u32_e32 vcc_lo, 0x7a, v19
	v_or_b32_e32 v15, 0x800000, v14
	v_sub_nc_u32_e32 v11, 0x79, v19
	s_delay_alu instid0(VALU_DEP_1) | instskip(SKIP_1) | instid1(VALU_DEP_2)
	v_cndmask_b32_e32 v11, 0, v11, vcc_lo
	v_cmp_eq_u32_e32 vcc_lo, 0, v19
	v_cndmask_b32_e64 v21, v11, 0x78, vcc_lo
	s_delay_alu instid0(VALU_DEP_1) | instskip(SKIP_1) | instid1(VALU_DEP_2)
	v_dual_cndmask_b32 v54, v15, v14, vcc_lo :: v_dual_add_nc_u32 v10, 20, v21
	v_add_nc_u32_e32 v63, 19, v21
	v_lshlrev_b64_e64 v[10:11], v10, -1
	s_delay_alu instid0(VALU_DEP_2) | instskip(NEXT) | instid1(VALU_DEP_2)
	v_lshlrev_b64_e64 v[14:15], v63, 1
	v_bfi_b32 v73, v11, 0, 0
	s_delay_alu instid0(VALU_DEP_3) | instskip(SKIP_1) | instid1(VALU_DEP_2)
	v_bfi_b32 v72, v10, 0, v54
	v_lshrrev_b64 v[10:11], v21, v[54:55]
	v_cmp_eq_u64_e64 s7, v[72:73], v[14:15]
	s_delay_alu instid0(VALU_DEP_2)
	v_mov_b64_e32 v[14:15], v[10:11]
	s_and_saveexec_b32 s29, s7
; %bb.3138:                             ;   in Loop: Header=BB4_2406 Depth=2
	v_bfe_u32 v54, v10, 20, 1
	s_delay_alu instid0(VALU_DEP_1) | instskip(NEXT) | instid1(VALU_DEP_1)
	v_add_nc_u64_e32 v[14:15], v[10:11], v[54:55]
	v_add_nc_u64_e32 v[14:15], -1, v[14:15]
; %bb.3139:                             ;   in Loop: Header=BB4_2406 Depth=2
	s_or_b32 exec_lo, exec_lo, s29
	v_add_nc_u32_e32 v11, 0xffffff81, v19
	v_lshrrev_b32_e32 v15, 23, v10
	s_mov_b32 s7, exec_lo
	s_delay_alu instid0(VALU_DEP_2) | instskip(NEXT) | instid1(VALU_DEP_1)
	v_cndmask_b32_e64 v11, v11, 0xffffff82, vcc_lo
	v_add3_u32 v15, v21, v11, v15
	v_and_b32_e32 v11, 0xfffff, v14
                                        ; implicit-def: $vgpr14
	s_delay_alu instid0(VALU_DEP_1) | instskip(NEXT) | instid1(VALU_DEP_1)
	v_dual_add_nc_u32 v19, 6, v15 :: v_dual_add_nc_u32 v54, v11, v10
                                        ; implicit-def: $vgpr10_vgpr11
	v_cmpx_ne_u32_e32 0, v19
	s_xor_b32 s7, exec_lo, s7
; %bb.3140:                             ;   in Loop: Header=BB4_2406 Depth=2
	s_delay_alu instid0(VALU_DEP_2) | instskip(SKIP_1) | instid1(VALU_DEP_1)
	v_cmp_lt_u64_e32 vcc_lo, 0xffffff, v[54:55]
	v_add_nc_u32_e32 v10, 7, v15
	v_cndmask_b32_e32 v14, v19, v10, vcc_lo
	v_cndmask_b32_e64 v10, 0, 1, vcc_lo
	s_delay_alu instid0(VALU_DEP_1)
	v_lshrrev_b64 v[10:11], v10, v[54:55]
; %bb.3141:                             ;   in Loop: Header=BB4_2406 Depth=2
	s_and_not1_saveexec_b32 s7, s7
; %bb.3142:                             ;   in Loop: Header=BB4_2406 Depth=2
	v_mov_b64_e32 v[10:11], v[54:55]
	v_bfe_u32 v14, v54, 23, 1
; %bb.3143:                             ;   in Loop: Header=BB4_2406 Depth=2
	s_or_b32 exec_lo, exec_lo, s7
	s_delay_alu instid0(VALU_DEP_2) | instskip(NEXT) | instid1(VALU_DEP_2)
	v_lshrrev_b64 v[10:11], 20, v[10:11]
	v_cmp_gt_i32_e32 vcc_lo, 16, v14
	v_min_i32_e32 v15, 15, v14
	v_cmp_eq_u32_e64 s7, 0, v14
	s_delay_alu instid0(VALU_DEP_4) | instskip(NEXT) | instid1(VALU_DEP_3)
	v_cndmask_b32_e32 v11, 0, v11, vcc_lo
	v_dual_cndmask_b32 v10, 7, v10 :: v_dual_lshlrev_b32 v15, 3, v15
	s_delay_alu instid0(VALU_DEP_1) | instskip(NEXT) | instid1(VALU_DEP_2)
	v_and_b32_e32 v15, 0xf8, v15
	v_cmp_eq_u64_e32 vcc_lo, 0, v[10:11]
	s_delay_alu instid0(VALU_DEP_2)
	v_and_or_b32 v10, v10, 7, v15
	s_and_b32 s7, s7, vcc_lo
	s_delay_alu instid0(VALU_DEP_1) | instid1(SALU_CYCLE_1)
	v_cndmask_b32_e64 v10, v10, 0, s7
	s_delay_alu instid0(VALU_DEP_1)
	v_or_b32_e32 v19, v10, v20
.LBB4_3144:                             ;   in Loop: Header=BB4_2406 Depth=2
	s_or_b32 exec_lo, exec_lo, s28
                                        ; implicit-def: $vgpr20
.LBB4_3145:                             ;   in Loop: Header=BB4_2406 Depth=2
	s_and_not1_saveexec_b32 s7, s27
; %bb.3146:                             ;   in Loop: Header=BB4_2406 Depth=2
	v_or_b32_e32 v19, 0x7e, v20
; %bb.3147:                             ;   in Loop: Header=BB4_2406 Depth=2
	s_or_b32 exec_lo, exec_lo, s7
                                        ; implicit-def: $vgpr11
.LBB4_3148:                             ;   in Loop: Header=BB4_2406 Depth=2
	s_and_not1_saveexec_b32 s7, s26
; %bb.3149:                             ;   in Loop: Header=BB4_2406 Depth=2
	v_or_b32_e32 v19, 0x7f, v11
; %bb.3150:                             ;   in Loop: Header=BB4_2406 Depth=2
	s_or_b32 exec_lo, exec_lo, s7
	v_and_b32_e32 v14, 0xff, v16
	v_dual_mov_b32 v10, 0 :: v_dual_mov_b32 v11, 0
	s_mov_b32 s7, exec_lo
	s_delay_alu instid0(VALU_DEP_2)
	v_cmpx_ne_u16_e32 0, v14
	s_cbranch_execz .LBB4_3156
; %bb.3151:                             ;   in Loop: Header=BB4_2406 Depth=2
	v_bfrev_b32_e32 v11, 1
	s_mov_b32 s26, exec_lo
	v_cmpx_ne_u16_e32 0x80, v14
	s_cbranch_execz .LBB4_3155
; %bb.3152:                             ;   in Loop: Header=BB4_2406 Depth=2
	v_and_b32_e32 v14, 0x7f, v16
	v_mov_b32_e32 v11, 0x7f800001
	s_mov_b32 s27, exec_lo
	s_delay_alu instid0(VALU_DEP_2)
	v_cmpx_ne_u32_e32 0x7f, v14
	s_cbranch_execz .LBB4_3154
; %bb.3153:                             ;   in Loop: Header=BB4_2406 Depth=2
	v_dual_lshrrev_b32 v15, 3, v14 :: v_dual_bitop2_b32 v11, 7, v16 bitop3:0x40
	v_cmp_gt_u32_e32 vcc_lo, 8, v14
	s_delay_alu instid0(VALU_DEP_2) | instskip(NEXT) | instid1(VALU_DEP_1)
	v_clz_i32_u32_e32 v11, v11
	v_min_u32_e32 v11, 32, v11
	s_delay_alu instid0(VALU_DEP_1) | instskip(NEXT) | instid1(VALU_DEP_1)
	v_subrev_nc_u32_e32 v20, 28, v11
	v_dual_cndmask_b32 v14, 0, v20 :: v_dual_sub_nc_u32 v11, 29, v11
	s_delay_alu instid0(VALU_DEP_1) | instskip(NEXT) | instid1(VALU_DEP_2)
	v_cndmask_b32_e32 v11, v15, v11, vcc_lo
	v_lshlrev_b64_e32 v[14:15], v14, v[16:17]
	v_lshlrev_b32_e32 v15, 24, v16
	s_delay_alu instid0(VALU_DEP_3) | instskip(NEXT) | instid1(VALU_DEP_2)
	v_lshl_add_u32 v11, v11, 23, 0x3c000000
	v_and_b32_e32 v15, 0x80000000, v15
	s_delay_alu instid0(VALU_DEP_4) | instskip(NEXT) | instid1(VALU_DEP_1)
	v_lshlrev_b32_e32 v14, 20, v14
	v_and_b32_e32 v14, 0x700000, v14
	s_delay_alu instid0(VALU_DEP_1)
	v_or3_b32 v11, v14, v15, v11
.LBB4_3154:                             ;   in Loop: Header=BB4_2406 Depth=2
	s_or_b32 exec_lo, exec_lo, s27
.LBB4_3155:                             ;   in Loop: Header=BB4_2406 Depth=2
	s_delay_alu instid0(SALU_CYCLE_1)
	s_or_b32 exec_lo, exec_lo, s26
.LBB4_3156:                             ;   in Loop: Header=BB4_2406 Depth=2
	s_delay_alu instid0(SALU_CYCLE_1) | instskip(SKIP_2) | instid1(VALU_DEP_1)
	s_or_b32 exec_lo, exec_lo, s7
	v_and_b32_e32 v14, 0xff, v12
	s_mov_b32 s7, exec_lo
	v_cmpx_ne_u16_e32 0, v14
	s_cbranch_execz .LBB4_3162
; %bb.3157:                             ;   in Loop: Header=BB4_2406 Depth=2
	v_bfrev_b32_e32 v10, 1
	s_mov_b32 s26, exec_lo
	v_cmpx_ne_u16_e32 0x80, v14
	s_cbranch_execz .LBB4_3161
; %bb.3158:                             ;   in Loop: Header=BB4_2406 Depth=2
	v_and_b32_e32 v14, 0x7f, v12
	v_mov_b32_e32 v10, 0x7f800001
	s_mov_b32 s27, exec_lo
	s_delay_alu instid0(VALU_DEP_2)
	v_cmpx_ne_u32_e32 0x7f, v14
	s_cbranch_execz .LBB4_3160
; %bb.3159:                             ;   in Loop: Header=BB4_2406 Depth=2
	v_dual_lshrrev_b32 v15, 3, v14 :: v_dual_bitop2_b32 v10, 7, v12 bitop3:0x40
	v_cmp_gt_u32_e32 vcc_lo, 8, v14
	s_delay_alu instid0(VALU_DEP_2) | instskip(NEXT) | instid1(VALU_DEP_1)
	v_clz_i32_u32_e32 v10, v10
	v_min_u32_e32 v10, 32, v10
	s_delay_alu instid0(VALU_DEP_1) | instskip(NEXT) | instid1(VALU_DEP_1)
	v_subrev_nc_u32_e32 v20, 28, v10
	v_dual_sub_nc_u32 v10, 29, v10 :: v_dual_cndmask_b32 v14, 0, v20, vcc_lo
	s_delay_alu instid0(VALU_DEP_1) | instskip(NEXT) | instid1(VALU_DEP_2)
	v_cndmask_b32_e32 v10, v15, v10, vcc_lo
	v_lshlrev_b64_e32 v[14:15], v14, v[12:13]
	v_lshlrev_b32_e32 v15, 24, v12
	s_delay_alu instid0(VALU_DEP_3) | instskip(NEXT) | instid1(VALU_DEP_2)
	v_lshl_add_u32 v10, v10, 23, 0x3c000000
	v_and_b32_e32 v15, 0x80000000, v15
	s_delay_alu instid0(VALU_DEP_4) | instskip(NEXT) | instid1(VALU_DEP_1)
	v_lshlrev_b32_e32 v14, 20, v14
	v_and_b32_e32 v14, 0x700000, v14
	s_delay_alu instid0(VALU_DEP_1)
	v_or3_b32 v10, v14, v15, v10
.LBB4_3160:                             ;   in Loop: Header=BB4_2406 Depth=2
	s_or_b32 exec_lo, exec_lo, s27
.LBB4_3161:                             ;   in Loop: Header=BB4_2406 Depth=2
	s_delay_alu instid0(SALU_CYCLE_1)
	s_or_b32 exec_lo, exec_lo, s26
.LBB4_3162:                             ;   in Loop: Header=BB4_2406 Depth=2
	s_delay_alu instid0(SALU_CYCLE_1) | instskip(NEXT) | instid1(VALU_DEP_1)
	s_or_b32 exec_lo, exec_lo, s7
	v_mul_f32_e32 v10, v11, v10
                                        ; implicit-def: $vgpr20
	s_mov_b32 s7, exec_lo
	s_delay_alu instid0(VALU_DEP_1) | instskip(SKIP_1) | instid1(VALU_DEP_2)
	v_and_b32_e32 v54, 0x7f800000, v10
	v_lshrrev_b32_e32 v11, 24, v10
	v_cmpx_ne_u64_e32 0x7f800000, v[54:55]
	s_xor_b32 s26, exec_lo, s7
	s_cbranch_execz .LBB4_3176
; %bb.3163:                             ;   in Loop: Header=BB4_2406 Depth=2
	v_and_b32_e32 v54, 0x7fffffff, v10
	v_and_b32_e32 v21, 0x80, v11
                                        ; implicit-def: $vgpr20
	s_mov_b32 s7, exec_lo
	s_delay_alu instid0(VALU_DEP_2)
	v_cmpx_gt_u64_e32 0x43e00001, v[54:55]
	s_xor_b32 s27, exec_lo, s7
	s_cbranch_execz .LBB4_3173
; %bb.3164:                             ;   in Loop: Header=BB4_2406 Depth=2
	v_mov_b32_e32 v20, 0
	s_mov_b32 s28, exec_lo
	v_cmpx_ne_u32_e32 0, v10
	s_cbranch_execz .LBB4_3172
; %bb.3165:                             ;   in Loop: Header=BB4_2406 Depth=2
	v_bfe_u32 v20, v10, 23, 8
	v_and_b32_e32 v14, 0x7fffff, v10
	s_delay_alu instid0(VALU_DEP_2) | instskip(NEXT) | instid1(VALU_DEP_2)
	v_cmp_gt_u32_e32 vcc_lo, 0x7a, v20
	v_or_b32_e32 v15, 0x800000, v14
	v_sub_nc_u32_e32 v11, 0x79, v20
	s_delay_alu instid0(VALU_DEP_1) | instskip(SKIP_1) | instid1(VALU_DEP_2)
	v_cndmask_b32_e32 v11, 0, v11, vcc_lo
	v_cmp_eq_u32_e32 vcc_lo, 0, v20
	v_cndmask_b32_e64 v63, v11, 0x78, vcc_lo
	s_delay_alu instid0(VALU_DEP_1) | instskip(SKIP_1) | instid1(VALU_DEP_2)
	v_dual_cndmask_b32 v54, v15, v14, vcc_lo :: v_dual_add_nc_u32 v10, 20, v63
	v_add_nc_u32_e32 v72, 19, v63
	v_lshlrev_b64_e64 v[10:11], v10, -1
	s_delay_alu instid0(VALU_DEP_2) | instskip(NEXT) | instid1(VALU_DEP_2)
	v_lshlrev_b64_e64 v[14:15], v72, 1
	v_bfi_b32 v73, v11, 0, 0
	s_delay_alu instid0(VALU_DEP_3) | instskip(SKIP_1) | instid1(VALU_DEP_2)
	v_bfi_b32 v72, v10, 0, v54
	v_lshrrev_b64 v[10:11], v63, v[54:55]
	v_cmp_eq_u64_e64 s7, v[72:73], v[14:15]
	s_delay_alu instid0(VALU_DEP_2)
	v_mov_b64_e32 v[14:15], v[10:11]
	s_and_saveexec_b32 s29, s7
; %bb.3166:                             ;   in Loop: Header=BB4_2406 Depth=2
	v_bfe_u32 v54, v10, 20, 1
	s_delay_alu instid0(VALU_DEP_1) | instskip(NEXT) | instid1(VALU_DEP_1)
	v_add_nc_u64_e32 v[14:15], v[10:11], v[54:55]
	v_add_nc_u64_e32 v[14:15], -1, v[14:15]
; %bb.3167:                             ;   in Loop: Header=BB4_2406 Depth=2
	s_or_b32 exec_lo, exec_lo, s29
	v_add_nc_u32_e32 v11, 0xffffff81, v20
	v_lshrrev_b32_e32 v15, 23, v10
	s_mov_b32 s7, exec_lo
	s_delay_alu instid0(VALU_DEP_2) | instskip(NEXT) | instid1(VALU_DEP_1)
	v_cndmask_b32_e64 v11, v11, 0xffffff82, vcc_lo
	v_add3_u32 v15, v63, v11, v15
	v_and_b32_e32 v11, 0xfffff, v14
                                        ; implicit-def: $vgpr14
	s_delay_alu instid0(VALU_DEP_1) | instskip(NEXT) | instid1(VALU_DEP_1)
	v_dual_add_nc_u32 v20, 6, v15 :: v_dual_add_nc_u32 v54, v11, v10
                                        ; implicit-def: $vgpr10_vgpr11
	v_cmpx_ne_u32_e32 0, v20
	s_xor_b32 s7, exec_lo, s7
; %bb.3168:                             ;   in Loop: Header=BB4_2406 Depth=2
	s_delay_alu instid0(VALU_DEP_2) | instskip(SKIP_1) | instid1(VALU_DEP_1)
	v_cmp_lt_u64_e32 vcc_lo, 0xffffff, v[54:55]
	v_add_nc_u32_e32 v10, 7, v15
	v_cndmask_b32_e32 v14, v20, v10, vcc_lo
	v_cndmask_b32_e64 v10, 0, 1, vcc_lo
	s_delay_alu instid0(VALU_DEP_1)
	v_lshrrev_b64 v[10:11], v10, v[54:55]
; %bb.3169:                             ;   in Loop: Header=BB4_2406 Depth=2
	s_and_not1_saveexec_b32 s7, s7
; %bb.3170:                             ;   in Loop: Header=BB4_2406 Depth=2
	v_mov_b64_e32 v[10:11], v[54:55]
	v_bfe_u32 v14, v54, 23, 1
; %bb.3171:                             ;   in Loop: Header=BB4_2406 Depth=2
	s_or_b32 exec_lo, exec_lo, s7
	s_delay_alu instid0(VALU_DEP_2) | instskip(NEXT) | instid1(VALU_DEP_2)
	v_lshrrev_b64 v[10:11], 20, v[10:11]
	v_cmp_gt_i32_e32 vcc_lo, 16, v14
	v_min_i32_e32 v15, 15, v14
	v_cmp_eq_u32_e64 s7, 0, v14
	s_delay_alu instid0(VALU_DEP_4) | instskip(NEXT) | instid1(VALU_DEP_3)
	v_cndmask_b32_e32 v11, 0, v11, vcc_lo
	v_dual_cndmask_b32 v10, 7, v10 :: v_dual_lshlrev_b32 v15, 3, v15
	s_delay_alu instid0(VALU_DEP_1) | instskip(NEXT) | instid1(VALU_DEP_2)
	v_and_b32_e32 v15, 0xf8, v15
	v_cmp_eq_u64_e32 vcc_lo, 0, v[10:11]
	s_delay_alu instid0(VALU_DEP_2)
	v_and_or_b32 v10, v10, 7, v15
	s_and_b32 s7, s7, vcc_lo
	s_delay_alu instid0(VALU_DEP_1) | instid1(SALU_CYCLE_1)
	v_cndmask_b32_e64 v10, v10, 0, s7
	s_delay_alu instid0(VALU_DEP_1)
	v_or_b32_e32 v20, v10, v21
.LBB4_3172:                             ;   in Loop: Header=BB4_2406 Depth=2
	s_or_b32 exec_lo, exec_lo, s28
                                        ; implicit-def: $vgpr21
.LBB4_3173:                             ;   in Loop: Header=BB4_2406 Depth=2
	s_and_not1_saveexec_b32 s7, s27
; %bb.3174:                             ;   in Loop: Header=BB4_2406 Depth=2
	v_or_b32_e32 v20, 0x7e, v21
; %bb.3175:                             ;   in Loop: Header=BB4_2406 Depth=2
	s_or_b32 exec_lo, exec_lo, s7
                                        ; implicit-def: $vgpr11
.LBB4_3176:                             ;   in Loop: Header=BB4_2406 Depth=2
	s_and_not1_saveexec_b32 s7, s26
; %bb.3177:                             ;   in Loop: Header=BB4_2406 Depth=2
	v_or_b32_e32 v20, 0x7f, v11
; %bb.3178:                             ;   in Loop: Header=BB4_2406 Depth=2
	s_or_b32 exec_lo, exec_lo, s7
	v_lshrrev_b16 v14, 8, v16
	v_dual_mov_b32 v10, 0 :: v_dual_mov_b32 v11, 0
	s_mov_b32 s7, exec_lo
	s_delay_alu instid0(VALU_DEP_2)
	v_cmpx_ne_u16_e32 0, v14
	s_cbranch_execz .LBB4_3186
; %bb.3179:                             ;   in Loop: Header=BB4_2406 Depth=2
	v_bfrev_b32_e32 v11, 1
	s_mov_b32 s26, exec_lo
	v_cmpx_ne_u16_e32 0x80, v14
	s_cbranch_execz .LBB4_3185
; %bb.3180:                             ;   in Loop: Header=BB4_2406 Depth=2
	v_and_b32_e32 v15, 0xffff, v14
	v_mov_b32_e32 v11, 0x7f800001
	s_mov_b32 s27, exec_lo
	s_delay_alu instid0(VALU_DEP_2) | instskip(NEXT) | instid1(VALU_DEP_1)
	v_and_b32_e32 v14, 0x7f, v15
	v_cmpx_ne_u32_e32 0x7f, v14
	s_cbranch_execz .LBB4_3184
; %bb.3181:                             ;   in Loop: Header=BB4_2406 Depth=2
	v_dual_lshrrev_b32 v11, 3, v14 :: v_dual_bitop2_b32 v54, 7, v15 bitop3:0x40
	s_mov_b32 s28, exec_lo
	v_cmpx_gt_u32_e32 8, v14
; %bb.3182:                             ;   in Loop: Header=BB4_2406 Depth=2
	s_delay_alu instid0(VALU_DEP_2) | instskip(NEXT) | instid1(VALU_DEP_1)
	v_clz_i32_u32_e32 v11, v54
	v_min_u32_e32 v11, 32, v11
	s_delay_alu instid0(VALU_DEP_1) | instskip(NEXT) | instid1(VALU_DEP_1)
	v_subrev_nc_u32_e32 v14, 28, v11
	v_lshlrev_b64_e32 v[14:15], v14, v[54:55]
	s_delay_alu instid0(VALU_DEP_1)
	v_dual_sub_nc_u32 v11, 29, v11 :: v_dual_bitop2_b32 v54, 7, v14 bitop3:0x40
; %bb.3183:                             ;   in Loop: Header=BB4_2406 Depth=2
	s_or_b32 exec_lo, exec_lo, s28
	s_delay_alu instid0(VALU_DEP_1) | instskip(NEXT) | instid1(VALU_DEP_2)
	v_dual_lshlrev_b32 v14, 16, v16 :: v_dual_lshlrev_b32 v15, 20, v54
	v_lshl_add_u32 v11, v11, 23, 0x3c000000
	s_delay_alu instid0(VALU_DEP_2) | instskip(NEXT) | instid1(VALU_DEP_1)
	v_and_b32_e32 v14, 0x80000000, v14
	v_or3_b32 v11, v15, v14, v11
.LBB4_3184:                             ;   in Loop: Header=BB4_2406 Depth=2
	s_or_b32 exec_lo, exec_lo, s27
.LBB4_3185:                             ;   in Loop: Header=BB4_2406 Depth=2
	s_delay_alu instid0(SALU_CYCLE_1)
	s_or_b32 exec_lo, exec_lo, s26
.LBB4_3186:                             ;   in Loop: Header=BB4_2406 Depth=2
	s_delay_alu instid0(SALU_CYCLE_1) | instskip(SKIP_2) | instid1(VALU_DEP_1)
	s_or_b32 exec_lo, exec_lo, s7
	v_lshrrev_b16 v14, 8, v12
	s_mov_b32 s7, exec_lo
	v_cmpx_ne_u16_e32 0, v14
	s_cbranch_execz .LBB4_3194
; %bb.3187:                             ;   in Loop: Header=BB4_2406 Depth=2
	v_bfrev_b32_e32 v10, 1
	s_mov_b32 s26, exec_lo
	v_cmpx_ne_u16_e32 0x80, v14
	s_cbranch_execz .LBB4_3193
; %bb.3188:                             ;   in Loop: Header=BB4_2406 Depth=2
	v_and_b32_e32 v15, 0xffff, v14
	v_mov_b32_e32 v10, 0x7f800001
	s_mov_b32 s27, exec_lo
	s_delay_alu instid0(VALU_DEP_2) | instskip(NEXT) | instid1(VALU_DEP_1)
	v_and_b32_e32 v14, 0x7f, v15
	v_cmpx_ne_u32_e32 0x7f, v14
	s_cbranch_execz .LBB4_3192
; %bb.3189:                             ;   in Loop: Header=BB4_2406 Depth=2
	v_dual_lshrrev_b32 v10, 3, v14 :: v_dual_bitop2_b32 v54, 7, v15 bitop3:0x40
	s_mov_b32 s28, exec_lo
	v_cmpx_gt_u32_e32 8, v14
; %bb.3190:                             ;   in Loop: Header=BB4_2406 Depth=2
	s_delay_alu instid0(VALU_DEP_2) | instskip(NEXT) | instid1(VALU_DEP_1)
	v_clz_i32_u32_e32 v10, v54
	v_min_u32_e32 v10, 32, v10
	s_delay_alu instid0(VALU_DEP_1) | instskip(SKIP_1) | instid1(VALU_DEP_2)
	v_subrev_nc_u32_e32 v14, 28, v10
	v_sub_nc_u32_e32 v10, 29, v10
	v_lshlrev_b64_e32 v[14:15], v14, v[54:55]
	s_delay_alu instid0(VALU_DEP_1)
	v_and_b32_e32 v54, 7, v14
; %bb.3191:                             ;   in Loop: Header=BB4_2406 Depth=2
	s_or_b32 exec_lo, exec_lo, s28
	s_delay_alu instid0(VALU_DEP_1) | instskip(SKIP_1) | instid1(VALU_DEP_2)
	v_dual_lshlrev_b32 v14, 16, v12 :: v_dual_lshlrev_b32 v15, 20, v54
	v_lshl_add_u32 v10, v10, 23, 0x3c000000
	v_and_b32_e32 v14, 0x80000000, v14
	s_delay_alu instid0(VALU_DEP_1)
	v_or3_b32 v10, v15, v14, v10
.LBB4_3192:                             ;   in Loop: Header=BB4_2406 Depth=2
	s_or_b32 exec_lo, exec_lo, s27
.LBB4_3193:                             ;   in Loop: Header=BB4_2406 Depth=2
	s_delay_alu instid0(SALU_CYCLE_1)
	s_or_b32 exec_lo, exec_lo, s26
.LBB4_3194:                             ;   in Loop: Header=BB4_2406 Depth=2
	s_delay_alu instid0(SALU_CYCLE_1) | instskip(NEXT) | instid1(VALU_DEP_1)
	s_or_b32 exec_lo, exec_lo, s7
	v_mul_f32_e32 v10, v11, v10
                                        ; implicit-def: $vgpr21
	s_mov_b32 s7, exec_lo
	s_delay_alu instid0(VALU_DEP_1) | instskip(SKIP_1) | instid1(VALU_DEP_2)
	v_and_b32_e32 v54, 0x7f800000, v10
	v_lshrrev_b32_e32 v11, 24, v10
	v_cmpx_ne_u64_e32 0x7f800000, v[54:55]
	s_xor_b32 s26, exec_lo, s7
	s_cbranch_execz .LBB4_3208
; %bb.3195:                             ;   in Loop: Header=BB4_2406 Depth=2
	v_and_b32_e32 v54, 0x7fffffff, v10
	v_and_b32_e32 v63, 0x80, v11
                                        ; implicit-def: $vgpr21
	s_mov_b32 s7, exec_lo
	s_delay_alu instid0(VALU_DEP_2)
	v_cmpx_gt_u64_e32 0x43e00001, v[54:55]
	s_xor_b32 s27, exec_lo, s7
	s_cbranch_execz .LBB4_3205
; %bb.3196:                             ;   in Loop: Header=BB4_2406 Depth=2
	v_mov_b32_e32 v21, 0
	s_mov_b32 s28, exec_lo
	v_cmpx_ne_u32_e32 0, v10
	s_cbranch_execz .LBB4_3204
; %bb.3197:                             ;   in Loop: Header=BB4_2406 Depth=2
	v_bfe_u32 v21, v10, 23, 8
	v_and_b32_e32 v14, 0x7fffff, v10
	s_delay_alu instid0(VALU_DEP_2) | instskip(NEXT) | instid1(VALU_DEP_2)
	v_cmp_gt_u32_e32 vcc_lo, 0x7a, v21
	v_or_b32_e32 v15, 0x800000, v14
	v_sub_nc_u32_e32 v11, 0x79, v21
	s_delay_alu instid0(VALU_DEP_1) | instskip(SKIP_1) | instid1(VALU_DEP_2)
	v_cndmask_b32_e32 v11, 0, v11, vcc_lo
	v_cmp_eq_u32_e32 vcc_lo, 0, v21
	v_cndmask_b32_e64 v72, v11, 0x78, vcc_lo
	s_delay_alu instid0(VALU_DEP_1) | instskip(SKIP_1) | instid1(VALU_DEP_2)
	v_dual_cndmask_b32 v54, v15, v14, vcc_lo :: v_dual_add_nc_u32 v10, 20, v72
	v_add_nc_u32_e32 v73, 19, v72
	v_lshlrev_b64_e64 v[10:11], v10, -1
	s_delay_alu instid0(VALU_DEP_2) | instskip(NEXT) | instid1(VALU_DEP_2)
	v_lshlrev_b64_e64 v[14:15], v73, 1
	v_bfi_b32 v75, v11, 0, 0
	s_delay_alu instid0(VALU_DEP_3) | instskip(SKIP_1) | instid1(VALU_DEP_2)
	v_bfi_b32 v74, v10, 0, v54
	v_lshrrev_b64 v[10:11], v72, v[54:55]
	v_cmp_eq_u64_e64 s7, v[74:75], v[14:15]
	s_delay_alu instid0(VALU_DEP_2)
	v_mov_b64_e32 v[14:15], v[10:11]
	s_and_saveexec_b32 s29, s7
; %bb.3198:                             ;   in Loop: Header=BB4_2406 Depth=2
	v_bfe_u32 v54, v10, 20, 1
	s_delay_alu instid0(VALU_DEP_1) | instskip(NEXT) | instid1(VALU_DEP_1)
	v_add_nc_u64_e32 v[14:15], v[10:11], v[54:55]
	v_add_nc_u64_e32 v[14:15], -1, v[14:15]
; %bb.3199:                             ;   in Loop: Header=BB4_2406 Depth=2
	s_or_b32 exec_lo, exec_lo, s29
	v_add_nc_u32_e32 v11, 0xffffff81, v21
	v_lshrrev_b32_e32 v15, 23, v10
	s_mov_b32 s7, exec_lo
	s_delay_alu instid0(VALU_DEP_2) | instskip(NEXT) | instid1(VALU_DEP_1)
	v_cndmask_b32_e64 v11, v11, 0xffffff82, vcc_lo
	v_add3_u32 v15, v72, v11, v15
	v_and_b32_e32 v11, 0xfffff, v14
                                        ; implicit-def: $vgpr14
	s_delay_alu instid0(VALU_DEP_1) | instskip(NEXT) | instid1(VALU_DEP_1)
	v_dual_add_nc_u32 v21, 6, v15 :: v_dual_add_nc_u32 v54, v11, v10
                                        ; implicit-def: $vgpr10_vgpr11
	v_cmpx_ne_u32_e32 0, v21
	s_xor_b32 s7, exec_lo, s7
; %bb.3200:                             ;   in Loop: Header=BB4_2406 Depth=2
	s_delay_alu instid0(VALU_DEP_2) | instskip(SKIP_1) | instid1(VALU_DEP_1)
	v_cmp_lt_u64_e32 vcc_lo, 0xffffff, v[54:55]
	v_add_nc_u32_e32 v10, 7, v15
	v_cndmask_b32_e32 v14, v21, v10, vcc_lo
	v_cndmask_b32_e64 v10, 0, 1, vcc_lo
	s_delay_alu instid0(VALU_DEP_1)
	v_lshrrev_b64 v[10:11], v10, v[54:55]
; %bb.3201:                             ;   in Loop: Header=BB4_2406 Depth=2
	s_and_not1_saveexec_b32 s7, s7
; %bb.3202:                             ;   in Loop: Header=BB4_2406 Depth=2
	v_mov_b64_e32 v[10:11], v[54:55]
	v_bfe_u32 v14, v54, 23, 1
; %bb.3203:                             ;   in Loop: Header=BB4_2406 Depth=2
	s_or_b32 exec_lo, exec_lo, s7
	s_delay_alu instid0(VALU_DEP_2) | instskip(NEXT) | instid1(VALU_DEP_2)
	v_lshrrev_b64 v[10:11], 20, v[10:11]
	v_cmp_gt_i32_e32 vcc_lo, 16, v14
	v_min_i32_e32 v15, 15, v14
	v_cmp_eq_u32_e64 s7, 0, v14
	s_delay_alu instid0(VALU_DEP_4) | instskip(NEXT) | instid1(VALU_DEP_3)
	v_cndmask_b32_e32 v11, 0, v11, vcc_lo
	v_dual_cndmask_b32 v10, 7, v10 :: v_dual_lshlrev_b32 v15, 3, v15
	s_delay_alu instid0(VALU_DEP_1) | instskip(NEXT) | instid1(VALU_DEP_2)
	v_and_b32_e32 v15, 0xf8, v15
	v_cmp_eq_u64_e32 vcc_lo, 0, v[10:11]
	s_delay_alu instid0(VALU_DEP_2)
	v_and_or_b32 v10, v10, 7, v15
	s_and_b32 s7, s7, vcc_lo
	s_delay_alu instid0(VALU_DEP_1) | instid1(SALU_CYCLE_1)
	v_cndmask_b32_e64 v10, v10, 0, s7
	s_delay_alu instid0(VALU_DEP_1)
	v_or_b32_e32 v21, v10, v63
.LBB4_3204:                             ;   in Loop: Header=BB4_2406 Depth=2
	s_or_b32 exec_lo, exec_lo, s28
                                        ; implicit-def: $vgpr63
.LBB4_3205:                             ;   in Loop: Header=BB4_2406 Depth=2
	s_and_not1_saveexec_b32 s7, s27
; %bb.3206:                             ;   in Loop: Header=BB4_2406 Depth=2
	v_or_b32_e32 v21, 0x7e, v63
; %bb.3207:                             ;   in Loop: Header=BB4_2406 Depth=2
	s_or_b32 exec_lo, exec_lo, s7
                                        ; implicit-def: $vgpr11
.LBB4_3208:                             ;   in Loop: Header=BB4_2406 Depth=2
	s_and_not1_saveexec_b32 s7, s26
; %bb.3209:                             ;   in Loop: Header=BB4_2406 Depth=2
	v_or_b32_e32 v21, 0x7f, v11
; %bb.3210:                             ;   in Loop: Header=BB4_2406 Depth=2
	s_or_b32 exec_lo, exec_lo, s7
	v_dual_lshrrev_b32 v14, 16, v16 :: v_dual_mov_b32 v10, 0
	v_mov_b32_e32 v11, 0
	s_mov_b32 s7, exec_lo
	s_delay_alu instid0(VALU_DEP_2) | instskip(NEXT) | instid1(VALU_DEP_1)
	v_and_b32_e32 v15, 0xff, v14
	v_cmpx_ne_u16_e32 0, v15
	s_cbranch_execz .LBB4_3218
; %bb.3211:                             ;   in Loop: Header=BB4_2406 Depth=2
	v_bfrev_b32_e32 v11, 1
	s_mov_b32 s26, exec_lo
	v_cmpx_ne_u16_e32 0x80, v15
	s_cbranch_execz .LBB4_3217
; %bb.3212:                             ;   in Loop: Header=BB4_2406 Depth=2
	v_bfe_u32 v15, v16, 16, 7
	v_mov_b32_e32 v11, 0x7f800001
	s_mov_b32 s27, exec_lo
	s_delay_alu instid0(VALU_DEP_2)
	v_cmpx_ne_u32_e32 0x7f, v15
	s_cbranch_execz .LBB4_3216
; %bb.3213:                             ;   in Loop: Header=BB4_2406 Depth=2
	v_dual_lshrrev_b32 v11, 3, v15 :: v_dual_bitop2_b32 v54, 7, v14 bitop3:0x40
	s_mov_b32 s28, exec_lo
	v_cmpx_gt_u32_e32 8, v15
; %bb.3214:                             ;   in Loop: Header=BB4_2406 Depth=2
	s_delay_alu instid0(VALU_DEP_2) | instskip(NEXT) | instid1(VALU_DEP_1)
	v_clz_i32_u32_e32 v11, v54
	v_min_u32_e32 v11, 32, v11
	s_delay_alu instid0(VALU_DEP_1) | instskip(NEXT) | instid1(VALU_DEP_1)
	v_subrev_nc_u32_e32 v15, 28, v11
	v_lshlrev_b64_e32 v[72:73], v15, v[54:55]
	s_delay_alu instid0(VALU_DEP_1)
	v_dual_sub_nc_u32 v11, 29, v11 :: v_dual_bitop2_b32 v54, 7, v72 bitop3:0x40
; %bb.3215:                             ;   in Loop: Header=BB4_2406 Depth=2
	s_or_b32 exec_lo, exec_lo, s28
	v_lshlrev_b32_e32 v14, 24, v14
	s_delay_alu instid0(VALU_DEP_2) | instskip(NEXT) | instid1(VALU_DEP_3)
	v_lshlrev_b32_e32 v15, 20, v54
	v_lshl_add_u32 v11, v11, 23, 0x3c000000
	s_delay_alu instid0(VALU_DEP_3) | instskip(NEXT) | instid1(VALU_DEP_1)
	v_and_b32_e32 v14, 0x80000000, v14
	v_or3_b32 v11, v15, v14, v11
.LBB4_3216:                             ;   in Loop: Header=BB4_2406 Depth=2
	s_or_b32 exec_lo, exec_lo, s27
.LBB4_3217:                             ;   in Loop: Header=BB4_2406 Depth=2
	s_delay_alu instid0(SALU_CYCLE_1)
	s_or_b32 exec_lo, exec_lo, s26
.LBB4_3218:                             ;   in Loop: Header=BB4_2406 Depth=2
	s_delay_alu instid0(SALU_CYCLE_1) | instskip(SKIP_2) | instid1(VALU_DEP_1)
	s_or_b32 exec_lo, exec_lo, s7
	v_lshrrev_b32_e32 v14, 16, v12
	s_mov_b32 s7, exec_lo
	v_and_b32_e32 v15, 0xff, v14
	s_delay_alu instid0(VALU_DEP_1)
	v_cmpx_ne_u16_e32 0, v15
	s_cbranch_execz .LBB4_3226
; %bb.3219:                             ;   in Loop: Header=BB4_2406 Depth=2
	v_bfrev_b32_e32 v10, 1
	s_mov_b32 s26, exec_lo
	v_cmpx_ne_u16_e32 0x80, v15
	s_cbranch_execz .LBB4_3225
; %bb.3220:                             ;   in Loop: Header=BB4_2406 Depth=2
	v_bfe_u32 v15, v12, 16, 7
	v_mov_b32_e32 v10, 0x7f800001
	s_mov_b32 s27, exec_lo
	s_delay_alu instid0(VALU_DEP_2)
	v_cmpx_ne_u32_e32 0x7f, v15
	s_cbranch_execz .LBB4_3224
; %bb.3221:                             ;   in Loop: Header=BB4_2406 Depth=2
	v_dual_lshrrev_b32 v10, 3, v15 :: v_dual_bitop2_b32 v54, 7, v14 bitop3:0x40
	s_mov_b32 s28, exec_lo
	v_cmpx_gt_u32_e32 8, v15
; %bb.3222:                             ;   in Loop: Header=BB4_2406 Depth=2
	s_delay_alu instid0(VALU_DEP_2) | instskip(NEXT) | instid1(VALU_DEP_1)
	v_clz_i32_u32_e32 v10, v54
	v_min_u32_e32 v10, 32, v10
	s_delay_alu instid0(VALU_DEP_1) | instskip(SKIP_1) | instid1(VALU_DEP_2)
	v_subrev_nc_u32_e32 v14, 28, v10
	v_sub_nc_u32_e32 v10, 29, v10
	v_lshlrev_b64_e32 v[14:15], v14, v[54:55]
	s_delay_alu instid0(VALU_DEP_1)
	v_and_b32_e32 v54, 7, v14
; %bb.3223:                             ;   in Loop: Header=BB4_2406 Depth=2
	s_or_b32 exec_lo, exec_lo, s28
	s_delay_alu instid0(VALU_DEP_1) | instskip(SKIP_1) | instid1(VALU_DEP_2)
	v_dual_lshlrev_b32 v14, 8, v12 :: v_dual_lshlrev_b32 v15, 20, v54
	v_lshl_add_u32 v10, v10, 23, 0x3c000000
	v_and_b32_e32 v14, 0x80000000, v14
	s_delay_alu instid0(VALU_DEP_1)
	v_or3_b32 v10, v15, v14, v10
.LBB4_3224:                             ;   in Loop: Header=BB4_2406 Depth=2
	s_or_b32 exec_lo, exec_lo, s27
.LBB4_3225:                             ;   in Loop: Header=BB4_2406 Depth=2
	s_delay_alu instid0(SALU_CYCLE_1)
	s_or_b32 exec_lo, exec_lo, s26
.LBB4_3226:                             ;   in Loop: Header=BB4_2406 Depth=2
	s_delay_alu instid0(SALU_CYCLE_1) | instskip(NEXT) | instid1(VALU_DEP_1)
	s_or_b32 exec_lo, exec_lo, s7
	v_mul_f32_e32 v10, v11, v10
                                        ; implicit-def: $vgpr63
	s_mov_b32 s7, exec_lo
	s_delay_alu instid0(VALU_DEP_1) | instskip(SKIP_1) | instid1(VALU_DEP_2)
	v_and_b32_e32 v54, 0x7f800000, v10
	v_lshrrev_b32_e32 v11, 24, v10
	v_cmpx_ne_u64_e32 0x7f800000, v[54:55]
	s_xor_b32 s26, exec_lo, s7
	s_cbranch_execz .LBB4_3240
; %bb.3227:                             ;   in Loop: Header=BB4_2406 Depth=2
	v_and_b32_e32 v54, 0x7fffffff, v10
	v_and_b32_e32 v72, 0x80, v11
                                        ; implicit-def: $vgpr63
	s_mov_b32 s7, exec_lo
	s_delay_alu instid0(VALU_DEP_2)
	v_cmpx_gt_u64_e32 0x43e00001, v[54:55]
	s_xor_b32 s27, exec_lo, s7
	s_cbranch_execz .LBB4_3237
; %bb.3228:                             ;   in Loop: Header=BB4_2406 Depth=2
	v_mov_b32_e32 v63, 0
	s_mov_b32 s28, exec_lo
	v_cmpx_ne_u32_e32 0, v10
	s_cbranch_execz .LBB4_3236
; %bb.3229:                             ;   in Loop: Header=BB4_2406 Depth=2
	v_bfe_u32 v63, v10, 23, 8
	v_and_b32_e32 v14, 0x7fffff, v10
	s_delay_alu instid0(VALU_DEP_2) | instskip(NEXT) | instid1(VALU_DEP_2)
	v_cmp_gt_u32_e32 vcc_lo, 0x7a, v63
	v_or_b32_e32 v15, 0x800000, v14
	v_sub_nc_u32_e32 v11, 0x79, v63
	s_delay_alu instid0(VALU_DEP_1) | instskip(SKIP_1) | instid1(VALU_DEP_2)
	v_cndmask_b32_e32 v11, 0, v11, vcc_lo
	v_cmp_eq_u32_e32 vcc_lo, 0, v63
	v_cndmask_b32_e64 v73, v11, 0x78, vcc_lo
	s_delay_alu instid0(VALU_DEP_1) | instskip(SKIP_1) | instid1(VALU_DEP_2)
	v_dual_cndmask_b32 v54, v15, v14, vcc_lo :: v_dual_add_nc_u32 v10, 20, v73
	v_add_nc_u32_e32 v74, 19, v73
	v_lshlrev_b64_e64 v[10:11], v10, -1
	s_delay_alu instid0(VALU_DEP_2) | instskip(NEXT) | instid1(VALU_DEP_2)
	v_lshlrev_b64_e64 v[14:15], v74, 1
	v_bfi_b32 v75, v11, 0, 0
	s_delay_alu instid0(VALU_DEP_3) | instskip(SKIP_1) | instid1(VALU_DEP_2)
	v_bfi_b32 v74, v10, 0, v54
	v_lshrrev_b64 v[10:11], v73, v[54:55]
	v_cmp_eq_u64_e64 s7, v[74:75], v[14:15]
	s_delay_alu instid0(VALU_DEP_2)
	v_mov_b64_e32 v[14:15], v[10:11]
	s_and_saveexec_b32 s29, s7
; %bb.3230:                             ;   in Loop: Header=BB4_2406 Depth=2
	v_bfe_u32 v54, v10, 20, 1
	s_delay_alu instid0(VALU_DEP_1) | instskip(NEXT) | instid1(VALU_DEP_1)
	v_add_nc_u64_e32 v[14:15], v[10:11], v[54:55]
	v_add_nc_u64_e32 v[14:15], -1, v[14:15]
; %bb.3231:                             ;   in Loop: Header=BB4_2406 Depth=2
	s_or_b32 exec_lo, exec_lo, s29
	v_add_nc_u32_e32 v11, 0xffffff81, v63
	v_lshrrev_b32_e32 v15, 23, v10
	s_mov_b32 s7, exec_lo
	s_delay_alu instid0(VALU_DEP_2) | instskip(NEXT) | instid1(VALU_DEP_1)
	v_cndmask_b32_e64 v11, v11, 0xffffff82, vcc_lo
	v_add3_u32 v15, v73, v11, v15
	v_and_b32_e32 v11, 0xfffff, v14
                                        ; implicit-def: $vgpr14
	s_delay_alu instid0(VALU_DEP_1) | instskip(NEXT) | instid1(VALU_DEP_1)
	v_dual_add_nc_u32 v63, 6, v15 :: v_dual_add_nc_u32 v54, v11, v10
                                        ; implicit-def: $vgpr10_vgpr11
	v_cmpx_ne_u32_e32 0, v63
	s_xor_b32 s7, exec_lo, s7
; %bb.3232:                             ;   in Loop: Header=BB4_2406 Depth=2
	s_delay_alu instid0(VALU_DEP_2) | instskip(SKIP_1) | instid1(VALU_DEP_1)
	v_cmp_lt_u64_e32 vcc_lo, 0xffffff, v[54:55]
	v_add_nc_u32_e32 v10, 7, v15
	v_cndmask_b32_e32 v14, v63, v10, vcc_lo
	v_cndmask_b32_e64 v10, 0, 1, vcc_lo
	s_delay_alu instid0(VALU_DEP_1)
	v_lshrrev_b64 v[10:11], v10, v[54:55]
; %bb.3233:                             ;   in Loop: Header=BB4_2406 Depth=2
	s_and_not1_saveexec_b32 s7, s7
; %bb.3234:                             ;   in Loop: Header=BB4_2406 Depth=2
	v_mov_b64_e32 v[10:11], v[54:55]
	v_bfe_u32 v14, v54, 23, 1
; %bb.3235:                             ;   in Loop: Header=BB4_2406 Depth=2
	s_or_b32 exec_lo, exec_lo, s7
	s_delay_alu instid0(VALU_DEP_2) | instskip(NEXT) | instid1(VALU_DEP_2)
	v_lshrrev_b64 v[10:11], 20, v[10:11]
	v_cmp_gt_i32_e32 vcc_lo, 16, v14
	v_min_i32_e32 v15, 15, v14
	v_cmp_eq_u32_e64 s7, 0, v14
	s_delay_alu instid0(VALU_DEP_4) | instskip(NEXT) | instid1(VALU_DEP_3)
	v_cndmask_b32_e32 v11, 0, v11, vcc_lo
	v_dual_cndmask_b32 v10, 7, v10 :: v_dual_lshlrev_b32 v15, 3, v15
	s_delay_alu instid0(VALU_DEP_1) | instskip(NEXT) | instid1(VALU_DEP_2)
	v_and_b32_e32 v15, 0xf8, v15
	v_cmp_eq_u64_e32 vcc_lo, 0, v[10:11]
	s_delay_alu instid0(VALU_DEP_2)
	v_and_or_b32 v10, v10, 7, v15
	s_and_b32 s7, s7, vcc_lo
	s_delay_alu instid0(VALU_DEP_1) | instid1(SALU_CYCLE_1)
	v_cndmask_b32_e64 v10, v10, 0, s7
	s_delay_alu instid0(VALU_DEP_1)
	v_or_b32_e32 v63, v10, v72
.LBB4_3236:                             ;   in Loop: Header=BB4_2406 Depth=2
	s_or_b32 exec_lo, exec_lo, s28
                                        ; implicit-def: $vgpr72
.LBB4_3237:                             ;   in Loop: Header=BB4_2406 Depth=2
	s_and_not1_saveexec_b32 s7, s27
; %bb.3238:                             ;   in Loop: Header=BB4_2406 Depth=2
	v_or_b32_e32 v63, 0x7e, v72
; %bb.3239:                             ;   in Loop: Header=BB4_2406 Depth=2
	s_or_b32 exec_lo, exec_lo, s7
                                        ; implicit-def: $vgpr11
.LBB4_3240:                             ;   in Loop: Header=BB4_2406 Depth=2
	s_and_not1_saveexec_b32 s7, s26
; %bb.3241:                             ;   in Loop: Header=BB4_2406 Depth=2
	v_or_b32_e32 v63, 0x7f, v11
; %bb.3242:                             ;   in Loop: Header=BB4_2406 Depth=2
	s_or_b32 exec_lo, exec_lo, s7
	v_dual_mov_b32 v10, 0 :: v_dual_mov_b32 v11, 0
	s_mov_b32 s7, exec_lo
	v_cmpx_lt_u32_e32 0xffffff, v16
	s_cbranch_execz .LBB4_3250
; %bb.3243:                             ;   in Loop: Header=BB4_2406 Depth=2
	v_lshrrev_b32_e32 v14, 24, v16
	v_bfrev_b32_e32 v11, 1
	s_mov_b32 s26, exec_lo
	s_delay_alu instid0(VALU_DEP_2)
	v_cmpx_ne_u32_e32 0x80, v14
	s_cbranch_execz .LBB4_3249
; %bb.3244:                             ;   in Loop: Header=BB4_2406 Depth=2
	v_bfe_u32 v15, v16, 24, 7
	v_mov_b32_e32 v11, 0x7f800001
	s_mov_b32 s27, exec_lo
	s_delay_alu instid0(VALU_DEP_2)
	v_cmpx_ne_u32_e32 0x7f, v15
	s_cbranch_execz .LBB4_3248
; %bb.3245:                             ;   in Loop: Header=BB4_2406 Depth=2
	v_dual_lshrrev_b32 v11, 3, v15 :: v_dual_bitop2_b32 v54, 7, v14 bitop3:0x40
	s_mov_b32 s28, exec_lo
	v_cmpx_gt_u32_e32 8, v15
; %bb.3246:                             ;   in Loop: Header=BB4_2406 Depth=2
	s_delay_alu instid0(VALU_DEP_2) | instskip(NEXT) | instid1(VALU_DEP_1)
	v_clz_i32_u32_e32 v11, v54
	v_min_u32_e32 v11, 32, v11
	s_delay_alu instid0(VALU_DEP_1) | instskip(NEXT) | instid1(VALU_DEP_1)
	v_subrev_nc_u32_e32 v15, 28, v11
	v_lshlrev_b64_e32 v[72:73], v15, v[54:55]
	s_delay_alu instid0(VALU_DEP_1)
	v_dual_sub_nc_u32 v11, 29, v11 :: v_dual_bitop2_b32 v54, 7, v72 bitop3:0x40
; %bb.3247:                             ;   in Loop: Header=BB4_2406 Depth=2
	s_or_b32 exec_lo, exec_lo, s28
	v_lshlrev_b32_e32 v14, 24, v14
	s_delay_alu instid0(VALU_DEP_2) | instskip(NEXT) | instid1(VALU_DEP_3)
	v_lshlrev_b32_e32 v15, 20, v54
	v_lshl_add_u32 v11, v11, 23, 0x3c000000
	s_delay_alu instid0(VALU_DEP_3) | instskip(NEXT) | instid1(VALU_DEP_1)
	v_and_b32_e32 v14, 0x80000000, v14
	v_or3_b32 v11, v15, v14, v11
.LBB4_3248:                             ;   in Loop: Header=BB4_2406 Depth=2
	s_or_b32 exec_lo, exec_lo, s27
.LBB4_3249:                             ;   in Loop: Header=BB4_2406 Depth=2
	s_delay_alu instid0(SALU_CYCLE_1)
	s_or_b32 exec_lo, exec_lo, s26
.LBB4_3250:                             ;   in Loop: Header=BB4_2406 Depth=2
	s_delay_alu instid0(SALU_CYCLE_1) | instskip(NEXT) | instid1(SALU_CYCLE_1)
	s_or_b32 exec_lo, exec_lo, s7
	s_mov_b32 s7, exec_lo
	v_cmpx_lt_u32_e32 0xffffff, v12
	s_cbranch_execz .LBB4_3258
; %bb.3251:                             ;   in Loop: Header=BB4_2406 Depth=2
	v_lshrrev_b32_e32 v14, 24, v12
	v_bfrev_b32_e32 v10, 1
	s_mov_b32 s26, exec_lo
	s_delay_alu instid0(VALU_DEP_2)
	v_cmpx_ne_u32_e32 0x80, v14
	s_cbranch_execz .LBB4_3257
; %bb.3252:                             ;   in Loop: Header=BB4_2406 Depth=2
	v_bfe_u32 v15, v12, 24, 7
	v_mov_b32_e32 v10, 0x7f800001
	s_mov_b32 s27, exec_lo
	s_delay_alu instid0(VALU_DEP_2)
	v_cmpx_ne_u32_e32 0x7f, v15
	s_cbranch_execz .LBB4_3256
; %bb.3253:                             ;   in Loop: Header=BB4_2406 Depth=2
	v_dual_lshrrev_b32 v10, 3, v15 :: v_dual_bitop2_b32 v54, 7, v14 bitop3:0x40
	s_mov_b32 s28, exec_lo
	v_cmpx_gt_u32_e32 8, v15
; %bb.3254:                             ;   in Loop: Header=BB4_2406 Depth=2
	s_delay_alu instid0(VALU_DEP_2) | instskip(NEXT) | instid1(VALU_DEP_1)
	v_clz_i32_u32_e32 v10, v54
	v_min_u32_e32 v10, 32, v10
	s_delay_alu instid0(VALU_DEP_1) | instskip(NEXT) | instid1(VALU_DEP_1)
	v_subrev_nc_u32_e32 v15, 28, v10
	v_lshlrev_b64_e32 v[72:73], v15, v[54:55]
	s_delay_alu instid0(VALU_DEP_1)
	v_dual_sub_nc_u32 v10, 29, v10 :: v_dual_bitop2_b32 v54, 7, v72 bitop3:0x40
; %bb.3255:                             ;   in Loop: Header=BB4_2406 Depth=2
	s_or_b32 exec_lo, exec_lo, s28
	v_lshlrev_b32_e32 v14, 24, v14
	s_delay_alu instid0(VALU_DEP_2) | instskip(NEXT) | instid1(VALU_DEP_3)
	v_lshlrev_b32_e32 v15, 20, v54
	v_lshl_add_u32 v10, v10, 23, 0x3c000000
	s_delay_alu instid0(VALU_DEP_3) | instskip(NEXT) | instid1(VALU_DEP_1)
	v_and_b32_e32 v14, 0x80000000, v14
	v_or3_b32 v10, v15, v14, v10
.LBB4_3256:                             ;   in Loop: Header=BB4_2406 Depth=2
	s_or_b32 exec_lo, exec_lo, s27
.LBB4_3257:                             ;   in Loop: Header=BB4_2406 Depth=2
	s_delay_alu instid0(SALU_CYCLE_1)
	s_or_b32 exec_lo, exec_lo, s26
.LBB4_3258:                             ;   in Loop: Header=BB4_2406 Depth=2
	s_delay_alu instid0(SALU_CYCLE_1) | instskip(NEXT) | instid1(VALU_DEP_1)
	s_or_b32 exec_lo, exec_lo, s7
	v_mul_f32_e32 v10, v11, v10
                                        ; implicit-def: $vgpr72
	s_mov_b32 s7, exec_lo
	s_delay_alu instid0(VALU_DEP_1) | instskip(SKIP_1) | instid1(VALU_DEP_2)
	v_and_b32_e32 v54, 0x7f800000, v10
	v_lshrrev_b32_e32 v11, 24, v10
	v_cmpx_ne_u64_e32 0x7f800000, v[54:55]
	s_xor_b32 s26, exec_lo, s7
	s_cbranch_execz .LBB4_3272
; %bb.3259:                             ;   in Loop: Header=BB4_2406 Depth=2
	v_and_b32_e32 v54, 0x7fffffff, v10
	v_and_b32_e32 v73, 0x80, v11
                                        ; implicit-def: $vgpr72
	s_mov_b32 s7, exec_lo
	s_delay_alu instid0(VALU_DEP_2)
	v_cmpx_gt_u64_e32 0x43e00001, v[54:55]
	s_xor_b32 s27, exec_lo, s7
	s_cbranch_execz .LBB4_3269
; %bb.3260:                             ;   in Loop: Header=BB4_2406 Depth=2
	v_mov_b32_e32 v72, 0
	s_mov_b32 s28, exec_lo
	v_cmpx_ne_u32_e32 0, v10
	s_cbranch_execz .LBB4_3268
; %bb.3261:                             ;   in Loop: Header=BB4_2406 Depth=2
	v_bfe_u32 v72, v10, 23, 8
	v_and_b32_e32 v14, 0x7fffff, v10
	s_delay_alu instid0(VALU_DEP_2) | instskip(NEXT) | instid1(VALU_DEP_2)
	v_cmp_gt_u32_e32 vcc_lo, 0x7a, v72
	v_or_b32_e32 v15, 0x800000, v14
	v_sub_nc_u32_e32 v11, 0x79, v72
	s_delay_alu instid0(VALU_DEP_1) | instskip(SKIP_1) | instid1(VALU_DEP_2)
	v_cndmask_b32_e32 v11, 0, v11, vcc_lo
	v_cmp_eq_u32_e32 vcc_lo, 0, v72
	v_cndmask_b32_e64 v74, v11, 0x78, vcc_lo
	v_cndmask_b32_e32 v54, v15, v14, vcc_lo
	s_delay_alu instid0(VALU_DEP_2) | instskip(NEXT) | instid1(VALU_DEP_1)
	v_dual_add_nc_u32 v10, 20, v74 :: v_dual_add_nc_u32 v75, 19, v74
	v_lshlrev_b64_e64 v[10:11], v10, -1
	s_delay_alu instid0(VALU_DEP_2) | instskip(NEXT) | instid1(VALU_DEP_2)
	v_lshlrev_b64_e64 v[14:15], v75, 1
	v_bfi_b32 v77, v11, 0, 0
	s_delay_alu instid0(VALU_DEP_3) | instskip(SKIP_1) | instid1(VALU_DEP_2)
	v_bfi_b32 v76, v10, 0, v54
	v_lshrrev_b64 v[10:11], v74, v[54:55]
	v_cmp_eq_u64_e64 s7, v[76:77], v[14:15]
	s_delay_alu instid0(VALU_DEP_2)
	v_mov_b64_e32 v[14:15], v[10:11]
	s_and_saveexec_b32 s29, s7
; %bb.3262:                             ;   in Loop: Header=BB4_2406 Depth=2
	v_bfe_u32 v54, v10, 20, 1
	s_delay_alu instid0(VALU_DEP_1) | instskip(NEXT) | instid1(VALU_DEP_1)
	v_add_nc_u64_e32 v[14:15], v[10:11], v[54:55]
	v_add_nc_u64_e32 v[14:15], -1, v[14:15]
; %bb.3263:                             ;   in Loop: Header=BB4_2406 Depth=2
	s_or_b32 exec_lo, exec_lo, s29
	v_add_nc_u32_e32 v11, 0xffffff81, v72
	v_lshrrev_b32_e32 v15, 23, v10
	s_mov_b32 s7, exec_lo
	s_delay_alu instid0(VALU_DEP_2) | instskip(NEXT) | instid1(VALU_DEP_1)
	v_cndmask_b32_e64 v11, v11, 0xffffff82, vcc_lo
	v_add3_u32 v15, v74, v11, v15
	v_and_b32_e32 v11, 0xfffff, v14
                                        ; implicit-def: $vgpr14
	s_delay_alu instid0(VALU_DEP_1) | instskip(NEXT) | instid1(VALU_DEP_1)
	v_dual_add_nc_u32 v72, 6, v15 :: v_dual_add_nc_u32 v54, v11, v10
                                        ; implicit-def: $vgpr10_vgpr11
	v_cmpx_ne_u32_e32 0, v72
	s_xor_b32 s7, exec_lo, s7
; %bb.3264:                             ;   in Loop: Header=BB4_2406 Depth=2
	s_delay_alu instid0(VALU_DEP_2) | instskip(SKIP_1) | instid1(VALU_DEP_1)
	v_cmp_lt_u64_e32 vcc_lo, 0xffffff, v[54:55]
	v_add_nc_u32_e32 v10, 7, v15
	v_cndmask_b32_e32 v14, v72, v10, vcc_lo
	v_cndmask_b32_e64 v10, 0, 1, vcc_lo
	s_delay_alu instid0(VALU_DEP_1)
	v_lshrrev_b64 v[10:11], v10, v[54:55]
; %bb.3265:                             ;   in Loop: Header=BB4_2406 Depth=2
	s_and_not1_saveexec_b32 s7, s7
; %bb.3266:                             ;   in Loop: Header=BB4_2406 Depth=2
	v_mov_b64_e32 v[10:11], v[54:55]
	v_bfe_u32 v14, v54, 23, 1
; %bb.3267:                             ;   in Loop: Header=BB4_2406 Depth=2
	s_or_b32 exec_lo, exec_lo, s7
	s_delay_alu instid0(VALU_DEP_2) | instskip(NEXT) | instid1(VALU_DEP_2)
	v_lshrrev_b64 v[10:11], 20, v[10:11]
	v_cmp_gt_i32_e32 vcc_lo, 16, v14
	v_min_i32_e32 v15, 15, v14
	v_cmp_eq_u32_e64 s7, 0, v14
	s_delay_alu instid0(VALU_DEP_4) | instskip(NEXT) | instid1(VALU_DEP_3)
	v_cndmask_b32_e32 v11, 0, v11, vcc_lo
	v_dual_cndmask_b32 v10, 7, v10 :: v_dual_lshlrev_b32 v15, 3, v15
	s_delay_alu instid0(VALU_DEP_1) | instskip(NEXT) | instid1(VALU_DEP_2)
	v_and_b32_e32 v15, 0xf8, v15
	v_cmp_eq_u64_e32 vcc_lo, 0, v[10:11]
	s_delay_alu instid0(VALU_DEP_2)
	v_and_or_b32 v10, v10, 7, v15
	s_and_b32 s7, s7, vcc_lo
	s_delay_alu instid0(VALU_DEP_1) | instid1(SALU_CYCLE_1)
	v_cndmask_b32_e64 v10, v10, 0, s7
	s_delay_alu instid0(VALU_DEP_1)
	v_or_b32_e32 v72, v10, v73
.LBB4_3268:                             ;   in Loop: Header=BB4_2406 Depth=2
	s_or_b32 exec_lo, exec_lo, s28
                                        ; implicit-def: $vgpr73
.LBB4_3269:                             ;   in Loop: Header=BB4_2406 Depth=2
	s_and_not1_saveexec_b32 s7, s27
; %bb.3270:                             ;   in Loop: Header=BB4_2406 Depth=2
	v_or_b32_e32 v72, 0x7e, v73
; %bb.3271:                             ;   in Loop: Header=BB4_2406 Depth=2
	s_or_b32 exec_lo, exec_lo, s7
                                        ; implicit-def: $vgpr11
.LBB4_3272:                             ;   in Loop: Header=BB4_2406 Depth=2
	s_and_not1_saveexec_b32 s7, s26
; %bb.3273:                             ;   in Loop: Header=BB4_2406 Depth=2
	v_or_b32_e32 v72, 0x7f, v11
; %bb.3274:                             ;   in Loop: Header=BB4_2406 Depth=2
	s_or_b32 exec_lo, exec_lo, s7
	v_and_b32_e32 v14, 0xff, v17
	v_dual_mov_b32 v54, v17 :: v_dual_mov_b32 v11, 0
	v_mov_b32_e32 v10, 0
	s_mov_b32 s7, exec_lo
	s_delay_alu instid0(VALU_DEP_3)
	v_cmpx_ne_u16_e32 0, v14
	s_cbranch_execz .LBB4_3280
; %bb.3275:                             ;   in Loop: Header=BB4_2406 Depth=2
	v_bfrev_b32_e32 v10, 1
	s_mov_b32 s26, exec_lo
	v_cmpx_ne_u16_e32 0x80, v14
	s_cbranch_execz .LBB4_3279
; %bb.3276:                             ;   in Loop: Header=BB4_2406 Depth=2
	v_and_b32_e32 v14, 0x7f, v17
	v_mov_b32_e32 v10, 0x7f800001
	s_mov_b32 s27, exec_lo
	s_delay_alu instid0(VALU_DEP_2)
	v_cmpx_ne_u32_e32 0x7f, v14
	s_cbranch_execz .LBB4_3278
; %bb.3277:                             ;   in Loop: Header=BB4_2406 Depth=2
	v_dual_lshrrev_b32 v15, 3, v14 :: v_dual_bitop2_b32 v10, 7, v17 bitop3:0x40
	v_cmp_gt_u32_e32 vcc_lo, 8, v14
	s_delay_alu instid0(VALU_DEP_2) | instskip(NEXT) | instid1(VALU_DEP_1)
	v_clz_i32_u32_e32 v10, v10
	v_min_u32_e32 v10, 32, v10
	s_delay_alu instid0(VALU_DEP_1) | instskip(NEXT) | instid1(VALU_DEP_1)
	v_subrev_nc_u32_e32 v73, 28, v10
	v_dual_sub_nc_u32 v10, 29, v10 :: v_dual_cndmask_b32 v14, 0, v73, vcc_lo
	s_delay_alu instid0(VALU_DEP_1) | instskip(NEXT) | instid1(VALU_DEP_2)
	v_cndmask_b32_e32 v10, v15, v10, vcc_lo
	v_lshlrev_b64_e32 v[14:15], v14, v[54:55]
	v_lshlrev_b32_e32 v15, 24, v54
	s_delay_alu instid0(VALU_DEP_3) | instskip(NEXT) | instid1(VALU_DEP_2)
	v_lshl_add_u32 v10, v10, 23, 0x3c000000
	v_and_b32_e32 v15, 0x80000000, v15
	s_delay_alu instid0(VALU_DEP_4) | instskip(NEXT) | instid1(VALU_DEP_1)
	v_lshlrev_b32_e32 v14, 20, v14
	v_and_b32_e32 v14, 0x700000, v14
	s_delay_alu instid0(VALU_DEP_1)
	v_or3_b32 v10, v14, v15, v10
.LBB4_3278:                             ;   in Loop: Header=BB4_2406 Depth=2
	s_or_b32 exec_lo, exec_lo, s27
.LBB4_3279:                             ;   in Loop: Header=BB4_2406 Depth=2
	s_delay_alu instid0(SALU_CYCLE_1)
	s_or_b32 exec_lo, exec_lo, s26
.LBB4_3280:                             ;   in Loop: Header=BB4_2406 Depth=2
	s_delay_alu instid0(SALU_CYCLE_1) | instskip(SKIP_2) | instid1(VALU_DEP_1)
	s_or_b32 exec_lo, exec_lo, s7
	v_and_b32_e32 v14, 0xff, v13
	s_mov_b32 s7, exec_lo
	v_cmpx_ne_u16_e32 0, v14
	s_cbranch_execz .LBB4_3286
; %bb.3281:                             ;   in Loop: Header=BB4_2406 Depth=2
	v_bfrev_b32_e32 v11, 1
	s_mov_b32 s26, exec_lo
	v_cmpx_ne_u16_e32 0x80, v14
	s_cbranch_execz .LBB4_3285
; %bb.3282:                             ;   in Loop: Header=BB4_2406 Depth=2
	v_and_b32_e32 v14, 0x7f, v13
	v_mov_b32_e32 v11, 0x7f800001
	s_mov_b32 s27, exec_lo
	s_delay_alu instid0(VALU_DEP_2)
	v_cmpx_ne_u32_e32 0x7f, v14
	s_cbranch_execz .LBB4_3284
; %bb.3283:                             ;   in Loop: Header=BB4_2406 Depth=2
	v_dual_lshrrev_b32 v73, 3, v14 :: v_dual_bitop2_b32 v11, 7, v13 bitop3:0x40
	v_cmp_gt_u32_e32 vcc_lo, 8, v14
	v_mov_b32_e32 v14, v13
	s_delay_alu instid0(VALU_DEP_3) | instskip(NEXT) | instid1(VALU_DEP_1)
	v_clz_i32_u32_e32 v11, v11
	v_min_u32_e32 v11, 32, v11
	s_delay_alu instid0(VALU_DEP_1) | instskip(SKIP_1) | instid1(VALU_DEP_2)
	v_sub_nc_u32_e32 v74, 29, v11
	v_subrev_nc_u32_e32 v11, 28, v11
	v_dual_mov_b32 v15, v55 :: v_dual_cndmask_b32 v73, v73, v74, vcc_lo
	s_delay_alu instid0(VALU_DEP_2) | instskip(NEXT) | instid1(VALU_DEP_1)
	v_cndmask_b32_e32 v11, 0, v11, vcc_lo
	v_lshlrev_b64_e32 v[74:75], v11, v[14:15]
	v_lshlrev_b32_e32 v11, 24, v14
	s_delay_alu instid0(VALU_DEP_4) | instskip(NEXT) | instid1(VALU_DEP_2)
	v_lshl_add_u32 v15, v73, 23, 0x3c000000
	v_and_b32_e32 v11, 0x80000000, v11
	s_delay_alu instid0(VALU_DEP_4) | instskip(NEXT) | instid1(VALU_DEP_1)
	v_lshlrev_b32_e32 v14, 20, v74
	v_and_b32_e32 v14, 0x700000, v14
	s_delay_alu instid0(VALU_DEP_1)
	v_or3_b32 v11, v14, v11, v15
.LBB4_3284:                             ;   in Loop: Header=BB4_2406 Depth=2
	s_or_b32 exec_lo, exec_lo, s27
.LBB4_3285:                             ;   in Loop: Header=BB4_2406 Depth=2
	s_delay_alu instid0(SALU_CYCLE_1)
	s_or_b32 exec_lo, exec_lo, s26
.LBB4_3286:                             ;   in Loop: Header=BB4_2406 Depth=2
	s_delay_alu instid0(SALU_CYCLE_1) | instskip(NEXT) | instid1(VALU_DEP_1)
	s_or_b32 exec_lo, exec_lo, s7
	v_dual_mul_f32 v10, v10, v11 :: v_dual_mov_b32 v15, v55
                                        ; implicit-def: $vgpr73
	s_mov_b32 s7, exec_lo
	s_delay_alu instid0(VALU_DEP_1) | instskip(SKIP_1) | instid1(VALU_DEP_2)
	v_and_b32_e32 v14, 0x7f800000, v10
	v_lshrrev_b32_e32 v11, 24, v10
	v_cmpx_ne_u64_e32 0x7f800000, v[14:15]
	s_xor_b32 s26, exec_lo, s7
	s_cbranch_execz .LBB4_3300
; %bb.3287:                             ;   in Loop: Header=BB4_2406 Depth=2
	v_and_b32_e32 v14, 0x7fffffff, v10
	v_mov_b32_e32 v15, v55
	v_and_b32_e32 v74, 0x80, v11
                                        ; implicit-def: $vgpr73
	s_mov_b32 s7, exec_lo
	s_delay_alu instid0(VALU_DEP_2)
	v_cmpx_gt_u64_e32 0x43e00001, v[14:15]
	s_xor_b32 s27, exec_lo, s7
	s_cbranch_execz .LBB4_3297
; %bb.3288:                             ;   in Loop: Header=BB4_2406 Depth=2
	v_mov_b32_e32 v73, 0
	s_mov_b32 s28, exec_lo
	v_cmpx_ne_u32_e32 0, v10
	s_cbranch_execz .LBB4_3296
; %bb.3289:                             ;   in Loop: Header=BB4_2406 Depth=2
	v_bfe_u32 v73, v10, 23, 8
	v_and_b32_e32 v14, 0x7fffff, v10
	s_mov_b32 s29, exec_lo
	s_delay_alu instid0(VALU_DEP_2) | instskip(NEXT) | instid1(VALU_DEP_2)
	v_cmp_gt_u32_e32 vcc_lo, 0x7a, v73
	v_or_b32_e32 v15, 0x800000, v14
	v_sub_nc_u32_e32 v11, 0x79, v73
	s_delay_alu instid0(VALU_DEP_1) | instskip(SKIP_1) | instid1(VALU_DEP_4)
	v_cndmask_b32_e32 v11, 0, v11, vcc_lo
	v_cmp_eq_u32_e32 vcc_lo, 0, v73
	v_cndmask_b32_e32 v14, v15, v14, vcc_lo
	v_mov_b32_e32 v15, v55
	s_delay_alu instid0(VALU_DEP_4) | instskip(NEXT) | instid1(VALU_DEP_1)
	v_cndmask_b32_e64 v75, v11, 0x78, vcc_lo
	v_dual_add_nc_u32 v10, 20, v75 :: v_dual_add_nc_u32 v76, 19, v75
	s_delay_alu instid0(VALU_DEP_1) | instskip(NEXT) | instid1(VALU_DEP_2)
	v_lshlrev_b64_e64 v[10:11], v10, -1
	v_lshlrev_b64_e64 v[76:77], v76, 1
	s_delay_alu instid0(VALU_DEP_2) | instskip(NEXT) | instid1(VALU_DEP_3)
	v_bfi_b32 v79, v11, 0, 0
	v_bfi_b32 v78, v10, 0, v14
	v_lshrrev_b64 v[10:11], v75, v[14:15]
	s_delay_alu instid0(VALU_DEP_1) | instskip(NEXT) | instid1(VALU_DEP_3)
	v_mov_b64_e32 v[14:15], v[10:11]
	v_cmpx_eq_u64_e64 v[78:79], v[76:77]
; %bb.3290:                             ;   in Loop: Header=BB4_2406 Depth=2
	v_bfe_u32 v14, v10, 20, 1
	v_mov_b32_e32 v15, v55
	s_delay_alu instid0(VALU_DEP_1) | instskip(NEXT) | instid1(VALU_DEP_1)
	v_add_nc_u64_e32 v[14:15], v[10:11], v[14:15]
	v_add_nc_u64_e32 v[14:15], -1, v[14:15]
; %bb.3291:                             ;   in Loop: Header=BB4_2406 Depth=2
	s_or_b32 exec_lo, exec_lo, s29
	v_add_nc_u32_e32 v11, 0xffffff81, v73
	v_lshrrev_b32_e32 v15, 23, v10
	s_mov_b32 s7, exec_lo
	s_delay_alu instid0(VALU_DEP_2) | instskip(NEXT) | instid1(VALU_DEP_1)
	v_cndmask_b32_e64 v11, v11, 0xffffff82, vcc_lo
	v_add3_u32 v15, v75, v11, v15
	v_and_b32_e32 v11, 0xfffff, v14
                                        ; implicit-def: $vgpr14
	s_delay_alu instid0(VALU_DEP_1) | instskip(SKIP_1) | instid1(VALU_DEP_2)
	v_dual_add_nc_u32 v73, 6, v15 :: v_dual_add_nc_u32 v10, v11, v10
	v_mov_b32_e32 v11, v55
	v_cmpx_ne_u32_e32 0, v73
	s_xor_b32 s7, exec_lo, s7
; %bb.3292:                             ;   in Loop: Header=BB4_2406 Depth=2
	s_delay_alu instid0(VALU_DEP_2) | instskip(SKIP_2) | instid1(VALU_DEP_2)
	v_cmp_lt_u64_e32 vcc_lo, 0xffffff, v[10:11]
	v_add_nc_u32_e32 v14, 7, v15
	v_cndmask_b32_e64 v15, 0, 1, vcc_lo
	v_cndmask_b32_e32 v14, v73, v14, vcc_lo
	s_delay_alu instid0(VALU_DEP_2)
	v_lshrrev_b64 v[10:11], v15, v[10:11]
; %bb.3293:                             ;   in Loop: Header=BB4_2406 Depth=2
	s_and_not1_saveexec_b32 s7, s7
; %bb.3294:                             ;   in Loop: Header=BB4_2406 Depth=2
	s_delay_alu instid0(VALU_DEP_1)
	v_bfe_u32 v14, v10, 23, 1
; %bb.3295:                             ;   in Loop: Header=BB4_2406 Depth=2
	s_or_b32 exec_lo, exec_lo, s7
	s_delay_alu instid0(VALU_DEP_2) | instskip(NEXT) | instid1(VALU_DEP_2)
	v_lshrrev_b64 v[10:11], 20, v[10:11]
	v_cmp_gt_i32_e32 vcc_lo, 16, v14
	v_min_i32_e32 v15, 15, v14
	v_cmp_eq_u32_e64 s7, 0, v14
	s_delay_alu instid0(VALU_DEP_4) | instskip(NEXT) | instid1(VALU_DEP_3)
	v_cndmask_b32_e32 v11, 0, v11, vcc_lo
	v_dual_cndmask_b32 v10, 7, v10 :: v_dual_lshlrev_b32 v15, 3, v15
	s_delay_alu instid0(VALU_DEP_1) | instskip(NEXT) | instid1(VALU_DEP_2)
	v_and_b32_e32 v15, 0xf8, v15
	v_cmp_eq_u64_e32 vcc_lo, 0, v[10:11]
	s_delay_alu instid0(VALU_DEP_2)
	v_and_or_b32 v10, v10, 7, v15
	s_and_b32 s7, s7, vcc_lo
	s_delay_alu instid0(VALU_DEP_1) | instid1(SALU_CYCLE_1)
	v_cndmask_b32_e64 v10, v10, 0, s7
	s_delay_alu instid0(VALU_DEP_1)
	v_or_b32_e32 v73, v10, v74
.LBB4_3296:                             ;   in Loop: Header=BB4_2406 Depth=2
	s_or_b32 exec_lo, exec_lo, s28
                                        ; implicit-def: $vgpr74
.LBB4_3297:                             ;   in Loop: Header=BB4_2406 Depth=2
	s_and_not1_saveexec_b32 s7, s27
; %bb.3298:                             ;   in Loop: Header=BB4_2406 Depth=2
	v_or_b32_e32 v73, 0x7e, v74
; %bb.3299:                             ;   in Loop: Header=BB4_2406 Depth=2
	s_or_b32 exec_lo, exec_lo, s7
                                        ; implicit-def: $vgpr11
.LBB4_3300:                             ;   in Loop: Header=BB4_2406 Depth=2
	s_and_not1_saveexec_b32 s7, s26
; %bb.3301:                             ;   in Loop: Header=BB4_2406 Depth=2
	v_or_b32_e32 v73, 0x7f, v11
; %bb.3302:                             ;   in Loop: Header=BB4_2406 Depth=2
	s_or_b32 exec_lo, exec_lo, s7
	v_lshrrev_b16 v11, 8, v54
	v_dual_mov_b32 v14, 0 :: v_dual_mov_b32 v10, 0
	s_mov_b32 s7, exec_lo
	s_delay_alu instid0(VALU_DEP_2)
	v_cmpx_ne_u16_e32 0, v11
	s_cbranch_execz .LBB4_3310
; %bb.3303:                             ;   in Loop: Header=BB4_2406 Depth=2
	v_bfrev_b32_e32 v10, 1
	s_mov_b32 s26, exec_lo
	v_cmpx_ne_u16_e32 0x80, v11
	s_cbranch_execz .LBB4_3309
; %bb.3304:                             ;   in Loop: Header=BB4_2406 Depth=2
	v_and_b32_e32 v11, 0xffff, v11
	v_mov_b32_e32 v10, 0x7f800001
	s_mov_b32 s27, exec_lo
	s_delay_alu instid0(VALU_DEP_2) | instskip(NEXT) | instid1(VALU_DEP_1)
	v_and_b32_e32 v74, 0x7f, v11
	v_cmpx_ne_u32_e32 0x7f, v74
	s_cbranch_execz .LBB4_3308
; %bb.3305:                             ;   in Loop: Header=BB4_2406 Depth=2
	v_dual_mov_b32 v11, v55 :: v_dual_bitop2_b32 v10, 7, v11 bitop3:0x40
	v_lshrrev_b32_e32 v15, 3, v74
	s_mov_b32 s28, exec_lo
	v_cmpx_gt_u32_e32 8, v74
; %bb.3306:                             ;   in Loop: Header=BB4_2406 Depth=2
	s_delay_alu instid0(VALU_DEP_3) | instskip(NEXT) | instid1(VALU_DEP_1)
	v_clz_i32_u32_e32 v15, v10
	v_min_u32_e32 v15, 32, v15
	s_delay_alu instid0(VALU_DEP_1) | instskip(NEXT) | instid1(VALU_DEP_1)
	v_subrev_nc_u32_e32 v74, 28, v15
	v_lshlrev_b64_e32 v[10:11], v74, v[10:11]
	s_delay_alu instid0(VALU_DEP_1)
	v_dual_sub_nc_u32 v15, 29, v15 :: v_dual_bitop2_b32 v10, 7, v10 bitop3:0x40
; %bb.3307:                             ;   in Loop: Header=BB4_2406 Depth=2
	s_or_b32 exec_lo, exec_lo, s28
	v_lshlrev_b32_e32 v11, 16, v54
	s_delay_alu instid0(VALU_DEP_2) | instskip(NEXT) | instid1(VALU_DEP_3)
	v_lshlrev_b32_e32 v10, 20, v10
	v_lshl_add_u32 v15, v15, 23, 0x3c000000
	s_delay_alu instid0(VALU_DEP_3) | instskip(NEXT) | instid1(VALU_DEP_1)
	v_and_b32_e32 v11, 0x80000000, v11
	v_or3_b32 v10, v10, v11, v15
.LBB4_3308:                             ;   in Loop: Header=BB4_2406 Depth=2
	s_or_b32 exec_lo, exec_lo, s27
.LBB4_3309:                             ;   in Loop: Header=BB4_2406 Depth=2
	s_delay_alu instid0(SALU_CYCLE_1)
	s_or_b32 exec_lo, exec_lo, s26
.LBB4_3310:                             ;   in Loop: Header=BB4_2406 Depth=2
	s_delay_alu instid0(SALU_CYCLE_1) | instskip(SKIP_2) | instid1(VALU_DEP_1)
	s_or_b32 exec_lo, exec_lo, s7
	v_lshrrev_b16 v11, 8, v13
	s_mov_b32 s7, exec_lo
	v_cmpx_ne_u16_e32 0, v11
	s_cbranch_execz .LBB4_3318
; %bb.3311:                             ;   in Loop: Header=BB4_2406 Depth=2
	v_bfrev_b32_e32 v14, 1
	s_mov_b32 s26, exec_lo
	v_cmpx_ne_u16_e32 0x80, v11
	s_cbranch_execz .LBB4_3317
; %bb.3312:                             ;   in Loop: Header=BB4_2406 Depth=2
	v_and_b32_e32 v11, 0xffff, v11
	v_mov_b32_e32 v14, 0x7f800001
	s_mov_b32 s27, exec_lo
	s_delay_alu instid0(VALU_DEP_2) | instskip(NEXT) | instid1(VALU_DEP_1)
	v_and_b32_e32 v15, 0x7f, v11
	v_cmpx_ne_u32_e32 0x7f, v15
	s_cbranch_execz .LBB4_3316
; %bb.3313:                             ;   in Loop: Header=BB4_2406 Depth=2
	v_and_b32_e32 v54, 7, v11
	v_lshrrev_b32_e32 v11, 3, v15
	s_mov_b32 s28, exec_lo
	v_cmpx_gt_u32_e32 8, v15
; %bb.3314:                             ;   in Loop: Header=BB4_2406 Depth=2
	s_delay_alu instid0(VALU_DEP_3) | instskip(NEXT) | instid1(VALU_DEP_1)
	v_clz_i32_u32_e32 v11, v54
	v_min_u32_e32 v11, 32, v11
	s_delay_alu instid0(VALU_DEP_1) | instskip(NEXT) | instid1(VALU_DEP_1)
	v_subrev_nc_u32_e32 v14, 28, v11
	v_lshlrev_b64_e32 v[14:15], v14, v[54:55]
	s_delay_alu instid0(VALU_DEP_1)
	v_dual_sub_nc_u32 v11, 29, v11 :: v_dual_bitop2_b32 v54, 7, v14 bitop3:0x40
; %bb.3315:                             ;   in Loop: Header=BB4_2406 Depth=2
	s_or_b32 exec_lo, exec_lo, s28
	s_delay_alu instid0(VALU_DEP_1) | instskip(NEXT) | instid1(VALU_DEP_2)
	v_dual_lshlrev_b32 v14, 16, v13 :: v_dual_lshlrev_b32 v15, 20, v54
	v_lshl_add_u32 v11, v11, 23, 0x3c000000
	s_delay_alu instid0(VALU_DEP_2) | instskip(NEXT) | instid1(VALU_DEP_1)
	v_and_b32_e32 v14, 0x80000000, v14
	v_or3_b32 v14, v15, v14, v11
.LBB4_3316:                             ;   in Loop: Header=BB4_2406 Depth=2
	s_or_b32 exec_lo, exec_lo, s27
.LBB4_3317:                             ;   in Loop: Header=BB4_2406 Depth=2
	s_delay_alu instid0(SALU_CYCLE_1)
	s_or_b32 exec_lo, exec_lo, s26
.LBB4_3318:                             ;   in Loop: Header=BB4_2406 Depth=2
	s_delay_alu instid0(SALU_CYCLE_1) | instskip(NEXT) | instid1(VALU_DEP_1)
	s_or_b32 exec_lo, exec_lo, s7
	v_mul_f32_e32 v10, v10, v14
                                        ; implicit-def: $vgpr74
	s_mov_b32 s7, exec_lo
	s_delay_alu instid0(VALU_DEP_1) | instskip(SKIP_1) | instid1(VALU_DEP_2)
	v_and_b32_e32 v54, 0x7f800000, v10
	v_lshrrev_b32_e32 v11, 24, v10
	v_cmpx_ne_u64_e32 0x7f800000, v[54:55]
	s_xor_b32 s26, exec_lo, s7
	s_cbranch_execz .LBB4_3332
; %bb.3319:                             ;   in Loop: Header=BB4_2406 Depth=2
	v_and_b32_e32 v54, 0x7fffffff, v10
	v_and_b32_e32 v75, 0x80, v11
                                        ; implicit-def: $vgpr74
	s_mov_b32 s7, exec_lo
	s_delay_alu instid0(VALU_DEP_2)
	v_cmpx_gt_u64_e32 0x43e00001, v[54:55]
	s_xor_b32 s27, exec_lo, s7
	s_cbranch_execz .LBB4_3329
; %bb.3320:                             ;   in Loop: Header=BB4_2406 Depth=2
	v_mov_b32_e32 v74, 0
	s_mov_b32 s28, exec_lo
	v_cmpx_ne_u32_e32 0, v10
	s_cbranch_execz .LBB4_3328
; %bb.3321:                             ;   in Loop: Header=BB4_2406 Depth=2
	v_bfe_u32 v74, v10, 23, 8
	v_and_b32_e32 v14, 0x7fffff, v10
	s_delay_alu instid0(VALU_DEP_2) | instskip(SKIP_1) | instid1(VALU_DEP_3)
	v_sub_nc_u32_e32 v11, 0x79, v74
	v_cmp_gt_u32_e32 vcc_lo, 0x7a, v74
	v_or_b32_e32 v15, 0x800000, v14
	s_delay_alu instid0(VALU_DEP_3) | instskip(SKIP_1) | instid1(VALU_DEP_2)
	v_cndmask_b32_e32 v11, 0, v11, vcc_lo
	v_cmp_eq_u32_e32 vcc_lo, 0, v74
	v_cndmask_b32_e64 v76, v11, 0x78, vcc_lo
	s_delay_alu instid0(VALU_DEP_1) | instskip(SKIP_1) | instid1(VALU_DEP_2)
	v_dual_cndmask_b32 v54, v15, v14 :: v_dual_add_nc_u32 v77, 19, v76
	v_add_nc_u32_e32 v10, 20, v76
	v_lshlrev_b64_e64 v[14:15], v77, 1
	s_delay_alu instid0(VALU_DEP_2) | instskip(NEXT) | instid1(VALU_DEP_1)
	v_lshlrev_b64_e64 v[10:11], v10, -1
	v_bfi_b32 v79, v11, 0, 0
	s_delay_alu instid0(VALU_DEP_2) | instskip(SKIP_1) | instid1(VALU_DEP_2)
	v_bfi_b32 v78, v10, 0, v54
	v_lshrrev_b64 v[10:11], v76, v[54:55]
	v_cmp_eq_u64_e64 s7, v[78:79], v[14:15]
	s_delay_alu instid0(VALU_DEP_2)
	v_mov_b64_e32 v[14:15], v[10:11]
	s_and_saveexec_b32 s29, s7
; %bb.3322:                             ;   in Loop: Header=BB4_2406 Depth=2
	v_bfe_u32 v54, v10, 20, 1
	s_delay_alu instid0(VALU_DEP_1) | instskip(NEXT) | instid1(VALU_DEP_1)
	v_add_nc_u64_e32 v[14:15], v[10:11], v[54:55]
	v_add_nc_u64_e32 v[14:15], -1, v[14:15]
; %bb.3323:                             ;   in Loop: Header=BB4_2406 Depth=2
	s_or_b32 exec_lo, exec_lo, s29
	v_add_nc_u32_e32 v11, 0xffffff81, v74
	v_lshrrev_b32_e32 v15, 23, v10
	s_mov_b32 s7, exec_lo
	s_delay_alu instid0(VALU_DEP_2) | instskip(NEXT) | instid1(VALU_DEP_1)
	v_cndmask_b32_e64 v11, v11, 0xffffff82, vcc_lo
	v_add3_u32 v15, v76, v11, v15
	v_and_b32_e32 v11, 0xfffff, v14
                                        ; implicit-def: $vgpr14
	s_delay_alu instid0(VALU_DEP_1) | instskip(NEXT) | instid1(VALU_DEP_1)
	v_dual_add_nc_u32 v74, 6, v15 :: v_dual_add_nc_u32 v54, v11, v10
                                        ; implicit-def: $vgpr10_vgpr11
	v_cmpx_ne_u32_e32 0, v74
	s_xor_b32 s7, exec_lo, s7
; %bb.3324:                             ;   in Loop: Header=BB4_2406 Depth=2
	s_delay_alu instid0(VALU_DEP_2) | instskip(SKIP_1) | instid1(VALU_DEP_1)
	v_cmp_lt_u64_e32 vcc_lo, 0xffffff, v[54:55]
	v_add_nc_u32_e32 v10, 7, v15
	v_cndmask_b32_e32 v14, v74, v10, vcc_lo
	v_cndmask_b32_e64 v10, 0, 1, vcc_lo
	s_delay_alu instid0(VALU_DEP_1)
	v_lshrrev_b64 v[10:11], v10, v[54:55]
; %bb.3325:                             ;   in Loop: Header=BB4_2406 Depth=2
	s_and_not1_saveexec_b32 s7, s7
; %bb.3326:                             ;   in Loop: Header=BB4_2406 Depth=2
	v_mov_b64_e32 v[10:11], v[54:55]
	v_bfe_u32 v14, v54, 23, 1
; %bb.3327:                             ;   in Loop: Header=BB4_2406 Depth=2
	s_or_b32 exec_lo, exec_lo, s7
	s_delay_alu instid0(VALU_DEP_2) | instskip(NEXT) | instid1(VALU_DEP_2)
	v_lshrrev_b64 v[10:11], 20, v[10:11]
	v_cmp_gt_i32_e32 vcc_lo, 16, v14
	v_min_i32_e32 v15, 15, v14
	v_cmp_eq_u32_e64 s7, 0, v14
	s_delay_alu instid0(VALU_DEP_4) | instskip(NEXT) | instid1(VALU_DEP_3)
	v_cndmask_b32_e32 v11, 0, v11, vcc_lo
	v_dual_cndmask_b32 v10, 7, v10 :: v_dual_lshlrev_b32 v15, 3, v15
	s_delay_alu instid0(VALU_DEP_1) | instskip(NEXT) | instid1(VALU_DEP_2)
	v_and_b32_e32 v15, 0xf8, v15
	v_cmp_eq_u64_e32 vcc_lo, 0, v[10:11]
	s_delay_alu instid0(VALU_DEP_2)
	v_and_or_b32 v10, v10, 7, v15
	s_and_b32 s7, s7, vcc_lo
	s_delay_alu instid0(VALU_DEP_1) | instid1(SALU_CYCLE_1)
	v_cndmask_b32_e64 v10, v10, 0, s7
	s_delay_alu instid0(VALU_DEP_1)
	v_or_b32_e32 v74, v10, v75
.LBB4_3328:                             ;   in Loop: Header=BB4_2406 Depth=2
	s_or_b32 exec_lo, exec_lo, s28
                                        ; implicit-def: $vgpr75
.LBB4_3329:                             ;   in Loop: Header=BB4_2406 Depth=2
	s_and_not1_saveexec_b32 s7, s27
; %bb.3330:                             ;   in Loop: Header=BB4_2406 Depth=2
	v_or_b32_e32 v74, 0x7e, v75
; %bb.3331:                             ;   in Loop: Header=BB4_2406 Depth=2
	s_or_b32 exec_lo, exec_lo, s7
                                        ; implicit-def: $vgpr11
.LBB4_3332:                             ;   in Loop: Header=BB4_2406 Depth=2
	s_and_not1_saveexec_b32 s7, s26
; %bb.3333:                             ;   in Loop: Header=BB4_2406 Depth=2
	v_or_b32_e32 v74, 0x7f, v11
; %bb.3334:                             ;   in Loop: Header=BB4_2406 Depth=2
	s_or_b32 exec_lo, exec_lo, s7
	v_dual_lshrrev_b32 v14, 16, v17 :: v_dual_mov_b32 v10, 0
	v_mov_b32_e32 v11, 0
	s_mov_b32 s7, exec_lo
	s_delay_alu instid0(VALU_DEP_2) | instskip(NEXT) | instid1(VALU_DEP_1)
	v_and_b32_e32 v15, 0xff, v14
	v_cmpx_ne_u16_e32 0, v15
	s_cbranch_execz .LBB4_3342
; %bb.3335:                             ;   in Loop: Header=BB4_2406 Depth=2
	v_bfrev_b32_e32 v11, 1
	s_mov_b32 s26, exec_lo
	v_cmpx_ne_u16_e32 0x80, v15
	s_cbranch_execz .LBB4_3341
; %bb.3336:                             ;   in Loop: Header=BB4_2406 Depth=2
	v_bfe_u32 v15, v17, 16, 7
	v_mov_b32_e32 v11, 0x7f800001
	s_mov_b32 s27, exec_lo
	s_delay_alu instid0(VALU_DEP_2)
	v_cmpx_ne_u32_e32 0x7f, v15
	s_cbranch_execz .LBB4_3340
; %bb.3337:                             ;   in Loop: Header=BB4_2406 Depth=2
	v_dual_lshrrev_b32 v11, 3, v15 :: v_dual_bitop2_b32 v54, 7, v14 bitop3:0x40
	s_mov_b32 s28, exec_lo
	v_cmpx_gt_u32_e32 8, v15
; %bb.3338:                             ;   in Loop: Header=BB4_2406 Depth=2
	s_delay_alu instid0(VALU_DEP_2) | instskip(NEXT) | instid1(VALU_DEP_1)
	v_clz_i32_u32_e32 v11, v54
	v_min_u32_e32 v11, 32, v11
	s_delay_alu instid0(VALU_DEP_1) | instskip(NEXT) | instid1(VALU_DEP_1)
	v_subrev_nc_u32_e32 v15, 28, v11
	v_lshlrev_b64_e32 v[76:77], v15, v[54:55]
	s_delay_alu instid0(VALU_DEP_1)
	v_dual_sub_nc_u32 v11, 29, v11 :: v_dual_bitop2_b32 v54, 7, v76 bitop3:0x40
; %bb.3339:                             ;   in Loop: Header=BB4_2406 Depth=2
	s_or_b32 exec_lo, exec_lo, s28
	v_lshlrev_b32_e32 v14, 24, v14
	s_delay_alu instid0(VALU_DEP_2) | instskip(NEXT) | instid1(VALU_DEP_3)
	v_lshlrev_b32_e32 v15, 20, v54
	v_lshl_add_u32 v11, v11, 23, 0x3c000000
	s_delay_alu instid0(VALU_DEP_3) | instskip(NEXT) | instid1(VALU_DEP_1)
	v_and_b32_e32 v14, 0x80000000, v14
	v_or3_b32 v11, v15, v14, v11
.LBB4_3340:                             ;   in Loop: Header=BB4_2406 Depth=2
	s_or_b32 exec_lo, exec_lo, s27
.LBB4_3341:                             ;   in Loop: Header=BB4_2406 Depth=2
	s_delay_alu instid0(SALU_CYCLE_1)
	s_or_b32 exec_lo, exec_lo, s26
.LBB4_3342:                             ;   in Loop: Header=BB4_2406 Depth=2
	s_delay_alu instid0(SALU_CYCLE_1) | instskip(SKIP_2) | instid1(VALU_DEP_1)
	s_or_b32 exec_lo, exec_lo, s7
	v_lshrrev_b32_e32 v14, 16, v13
	s_mov_b32 s7, exec_lo
	v_and_b32_e32 v15, 0xff, v14
	s_delay_alu instid0(VALU_DEP_1)
	v_cmpx_ne_u16_e32 0, v15
	s_cbranch_execz .LBB4_3350
; %bb.3343:                             ;   in Loop: Header=BB4_2406 Depth=2
	v_bfrev_b32_e32 v10, 1
	s_mov_b32 s26, exec_lo
	v_cmpx_ne_u16_e32 0x80, v15
	s_cbranch_execz .LBB4_3349
; %bb.3344:                             ;   in Loop: Header=BB4_2406 Depth=2
	v_bfe_u32 v15, v13, 16, 7
	v_mov_b32_e32 v10, 0x7f800001
	s_mov_b32 s27, exec_lo
	s_delay_alu instid0(VALU_DEP_2)
	v_cmpx_ne_u32_e32 0x7f, v15
	s_cbranch_execz .LBB4_3348
; %bb.3345:                             ;   in Loop: Header=BB4_2406 Depth=2
	v_dual_lshrrev_b32 v10, 3, v15 :: v_dual_bitop2_b32 v54, 7, v14 bitop3:0x40
	s_mov_b32 s28, exec_lo
	v_cmpx_gt_u32_e32 8, v15
; %bb.3346:                             ;   in Loop: Header=BB4_2406 Depth=2
	s_delay_alu instid0(VALU_DEP_2) | instskip(NEXT) | instid1(VALU_DEP_1)
	v_clz_i32_u32_e32 v10, v54
	v_min_u32_e32 v10, 32, v10
	s_delay_alu instid0(VALU_DEP_1) | instskip(SKIP_1) | instid1(VALU_DEP_2)
	v_subrev_nc_u32_e32 v14, 28, v10
	v_sub_nc_u32_e32 v10, 29, v10
	v_lshlrev_b64_e32 v[14:15], v14, v[54:55]
	s_delay_alu instid0(VALU_DEP_1)
	v_and_b32_e32 v54, 7, v14
; %bb.3347:                             ;   in Loop: Header=BB4_2406 Depth=2
	s_or_b32 exec_lo, exec_lo, s28
	s_delay_alu instid0(VALU_DEP_1) | instskip(SKIP_1) | instid1(VALU_DEP_2)
	v_dual_lshlrev_b32 v14, 8, v13 :: v_dual_lshlrev_b32 v15, 20, v54
	v_lshl_add_u32 v10, v10, 23, 0x3c000000
	v_and_b32_e32 v14, 0x80000000, v14
	s_delay_alu instid0(VALU_DEP_1)
	v_or3_b32 v10, v15, v14, v10
.LBB4_3348:                             ;   in Loop: Header=BB4_2406 Depth=2
	s_or_b32 exec_lo, exec_lo, s27
.LBB4_3349:                             ;   in Loop: Header=BB4_2406 Depth=2
	s_delay_alu instid0(SALU_CYCLE_1)
	s_or_b32 exec_lo, exec_lo, s26
.LBB4_3350:                             ;   in Loop: Header=BB4_2406 Depth=2
	s_delay_alu instid0(SALU_CYCLE_1) | instskip(NEXT) | instid1(VALU_DEP_1)
	s_or_b32 exec_lo, exec_lo, s7
	v_mul_f32_e32 v10, v11, v10
                                        ; implicit-def: $vgpr14
	s_mov_b32 s7, exec_lo
	s_delay_alu instid0(VALU_DEP_1) | instskip(SKIP_1) | instid1(VALU_DEP_2)
	v_and_b32_e32 v54, 0x7f800000, v10
	v_lshrrev_b32_e32 v11, 24, v10
	v_cmpx_ne_u64_e32 0x7f800000, v[54:55]
	s_xor_b32 s26, exec_lo, s7
	s_cbranch_execz .LBB4_3364
; %bb.3351:                             ;   in Loop: Header=BB4_2406 Depth=2
	v_and_b32_e32 v54, 0x7fffffff, v10
	v_and_b32_e32 v75, 0x80, v11
                                        ; implicit-def: $vgpr14
	s_mov_b32 s7, exec_lo
	s_delay_alu instid0(VALU_DEP_2)
	v_cmpx_gt_u64_e32 0x43e00001, v[54:55]
	s_xor_b32 s27, exec_lo, s7
	s_cbranch_execz .LBB4_3361
; %bb.3352:                             ;   in Loop: Header=BB4_2406 Depth=2
	v_mov_b32_e32 v14, 0
	s_mov_b32 s28, exec_lo
	v_cmpx_ne_u32_e32 0, v10
	s_cbranch_execz .LBB4_3360
; %bb.3353:                             ;   in Loop: Header=BB4_2406 Depth=2
	v_bfe_u32 v76, v10, 23, 8
	v_and_b32_e32 v14, 0x7fffff, v10
	s_delay_alu instid0(VALU_DEP_2) | instskip(NEXT) | instid1(VALU_DEP_2)
	v_cmp_gt_u32_e32 vcc_lo, 0x7a, v76
	v_or_b32_e32 v15, 0x800000, v14
	v_sub_nc_u32_e32 v11, 0x79, v76
	s_delay_alu instid0(VALU_DEP_1) | instskip(SKIP_1) | instid1(VALU_DEP_2)
	v_cndmask_b32_e32 v11, 0, v11, vcc_lo
	v_cmp_eq_u32_e32 vcc_lo, 0, v76
	v_cndmask_b32_e64 v77, v11, 0x78, vcc_lo
	s_delay_alu instid0(VALU_DEP_1) | instskip(SKIP_1) | instid1(VALU_DEP_2)
	v_dual_cndmask_b32 v54, v15, v14, vcc_lo :: v_dual_add_nc_u32 v10, 20, v77
	v_add_nc_u32_e32 v78, 19, v77
	v_lshlrev_b64_e64 v[10:11], v10, -1
	s_delay_alu instid0(VALU_DEP_2) | instskip(NEXT) | instid1(VALU_DEP_2)
	v_lshlrev_b64_e64 v[14:15], v78, 1
	v_bfi_b32 v79, v11, 0, 0
	s_delay_alu instid0(VALU_DEP_3) | instskip(SKIP_1) | instid1(VALU_DEP_2)
	v_bfi_b32 v78, v10, 0, v54
	v_lshrrev_b64 v[10:11], v77, v[54:55]
	v_cmp_eq_u64_e64 s7, v[78:79], v[14:15]
	s_delay_alu instid0(VALU_DEP_2)
	v_mov_b64_e32 v[14:15], v[10:11]
	s_and_saveexec_b32 s29, s7
; %bb.3354:                             ;   in Loop: Header=BB4_2406 Depth=2
	v_bfe_u32 v54, v10, 20, 1
	s_delay_alu instid0(VALU_DEP_1) | instskip(NEXT) | instid1(VALU_DEP_1)
	v_add_nc_u64_e32 v[14:15], v[10:11], v[54:55]
	v_add_nc_u64_e32 v[14:15], -1, v[14:15]
; %bb.3355:                             ;   in Loop: Header=BB4_2406 Depth=2
	s_or_b32 exec_lo, exec_lo, s29
	v_add_nc_u32_e32 v11, 0xffffff81, v76
	v_lshrrev_b32_e32 v15, 23, v10
	s_mov_b32 s7, exec_lo
	s_delay_alu instid0(VALU_DEP_2) | instskip(NEXT) | instid1(VALU_DEP_1)
	v_cndmask_b32_e64 v11, v11, 0xffffff82, vcc_lo
	v_add3_u32 v15, v77, v11, v15
	v_and_b32_e32 v11, 0xfffff, v14
                                        ; implicit-def: $vgpr14
	s_delay_alu instid0(VALU_DEP_1) | instskip(NEXT) | instid1(VALU_DEP_1)
	v_dual_add_nc_u32 v76, 6, v15 :: v_dual_add_nc_u32 v54, v11, v10
                                        ; implicit-def: $vgpr10_vgpr11
	v_cmpx_ne_u32_e32 0, v76
	s_xor_b32 s7, exec_lo, s7
; %bb.3356:                             ;   in Loop: Header=BB4_2406 Depth=2
	s_delay_alu instid0(VALU_DEP_2) | instskip(SKIP_1) | instid1(VALU_DEP_1)
	v_cmp_lt_u64_e32 vcc_lo, 0xffffff, v[54:55]
	v_add_nc_u32_e32 v10, 7, v15
	v_cndmask_b32_e32 v14, v76, v10, vcc_lo
	v_cndmask_b32_e64 v10, 0, 1, vcc_lo
	s_delay_alu instid0(VALU_DEP_1)
	v_lshrrev_b64 v[10:11], v10, v[54:55]
; %bb.3357:                             ;   in Loop: Header=BB4_2406 Depth=2
	s_and_not1_saveexec_b32 s7, s7
; %bb.3358:                             ;   in Loop: Header=BB4_2406 Depth=2
	v_mov_b64_e32 v[10:11], v[54:55]
	v_bfe_u32 v14, v54, 23, 1
; %bb.3359:                             ;   in Loop: Header=BB4_2406 Depth=2
	s_or_b32 exec_lo, exec_lo, s7
	s_delay_alu instid0(VALU_DEP_2) | instskip(NEXT) | instid1(VALU_DEP_2)
	v_lshrrev_b64 v[10:11], 20, v[10:11]
	v_cmp_gt_i32_e32 vcc_lo, 16, v14
	v_min_i32_e32 v15, 15, v14
	v_cmp_eq_u32_e64 s7, 0, v14
	s_delay_alu instid0(VALU_DEP_4) | instskip(NEXT) | instid1(VALU_DEP_3)
	v_cndmask_b32_e32 v11, 0, v11, vcc_lo
	v_dual_cndmask_b32 v10, 7, v10 :: v_dual_lshlrev_b32 v15, 3, v15
	s_delay_alu instid0(VALU_DEP_1) | instskip(NEXT) | instid1(VALU_DEP_2)
	v_and_b32_e32 v15, 0xf8, v15
	v_cmp_eq_u64_e32 vcc_lo, 0, v[10:11]
	s_delay_alu instid0(VALU_DEP_2)
	v_and_or_b32 v10, v10, 7, v15
	s_and_b32 s7, s7, vcc_lo
	s_delay_alu instid0(VALU_DEP_1) | instid1(SALU_CYCLE_1)
	v_cndmask_b32_e64 v10, v10, 0, s7
	s_delay_alu instid0(VALU_DEP_1)
	v_or_b32_e32 v14, v10, v75
.LBB4_3360:                             ;   in Loop: Header=BB4_2406 Depth=2
	s_or_b32 exec_lo, exec_lo, s28
                                        ; implicit-def: $vgpr75
.LBB4_3361:                             ;   in Loop: Header=BB4_2406 Depth=2
	s_and_not1_saveexec_b32 s7, s27
; %bb.3362:                             ;   in Loop: Header=BB4_2406 Depth=2
	v_or_b32_e32 v14, 0x7e, v75
; %bb.3363:                             ;   in Loop: Header=BB4_2406 Depth=2
	s_or_b32 exec_lo, exec_lo, s7
                                        ; implicit-def: $vgpr11
.LBB4_3364:                             ;   in Loop: Header=BB4_2406 Depth=2
	s_and_not1_saveexec_b32 s7, s26
; %bb.3365:                             ;   in Loop: Header=BB4_2406 Depth=2
	v_or_b32_e32 v14, 0x7f, v11
; %bb.3366:                             ;   in Loop: Header=BB4_2406 Depth=2
	s_or_b32 exec_lo, exec_lo, s7
	v_dual_mov_b32 v10, 0 :: v_dual_mov_b32 v11, 0
	s_mov_b32 s7, exec_lo
	v_cmpx_lt_u64_e64 s[12:13], v[16:17]
	s_cbranch_execz .LBB4_3374
; %bb.3367:                             ;   in Loop: Header=BB4_2406 Depth=2
	v_lshrrev_b32_e32 v15, 24, v17
	v_bfrev_b32_e32 v11, 1
	s_mov_b32 s26, exec_lo
	s_delay_alu instid0(VALU_DEP_2)
	v_cmpx_ne_u32_e32 0x80, v15
	s_cbranch_execz .LBB4_3373
; %bb.3368:                             ;   in Loop: Header=BB4_2406 Depth=2
	v_bfe_u32 v16, v17, 24, 7
	v_mov_b32_e32 v11, 0x7f800001
	s_mov_b32 s27, exec_lo
	s_delay_alu instid0(VALU_DEP_2)
	v_cmpx_ne_u32_e32 0x7f, v16
	s_cbranch_execz .LBB4_3372
; %bb.3369:                             ;   in Loop: Header=BB4_2406 Depth=2
	v_dual_lshrrev_b32 v11, 3, v16 :: v_dual_bitop2_b32 v54, 7, v15 bitop3:0x40
	s_mov_b32 s28, exec_lo
	v_cmpx_gt_u32_e32 8, v16
; %bb.3370:                             ;   in Loop: Header=BB4_2406 Depth=2
	s_delay_alu instid0(VALU_DEP_2) | instskip(NEXT) | instid1(VALU_DEP_1)
	v_clz_i32_u32_e32 v11, v54
	v_min_u32_e32 v11, 32, v11
	s_delay_alu instid0(VALU_DEP_1) | instskip(NEXT) | instid1(VALU_DEP_1)
	v_subrev_nc_u32_e32 v16, 28, v11
	v_lshlrev_b64_e32 v[16:17], v16, v[54:55]
	s_delay_alu instid0(VALU_DEP_1)
	v_dual_sub_nc_u32 v11, 29, v11 :: v_dual_bitop2_b32 v54, 7, v16 bitop3:0x40
; %bb.3371:                             ;   in Loop: Header=BB4_2406 Depth=2
	s_or_b32 exec_lo, exec_lo, s28
	s_delay_alu instid0(VALU_DEP_1) | instskip(NEXT) | instid1(VALU_DEP_2)
	v_dual_lshlrev_b32 v15, 24, v15 :: v_dual_lshlrev_b32 v16, 20, v54
	v_lshl_add_u32 v11, v11, 23, 0x3c000000
	s_delay_alu instid0(VALU_DEP_2) | instskip(NEXT) | instid1(VALU_DEP_1)
	v_and_b32_e32 v15, 0x80000000, v15
	v_or3_b32 v11, v16, v15, v11
.LBB4_3372:                             ;   in Loop: Header=BB4_2406 Depth=2
	s_or_b32 exec_lo, exec_lo, s27
.LBB4_3373:                             ;   in Loop: Header=BB4_2406 Depth=2
	s_delay_alu instid0(SALU_CYCLE_1)
	s_or_b32 exec_lo, exec_lo, s26
.LBB4_3374:                             ;   in Loop: Header=BB4_2406 Depth=2
	s_delay_alu instid0(SALU_CYCLE_1) | instskip(NEXT) | instid1(SALU_CYCLE_1)
	s_or_b32 exec_lo, exec_lo, s7
	s_mov_b32 s7, exec_lo
	v_cmpx_lt_u64_e64 s[12:13], v[12:13]
	s_cbranch_execz .LBB4_3382
; %bb.3375:                             ;   in Loop: Header=BB4_2406 Depth=2
	v_lshrrev_b32_e32 v12, 24, v13
	v_bfrev_b32_e32 v10, 1
	s_mov_b32 s26, exec_lo
	s_delay_alu instid0(VALU_DEP_2)
	v_cmpx_ne_u32_e32 0x80, v12
	s_cbranch_execz .LBB4_3381
; %bb.3376:                             ;   in Loop: Header=BB4_2406 Depth=2
	v_bfe_u32 v13, v13, 24, 7
	v_mov_b32_e32 v10, 0x7f800001
	s_mov_b32 s27, exec_lo
	s_delay_alu instid0(VALU_DEP_2)
	v_cmpx_ne_u32_e32 0x7f, v13
	s_cbranch_execz .LBB4_3380
; %bb.3377:                             ;   in Loop: Header=BB4_2406 Depth=2
	v_dual_lshrrev_b32 v10, 3, v13 :: v_dual_bitop2_b32 v54, 7, v12 bitop3:0x40
	s_mov_b32 s28, exec_lo
	v_cmpx_gt_u32_e32 8, v13
; %bb.3378:                             ;   in Loop: Header=BB4_2406 Depth=2
	s_delay_alu instid0(VALU_DEP_2) | instskip(NEXT) | instid1(VALU_DEP_1)
	v_clz_i32_u32_e32 v10, v54
	v_min_u32_e32 v10, 32, v10
	s_delay_alu instid0(VALU_DEP_1) | instskip(NEXT) | instid1(VALU_DEP_1)
	v_subrev_nc_u32_e32 v13, 28, v10
	v_lshlrev_b64_e32 v[16:17], v13, v[54:55]
	s_delay_alu instid0(VALU_DEP_1)
	v_dual_sub_nc_u32 v10, 29, v10 :: v_dual_bitop2_b32 v54, 7, v16 bitop3:0x40
; %bb.3379:                             ;   in Loop: Header=BB4_2406 Depth=2
	s_or_b32 exec_lo, exec_lo, s28
	s_delay_alu instid0(VALU_DEP_1) | instskip(NEXT) | instid1(VALU_DEP_2)
	v_dual_lshlrev_b32 v12, 24, v12 :: v_dual_lshlrev_b32 v13, 20, v54
	v_lshl_add_u32 v10, v10, 23, 0x3c000000
	s_delay_alu instid0(VALU_DEP_2) | instskip(NEXT) | instid1(VALU_DEP_1)
	v_and_b32_e32 v12, 0x80000000, v12
	v_or3_b32 v10, v13, v12, v10
.LBB4_3380:                             ;   in Loop: Header=BB4_2406 Depth=2
	s_or_b32 exec_lo, exec_lo, s27
.LBB4_3381:                             ;   in Loop: Header=BB4_2406 Depth=2
	s_delay_alu instid0(SALU_CYCLE_1)
	s_or_b32 exec_lo, exec_lo, s26
.LBB4_3382:                             ;   in Loop: Header=BB4_2406 Depth=2
	s_delay_alu instid0(SALU_CYCLE_1) | instskip(NEXT) | instid1(VALU_DEP_1)
	s_or_b32 exec_lo, exec_lo, s7
	v_mul_f32_e32 v11, v11, v10
                                        ; implicit-def: $vgpr10
	s_mov_b32 s7, exec_lo
	s_delay_alu instid0(VALU_DEP_1) | instskip(SKIP_1) | instid1(VALU_DEP_2)
	v_and_b32_e32 v54, 0x7f800000, v11
	v_lshrrev_b32_e32 v12, 24, v11
	v_cmpx_ne_u64_e32 0x7f800000, v[54:55]
	s_xor_b32 s26, exec_lo, s7
	s_cbranch_execz .LBB4_3396
; %bb.3383:                             ;   in Loop: Header=BB4_2406 Depth=2
	v_and_b32_e32 v54, 0x7fffffff, v11
	v_and_b32_e32 v15, 0x80, v12
                                        ; implicit-def: $vgpr10
	s_mov_b32 s7, exec_lo
	s_delay_alu instid0(VALU_DEP_2)
	v_cmpx_gt_u64_e32 0x43e00001, v[54:55]
	s_xor_b32 s27, exec_lo, s7
	s_cbranch_execz .LBB4_3393
; %bb.3384:                             ;   in Loop: Header=BB4_2406 Depth=2
	v_mov_b32_e32 v10, 0
	s_mov_b32 s28, exec_lo
	v_cmpx_ne_u32_e32 0, v11
	s_cbranch_execz .LBB4_3392
; %bb.3385:                             ;   in Loop: Header=BB4_2406 Depth=2
	v_bfe_u32 v16, v11, 23, 8
	v_and_b32_e32 v12, 0x7fffff, v11
	s_delay_alu instid0(VALU_DEP_2) | instskip(SKIP_1) | instid1(VALU_DEP_3)
	v_sub_nc_u32_e32 v10, 0x79, v16
	v_cmp_gt_u32_e32 vcc_lo, 0x7a, v16
	v_or_b32_e32 v13, 0x800000, v12
	s_delay_alu instid0(VALU_DEP_3) | instskip(SKIP_1) | instid1(VALU_DEP_2)
	v_cndmask_b32_e32 v10, 0, v10, vcc_lo
	v_cmp_eq_u32_e32 vcc_lo, 0, v16
	v_cndmask_b32_e64 v17, v10, 0x78, vcc_lo
	s_delay_alu instid0(VALU_DEP_1) | instskip(SKIP_1) | instid1(VALU_DEP_2)
	v_dual_cndmask_b32 v54, v13, v12, vcc_lo :: v_dual_add_nc_u32 v10, 20, v17
	v_add_nc_u32_e32 v75, 19, v17
	v_lshlrev_b64_e64 v[10:11], v10, -1
	s_delay_alu instid0(VALU_DEP_2) | instskip(NEXT) | instid1(VALU_DEP_2)
	v_lshlrev_b64_e64 v[12:13], v75, 1
	v_bfi_b32 v77, v11, 0, 0
	s_delay_alu instid0(VALU_DEP_3) | instskip(SKIP_1) | instid1(VALU_DEP_2)
	v_bfi_b32 v76, v10, 0, v54
	v_lshrrev_b64 v[10:11], v17, v[54:55]
	v_cmp_eq_u64_e64 s7, v[76:77], v[12:13]
	s_delay_alu instid0(VALU_DEP_2)
	v_mov_b64_e32 v[12:13], v[10:11]
	s_and_saveexec_b32 s29, s7
; %bb.3386:                             ;   in Loop: Header=BB4_2406 Depth=2
	v_bfe_u32 v54, v10, 20, 1
	s_delay_alu instid0(VALU_DEP_1) | instskip(NEXT) | instid1(VALU_DEP_1)
	v_add_nc_u64_e32 v[12:13], v[10:11], v[54:55]
	v_add_nc_u64_e32 v[12:13], -1, v[12:13]
; %bb.3387:                             ;   in Loop: Header=BB4_2406 Depth=2
	s_or_b32 exec_lo, exec_lo, s29
	v_add_nc_u32_e32 v11, 0xffffff81, v16
	v_lshrrev_b32_e32 v13, 23, v10
	s_mov_b32 s7, exec_lo
	s_delay_alu instid0(VALU_DEP_2) | instskip(NEXT) | instid1(VALU_DEP_1)
	v_cndmask_b32_e64 v11, v11, 0xffffff82, vcc_lo
	v_add3_u32 v13, v17, v11, v13
	v_and_b32_e32 v11, 0xfffff, v12
                                        ; implicit-def: $vgpr12
	s_delay_alu instid0(VALU_DEP_1) | instskip(NEXT) | instid1(VALU_DEP_1)
	v_dual_add_nc_u32 v16, 6, v13 :: v_dual_add_nc_u32 v54, v11, v10
                                        ; implicit-def: $vgpr10_vgpr11
	v_cmpx_ne_u32_e32 0, v16
	s_xor_b32 s7, exec_lo, s7
; %bb.3388:                             ;   in Loop: Header=BB4_2406 Depth=2
	s_delay_alu instid0(VALU_DEP_2) | instskip(SKIP_1) | instid1(VALU_DEP_1)
	v_cmp_lt_u64_e32 vcc_lo, 0xffffff, v[54:55]
	v_add_nc_u32_e32 v10, 7, v13
	v_cndmask_b32_e32 v12, v16, v10, vcc_lo
	v_cndmask_b32_e64 v10, 0, 1, vcc_lo
	s_delay_alu instid0(VALU_DEP_1)
	v_lshrrev_b64 v[10:11], v10, v[54:55]
; %bb.3389:                             ;   in Loop: Header=BB4_2406 Depth=2
	s_and_not1_saveexec_b32 s7, s7
; %bb.3390:                             ;   in Loop: Header=BB4_2406 Depth=2
	v_mov_b64_e32 v[10:11], v[54:55]
	v_bfe_u32 v12, v54, 23, 1
; %bb.3391:                             ;   in Loop: Header=BB4_2406 Depth=2
	s_or_b32 exec_lo, exec_lo, s7
	s_delay_alu instid0(VALU_DEP_2) | instskip(NEXT) | instid1(VALU_DEP_2)
	v_lshrrev_b64 v[10:11], 20, v[10:11]
	v_cmp_gt_i32_e32 vcc_lo, 16, v12
	v_min_i32_e32 v13, 15, v12
	v_cmp_eq_u32_e64 s7, 0, v12
	s_delay_alu instid0(VALU_DEP_2) | instskip(SKIP_1) | instid1(VALU_DEP_2)
	v_dual_cndmask_b32 v11, 0, v11, vcc_lo :: v_dual_lshlrev_b32 v13, 3, v13
	v_cndmask_b32_e32 v10, 7, v10, vcc_lo
	v_and_b32_e32 v13, 0xf8, v13
	s_delay_alu instid0(VALU_DEP_2) | instskip(NEXT) | instid1(VALU_DEP_2)
	v_cmp_eq_u64_e32 vcc_lo, 0, v[10:11]
	v_and_or_b32 v10, v10, 7, v13
	s_and_b32 s7, s7, vcc_lo
	s_delay_alu instid0(VALU_DEP_1) | instid1(SALU_CYCLE_1)
	v_cndmask_b32_e64 v10, v10, 0, s7
	s_delay_alu instid0(VALU_DEP_1)
	v_or_b32_e32 v10, v10, v15
.LBB4_3392:                             ;   in Loop: Header=BB4_2406 Depth=2
	s_or_b32 exec_lo, exec_lo, s28
                                        ; implicit-def: $vgpr15
.LBB4_3393:                             ;   in Loop: Header=BB4_2406 Depth=2
	s_and_not1_saveexec_b32 s7, s27
; %bb.3394:                             ;   in Loop: Header=BB4_2406 Depth=2
	v_or_b32_e32 v10, 0x7e, v15
; %bb.3395:                             ;   in Loop: Header=BB4_2406 Depth=2
	s_or_b32 exec_lo, exec_lo, s7
                                        ; implicit-def: $vgpr12
.LBB4_3396:                             ;   in Loop: Header=BB4_2406 Depth=2
	s_and_not1_saveexec_b32 s7, s26
	s_cbranch_execz .LBB4_2405
; %bb.3397:                             ;   in Loop: Header=BB4_2406 Depth=2
	v_or_b32_e32 v10, 0x7f, v12
	s_branch .LBB4_2405
.LBB4_3398:                             ;   in Loop: Header=BB4_2331 Depth=1
	s_or_b32 exec_lo, exec_lo, s11
.LBB4_3399:                             ;   in Loop: Header=BB4_2331 Depth=1
	s_delay_alu instid0(SALU_CYCLE_1) | instskip(SKIP_4) | instid1(VALU_DEP_2)
	s_or_b32 exec_lo, exec_lo, s10
	v_and_b32_e32 v11, 0x3ffffc00, v118
	v_mov_b32_e32 v20, 0
	s_mov_b32 s7, 0
	s_mov_b32 s26, exec_lo
                                        ; implicit-def: $vgpr21
                                        ; implicit-def: $vgpr22
                                        ; implicit-def: $vgpr10
	v_cmpx_ne_u32_e64 v118, v11
	s_cbranch_execz .LBB4_3903
; %bb.3400:                             ;   in Loop: Header=BB4_2331 Depth=1
	v_lshlrev_b32_e32 v10, 5, v119
	v_and_b32_e32 v102, 0x1ff, v118
	v_bfe_u32 v14, v118, 9, 1
	s_mov_b32 s27, exec_lo
	s_delay_alu instid0(VALU_DEP_3) | instskip(NEXT) | instid1(VALU_DEP_3)
	v_sub_nc_u32_e32 v10, v115, v10
	v_cmp_lt_u32_e32 vcc_lo, 15, v102
	s_delay_alu instid0(VALU_DEP_2) | instskip(SKIP_1) | instid1(VALU_DEP_2)
	v_ashrrev_i32_e32 v12, 31, v10
	v_add_co_ci_u32_e64 v14, null, 0, v14, vcc_lo
	v_lshrrev_b32_e32 v12, 27, v12
	s_delay_alu instid0(VALU_DEP_1) | instskip(NEXT) | instid1(VALU_DEP_1)
	v_add_nc_u32_e32 v12, v10, v12
	v_and_b32_e32 v13, 0xffffffe0, v12
	s_delay_alu instid0(VALU_DEP_1) | instskip(SKIP_1) | instid1(VALU_DEP_2)
	v_dual_ashrrev_i32 v12, 5, v12 :: v_dual_sub_nc_u32 v100, v10, v13
	v_and_b32_e32 v13, 0x3ff, v118
	v_sub_nc_u32_e32 v101, v14, v12
	s_delay_alu instid0(VALU_DEP_3) | instskip(NEXT) | instid1(VALU_DEP_1)
	v_lshlrev_b32_e32 v10, 4, v100
	v_lshl_add_u32 v10, v12, 9, v10
	s_delay_alu instid0(VALU_DEP_1) | instskip(NEXT) | instid1(VALU_DEP_1)
	v_sub_nc_u32_e32 v103, v13, v10
	v_cmpx_lt_i32_e32 15, v103
	s_cbranch_execz .LBB4_3900
; %bb.3401:                             ;   in Loop: Header=BB4_2331 Depth=1
	s_trap 2
	ds_load_b64 v[12:13], v0
	v_add_nc_u32_e32 v10, v10, v11
	s_mov_b32 s28, 0
	s_delay_alu instid0(VALU_DEP_1) | instskip(NEXT) | instid1(VALU_DEP_1)
	v_ashrrev_i32_e32 v11, 31, v10
	v_add_nc_u64_e32 v[18:19], v[10:11], v[84:85]
	v_add_nc_u64_e32 v[22:23], v[10:11], v[86:87]
	s_wait_dscnt 0x0
	v_add_nc_u64_e32 v[20:21], v[12:13], v[10:11]
	s_branch .LBB4_3403
.LBB4_3402:                             ;   in Loop: Header=BB4_3403 Depth=2
	s_or_b32 exec_lo, exec_lo, s7
	v_lshl_or_b32 v11, v99, 8, v98
	v_dual_lshlrev_b32 v12, 16, v96 :: v_dual_lshlrev_b32 v13, 24, v97
	v_lshl_or_b32 v15, v113, 8, v112
	v_dual_lshlrev_b32 v16, 16, v119 :: v_dual_lshlrev_b32 v17, 24, v41
	;; [unrolled: 2-line block ×3, first 2 shown]
	v_dual_lshlrev_b32 v98, 24, v10 :: v_dual_sub_nc_u32 v101, v101, v52
	v_lshlrev_b32_e32 v14, 16, v14
	v_lshl_or_b32 v24, v25, 8, v24
	v_or3_b32 v11, v11, v12, v13
	v_or3_b32 v10, v15, v16, v17
	;; [unrolled: 1-line block ×3, first 2 shown]
	v_sub_nc_u32_e32 v103, v103, v70
	v_or3_b32 v13, v24, v14, v98
	v_add_nc_u64_e32 v[18:19], v[18:19], v[70:71]
	v_add_nc_u64_e32 v[20:21], v[20:21], v[70:71]
	s_delay_alu instid0(VALU_DEP_4) | instskip(SKIP_4) | instid1(SALU_CYCLE_1)
	v_cmp_gt_i32_e64 s7, 16, v103
	global_store_b128 v[22:23], v[10:13], off th:TH_STORE_NT
	s_wait_xcnt 0x0
	v_add_nc_u64_e32 v[22:23], v[22:23], v[70:71]
	s_or_b32 s28, s7, s28
	s_and_not1_b32 exec_lo, exec_lo, s28
	s_cbranch_execz .LBB4_3899
.LBB4_3403:                             ;   Parent Loop BB4_2331 Depth=1
                                        ; =>  This Inner Loop Header: Depth=2
	global_load_b128 v[14:17], v[18:19], off th:TH_LOAD_NT
	global_load_b128 v[10:13], v[20:21], off th:TH_LOAD_NT
	v_mov_b32_e32 v24, 0
	s_mov_b32 s10, exec_lo
	s_wait_loadcnt 0x1
	v_and_b32_e32 v25, 0xff, v14
	s_wait_xcnt 0x0
	s_delay_alu instid0(VALU_DEP_1)
	v_cmpx_ne_u16_e32 0, v25
	s_cbranch_execz .LBB4_3409
; %bb.3404:                             ;   in Loop: Header=BB4_3403 Depth=2
	v_bfrev_b32_e32 v24, 1
	s_mov_b32 s11, exec_lo
	v_cmpx_ne_u16_e32 0x80, v25
	s_cbranch_execz .LBB4_3408
; %bb.3405:                             ;   in Loop: Header=BB4_3403 Depth=2
	v_and_b32_e32 v25, 0x7f, v14
	v_mov_b32_e32 v24, 0x7f800001
	s_mov_b32 s29, exec_lo
	s_delay_alu instid0(VALU_DEP_2)
	v_cmpx_ne_u32_e32 0x7f, v25
	s_cbranch_execz .LBB4_3407
; %bb.3406:                             ;   in Loop: Header=BB4_3403 Depth=2
	v_dual_lshrrev_b32 v54, 3, v25 :: v_dual_bitop2_b32 v24, 7, v14 bitop3:0x40
	v_cmp_gt_u32_e64 s7, 8, v25
	s_delay_alu instid0(VALU_DEP_2) | instskip(NEXT) | instid1(VALU_DEP_1)
	v_clz_i32_u32_e32 v24, v24
	v_min_u32_e32 v24, 32, v24
	s_delay_alu instid0(VALU_DEP_1) | instskip(SKIP_1) | instid1(VALU_DEP_1)
	v_subrev_nc_u32_e32 v96, 28, v24
	v_sub_nc_u32_e32 v24, 29, v24
	v_cndmask_b32_e64 v54, v54, v24, s7
	s_delay_alu instid0(VALU_DEP_3) | instskip(NEXT) | instid1(VALU_DEP_1)
	v_cndmask_b32_e64 v24, 0, v96, s7
	v_lshlrev_b64_e32 v[24:25], v24, v[14:15]
	v_lshlrev_b32_e32 v25, 24, v14
	s_delay_alu instid0(VALU_DEP_1) | instskip(NEXT) | instid1(VALU_DEP_3)
	v_and_b32_e32 v25, 0x80000000, v25
	v_lshlrev_b32_e32 v24, 20, v24
	v_lshl_add_u32 v54, v54, 23, 0x3c000000
	s_delay_alu instid0(VALU_DEP_2) | instskip(NEXT) | instid1(VALU_DEP_1)
	v_and_b32_e32 v24, 0x700000, v24
	v_or3_b32 v24, v24, v25, v54
.LBB4_3407:                             ;   in Loop: Header=BB4_3403 Depth=2
	s_or_b32 exec_lo, exec_lo, s29
.LBB4_3408:                             ;   in Loop: Header=BB4_3403 Depth=2
	s_delay_alu instid0(SALU_CYCLE_1)
	s_or_b32 exec_lo, exec_lo, s11
.LBB4_3409:                             ;   in Loop: Header=BB4_3403 Depth=2
	s_delay_alu instid0(SALU_CYCLE_1) | instskip(SKIP_4) | instid1(VALU_DEP_1)
	s_or_b32 exec_lo, exec_lo, s10
	s_wait_loadcnt 0x0
	v_and_b32_e32 v54, 0xff, v10
	s_mov_b32 s10, 0
	s_mov_b32 s11, exec_lo
	v_cmpx_lt_i16_e32 0x7f, v54
	s_xor_b32 s11, exec_lo, s11
	s_cbranch_execz .LBB4_3444
; %bb.3410:                             ;   in Loop: Header=BB4_3403 Depth=2
	s_mov_b32 s10, -1
	s_mov_b32 s29, exec_lo
	v_cmpx_eq_u16_e32 0x80, v54
; %bb.3411:                             ;   in Loop: Header=BB4_3403 Depth=2
	s_xor_b32 s10, exec_lo, -1
; %bb.3412:                             ;   in Loop: Header=BB4_3403 Depth=2
	s_or_b32 exec_lo, exec_lo, s29
	s_delay_alu instid0(SALU_CYCLE_1)
	s_and_b32 s10, s10, exec_lo
                                        ; implicit-def: $vgpr54
	s_or_saveexec_b32 s11, s11
	v_bfrev_b32_e32 v25, 1
	s_xor_b32 exec_lo, exec_lo, s11
	s_cbranch_execnz .LBB4_3445
.LBB4_3413:                             ;   in Loop: Header=BB4_3403 Depth=2
	s_or_b32 exec_lo, exec_lo, s11
	s_and_saveexec_b32 s11, s10
	s_cbranch_execz .LBB4_3415
.LBB4_3414:                             ;   in Loop: Header=BB4_3403 Depth=2
	v_and_b32_e32 v54, 0x7f, v10
	v_bfe_u32 v96, v10, 3, 4
	s_delay_alu instid0(VALU_DEP_2) | instskip(SKIP_1) | instid1(VALU_DEP_1)
	v_cmp_gt_u32_e64 s7, 8, v54
	v_and_b32_e32 v25, 7, v10
	v_clz_i32_u32_e32 v25, v25
	s_delay_alu instid0(VALU_DEP_1) | instskip(NEXT) | instid1(VALU_DEP_1)
	v_min_u32_e32 v25, 32, v25
	v_subrev_nc_u32_e32 v97, 28, v25
	v_sub_nc_u32_e32 v25, 29, v25
	s_delay_alu instid0(VALU_DEP_1) | instskip(NEXT) | instid1(VALU_DEP_3)
	v_cndmask_b32_e64 v25, v96, v25, s7
	v_cndmask_b32_e64 v96, 0, v97, s7
	v_cmp_ne_u32_e64 s7, 0x7f, v54
	s_delay_alu instid0(VALU_DEP_2) | instskip(SKIP_1) | instid1(VALU_DEP_1)
	v_lshlrev_b64_e32 v[96:97], v96, v[10:11]
	v_lshlrev_b32_e32 v97, 24, v10
	v_and_b32_e32 v97, 0x80000000, v97
	s_delay_alu instid0(VALU_DEP_3) | instskip(SKIP_1) | instid1(VALU_DEP_2)
	v_lshlrev_b32_e32 v96, 20, v96
	v_lshl_add_u32 v25, v25, 23, 0x3c000000
	v_and_b32_e32 v96, 0x700000, v96
	s_delay_alu instid0(VALU_DEP_1) | instskip(NEXT) | instid1(VALU_DEP_1)
	v_or3_b32 v25, v96, v97, v25
	v_cndmask_b32_e64 v25, 0x7f800001, v25, s7
.LBB4_3415:                             ;   in Loop: Header=BB4_3403 Depth=2
	s_or_b32 exec_lo, exec_lo, s11
	s_delay_alu instid0(VALU_DEP_1) | instskip(SKIP_1) | instid1(VALU_DEP_1)
	v_mul_f32_e32 v24, v24, v25
                                        ; implicit-def: $vgpr112
	s_mov_b32 s10, exec_lo
	v_and_b32_e32 v54, 0x7f800000, v24
	v_lshrrev_b32_e32 v25, 24, v24
	s_delay_alu instid0(VALU_DEP_2)
	v_cmpx_ne_u64_e32 0x7f800000, v[54:55]
	s_xor_b32 s11, exec_lo, s10
	s_cbranch_execz .LBB4_3429
; %bb.3416:                             ;   in Loop: Header=BB4_3403 Depth=2
	v_and_b32_e32 v54, 0x7fffffff, v24
	v_and_b32_e32 v98, 0x80, v25
                                        ; implicit-def: $vgpr112
	s_mov_b32 s10, exec_lo
	s_delay_alu instid0(VALU_DEP_2)
	v_cmpx_gt_u64_e32 0x43e00001, v[54:55]
	s_xor_b32 s29, exec_lo, s10
	s_cbranch_execz .LBB4_3426
; %bb.3417:                             ;   in Loop: Header=BB4_3403 Depth=2
	v_mov_b32_e32 v112, 0
	s_mov_b32 s40, exec_lo
	v_cmpx_ne_u32_e32 0, v24
	s_cbranch_execz .LBB4_3425
; %bb.3418:                             ;   in Loop: Header=BB4_3403 Depth=2
	v_bfe_u32 v99, v24, 23, 8
	v_and_b32_e32 v54, 0x7fffff, v24
	s_delay_alu instid0(VALU_DEP_2) | instskip(SKIP_1) | instid1(VALU_DEP_3)
	v_sub_nc_u32_e32 v25, 0x79, v99
	v_cmp_gt_u32_e64 s7, 0x7a, v99
	v_or_b32_e32 v96, 0x800000, v54
	s_delay_alu instid0(VALU_DEP_2) | instskip(SKIP_1) | instid1(VALU_DEP_1)
	v_cndmask_b32_e64 v25, 0, v25, s7
	v_cmp_eq_u32_e64 s7, 0, v99
	v_cndmask_b32_e64 v112, v25, 0x78, s7
	s_delay_alu instid0(VALU_DEP_1) | instskip(SKIP_1) | instid1(VALU_DEP_2)
	v_dual_cndmask_b32 v54, v96, v54, s7 :: v_dual_add_nc_u32 v97, 19, v112
	v_add_nc_u32_e32 v24, 20, v112
	v_lshlrev_b64_e64 v[96:97], v97, 1
	s_delay_alu instid0(VALU_DEP_2) | instskip(NEXT) | instid1(VALU_DEP_1)
	v_lshlrev_b64_e64 v[24:25], v24, -1
	v_bfi_b32 v43, v25, 0, 0
	s_delay_alu instid0(VALU_DEP_2) | instskip(SKIP_1) | instid1(VALU_DEP_2)
	v_bfi_b32 v42, v24, 0, v54
	v_lshrrev_b64 v[24:25], v112, v[54:55]
	v_cmp_eq_u64_e64 s10, v[42:43], v[96:97]
	s_delay_alu instid0(VALU_DEP_2)
	v_mov_b64_e32 v[96:97], v[24:25]
	s_and_saveexec_b32 s41, s10
; %bb.3419:                             ;   in Loop: Header=BB4_3403 Depth=2
	v_bfe_u32 v54, v24, 20, 1
	s_delay_alu instid0(VALU_DEP_1) | instskip(NEXT) | instid1(VALU_DEP_1)
	v_add_nc_u64_e32 v[96:97], v[24:25], v[54:55]
	v_add_nc_u64_e32 v[96:97], -1, v[96:97]
; %bb.3420:                             ;   in Loop: Header=BB4_3403 Depth=2
	s_or_b32 exec_lo, exec_lo, s41
	v_add_nc_u32_e32 v25, 0xffffff81, v99
	v_lshrrev_b32_e32 v54, 23, v24
	s_mov_b32 s10, exec_lo
	s_delay_alu instid0(VALU_DEP_2) | instskip(NEXT) | instid1(VALU_DEP_1)
	v_cndmask_b32_e64 v25, v25, 0xffffff82, s7
	v_add3_u32 v97, v112, v25, v54
	v_and_b32_e32 v25, 0xfffff, v96
                                        ; implicit-def: $vgpr96
	s_delay_alu instid0(VALU_DEP_1) | instskip(NEXT) | instid1(VALU_DEP_1)
	v_dual_add_nc_u32 v99, 6, v97 :: v_dual_add_nc_u32 v54, v25, v24
                                        ; implicit-def: $vgpr24_vgpr25
	v_cmpx_ne_u32_e32 0, v99
	s_xor_b32 s10, exec_lo, s10
; %bb.3421:                             ;   in Loop: Header=BB4_3403 Depth=2
	s_delay_alu instid0(VALU_DEP_2) | instskip(SKIP_1) | instid1(VALU_DEP_1)
	v_cmp_lt_u64_e64 s7, 0xffffff, v[54:55]
	v_add_nc_u32_e32 v24, 7, v97
	v_cndmask_b32_e64 v96, v99, v24, s7
	v_cndmask_b32_e64 v24, 0, 1, s7
	s_delay_alu instid0(VALU_DEP_1)
	v_lshrrev_b64 v[24:25], v24, v[54:55]
; %bb.3422:                             ;   in Loop: Header=BB4_3403 Depth=2
	s_and_not1_saveexec_b32 s7, s10
; %bb.3423:                             ;   in Loop: Header=BB4_3403 Depth=2
	v_mov_b64_e32 v[24:25], v[54:55]
	v_bfe_u32 v96, v54, 23, 1
; %bb.3424:                             ;   in Loop: Header=BB4_3403 Depth=2
	s_or_b32 exec_lo, exec_lo, s7
	s_delay_alu instid0(VALU_DEP_2) | instskip(NEXT) | instid1(VALU_DEP_2)
	v_lshrrev_b64 v[24:25], 20, v[24:25]
	v_cmp_gt_i32_e64 s7, 16, v96
	v_min_i32_e32 v54, 15, v96
	v_cmp_eq_u32_e64 s10, 0, v96
	s_delay_alu instid0(VALU_DEP_2) | instskip(SKIP_1) | instid1(VALU_DEP_2)
	v_dual_cndmask_b32 v25, 0, v25, s7 :: v_dual_lshlrev_b32 v54, 3, v54
	v_cndmask_b32_e64 v24, 7, v24, s7
	v_and_b32_e32 v54, 0xf8, v54
	s_delay_alu instid0(VALU_DEP_2) | instskip(NEXT) | instid1(VALU_DEP_2)
	v_cmp_eq_u64_e64 s7, 0, v[24:25]
	v_and_or_b32 v24, v24, 7, v54
	s_and_b32 s7, s10, s7
	s_delay_alu instid0(VALU_DEP_1) | instid1(SALU_CYCLE_1)
	v_cndmask_b32_e64 v24, v24, 0, s7
	s_delay_alu instid0(VALU_DEP_1)
	v_or_b32_e32 v112, v24, v98
.LBB4_3425:                             ;   in Loop: Header=BB4_3403 Depth=2
	s_or_b32 exec_lo, exec_lo, s40
                                        ; implicit-def: $vgpr98
.LBB4_3426:                             ;   in Loop: Header=BB4_3403 Depth=2
	s_and_not1_saveexec_b32 s7, s29
; %bb.3427:                             ;   in Loop: Header=BB4_3403 Depth=2
	v_or_b32_e32 v112, 0x7e, v98
; %bb.3428:                             ;   in Loop: Header=BB4_3403 Depth=2
	s_or_b32 exec_lo, exec_lo, s7
                                        ; implicit-def: $vgpr25
.LBB4_3429:                             ;   in Loop: Header=BB4_3403 Depth=2
	s_and_not1_saveexec_b32 s7, s11
; %bb.3430:                             ;   in Loop: Header=BB4_3403 Depth=2
	v_or_b32_e32 v112, 0x7f, v25
; %bb.3431:                             ;   in Loop: Header=BB4_3403 Depth=2
	s_or_b32 exec_lo, exec_lo, s7
	v_lshrrev_b16 v24, 8, v14
	v_mov_b32_e32 v25, 0
	s_mov_b32 s10, exec_lo
	s_delay_alu instid0(VALU_DEP_2)
	v_cmpx_ne_u16_e32 0, v24
	s_cbranch_execz .LBB4_3439
; %bb.3432:                             ;   in Loop: Header=BB4_3403 Depth=2
	v_bfrev_b32_e32 v25, 1
	s_mov_b32 s11, exec_lo
	v_cmpx_ne_u16_e32 0x80, v24
	s_cbranch_execz .LBB4_3438
; %bb.3433:                             ;   in Loop: Header=BB4_3403 Depth=2
	v_and_b32_e32 v24, 0xffff, v24
	v_mov_b32_e32 v25, 0x7f800001
	s_mov_b32 s29, exec_lo
	s_delay_alu instid0(VALU_DEP_2) | instskip(NEXT) | instid1(VALU_DEP_1)
	v_and_b32_e32 v96, 0x7f, v24
	v_cmpx_ne_u32_e32 0x7f, v96
	s_cbranch_execz .LBB4_3437
; %bb.3434:                             ;   in Loop: Header=BB4_3403 Depth=2
	v_and_b32_e32 v54, 7, v24
	v_lshrrev_b32_e32 v24, 3, v96
	s_mov_b32 s40, exec_lo
	v_cmpx_gt_u32_e32 8, v96
; %bb.3435:                             ;   in Loop: Header=BB4_3403 Depth=2
	s_delay_alu instid0(VALU_DEP_3) | instskip(NEXT) | instid1(VALU_DEP_1)
	v_clz_i32_u32_e32 v24, v54
	v_min_u32_e32 v24, 32, v24
	s_delay_alu instid0(VALU_DEP_1) | instskip(SKIP_1) | instid1(VALU_DEP_2)
	v_subrev_nc_u32_e32 v25, 28, v24
	v_sub_nc_u32_e32 v24, 29, v24
	v_lshlrev_b64_e32 v[96:97], v25, v[54:55]
	s_delay_alu instid0(VALU_DEP_1)
	v_and_b32_e32 v54, 7, v96
; %bb.3436:                             ;   in Loop: Header=BB4_3403 Depth=2
	s_or_b32 exec_lo, exec_lo, s40
	v_lshlrev_b32_e32 v25, 16, v14
	s_delay_alu instid0(VALU_DEP_2) | instskip(SKIP_1) | instid1(VALU_DEP_3)
	v_lshlrev_b32_e32 v54, 20, v54
	v_lshl_add_u32 v24, v24, 23, 0x3c000000
	v_and_b32_e32 v25, 0x80000000, v25
	s_delay_alu instid0(VALU_DEP_1)
	v_or3_b32 v25, v54, v25, v24
.LBB4_3437:                             ;   in Loop: Header=BB4_3403 Depth=2
	s_or_b32 exec_lo, exec_lo, s29
.LBB4_3438:                             ;   in Loop: Header=BB4_3403 Depth=2
	s_delay_alu instid0(SALU_CYCLE_1)
	s_or_b32 exec_lo, exec_lo, s11
.LBB4_3439:                             ;   in Loop: Header=BB4_3403 Depth=2
	s_delay_alu instid0(SALU_CYCLE_1) | instskip(SKIP_3) | instid1(VALU_DEP_1)
	s_or_b32 exec_lo, exec_lo, s10
	v_lshrrev_b16 v54, 8, v10
	s_mov_b32 s11, 0
	s_mov_b32 s10, exec_lo
	v_cmpx_lt_i16_e32 0x7f, v54
	s_xor_b32 s10, exec_lo, s10
	s_cbranch_execz .LBB4_3446
; %bb.3440:                             ;   in Loop: Header=BB4_3403 Depth=2
	s_mov_b32 s11, -1
	s_mov_b32 s29, exec_lo
	v_cmpx_eq_u16_e32 0x80, v54
; %bb.3441:                             ;   in Loop: Header=BB4_3403 Depth=2
	s_xor_b32 s11, exec_lo, -1
; %bb.3442:                             ;   in Loop: Header=BB4_3403 Depth=2
	s_or_b32 exec_lo, exec_lo, s29
	s_delay_alu instid0(SALU_CYCLE_1)
	s_and_b32 s11, s11, exec_lo
	s_or_saveexec_b32 s10, s10
	v_bfrev_b32_e32 v96, 1
	s_xor_b32 exec_lo, exec_lo, s10
	s_cbranch_execnz .LBB4_3447
.LBB4_3443:                             ;   in Loop: Header=BB4_3403 Depth=2
	s_or_b32 exec_lo, exec_lo, s10
	s_and_saveexec_b32 s10, s11
	s_cbranch_execnz .LBB4_3448
	s_branch .LBB4_3451
.LBB4_3444:                             ;   in Loop: Header=BB4_3403 Depth=2
	s_or_saveexec_b32 s11, s11
	v_bfrev_b32_e32 v25, 1
	s_xor_b32 exec_lo, exec_lo, s11
	s_cbranch_execz .LBB4_3413
.LBB4_3445:                             ;   in Loop: Header=BB4_3403 Depth=2
	v_cmp_ne_u16_e64 s7, 0, v54
	v_mov_b32_e32 v25, 0
	s_and_not1_b32 s10, s10, exec_lo
	s_and_b32 s7, s7, exec_lo
	s_delay_alu instid0(SALU_CYCLE_1)
	s_or_b32 s10, s10, s7
	s_or_b32 exec_lo, exec_lo, s11
	s_and_saveexec_b32 s11, s10
	s_cbranch_execnz .LBB4_3414
	s_branch .LBB4_3415
.LBB4_3446:                             ;   in Loop: Header=BB4_3403 Depth=2
	s_or_saveexec_b32 s10, s10
	v_bfrev_b32_e32 v96, 1
	s_xor_b32 exec_lo, exec_lo, s10
	s_cbranch_execz .LBB4_3443
.LBB4_3447:                             ;   in Loop: Header=BB4_3403 Depth=2
	v_cmp_ne_u16_e64 s7, 0, v54
	v_mov_b32_e32 v96, 0
	s_and_not1_b32 s11, s11, exec_lo
	s_and_b32 s7, s7, exec_lo
	s_delay_alu instid0(SALU_CYCLE_1)
	s_or_b32 s11, s11, s7
	s_or_b32 exec_lo, exec_lo, s10
	s_and_saveexec_b32 s10, s11
	s_cbranch_execz .LBB4_3451
.LBB4_3448:                             ;   in Loop: Header=BB4_3403 Depth=2
	v_and_b32_e32 v24, 0xffff, v54
	v_mov_b32_e32 v96, 0x7f800001
	s_mov_b32 s11, exec_lo
	s_delay_alu instid0(VALU_DEP_2) | instskip(NEXT) | instid1(VALU_DEP_1)
	v_and_b32_e32 v97, 0x7f, v24
	v_cmpx_ne_u32_e32 0x7f, v97
	s_cbranch_execz .LBB4_3450
; %bb.3449:                             ;   in Loop: Header=BB4_3403 Depth=2
	v_and_b32_e32 v96, 7, v24
	v_cmp_gt_u32_e64 s7, 8, v97
	s_delay_alu instid0(VALU_DEP_2) | instskip(NEXT) | instid1(VALU_DEP_1)
	v_clz_i32_u32_e32 v98, v96
	v_min_u32_e32 v113, 32, v98
	s_delay_alu instid0(VALU_DEP_1) | instskip(NEXT) | instid1(VALU_DEP_1)
	v_subrev_nc_u32_e32 v98, 28, v113
	v_lshlrev_b64_e32 v[98:99], v98, v[24:25]
	v_lshrrev_b32_e32 v24, 3, v97
	s_delay_alu instid0(VALU_DEP_2) | instskip(NEXT) | instid1(VALU_DEP_1)
	v_dual_sub_nc_u32 v99, 29, v113 :: v_dual_bitop2_b32 v97, 7, v98 bitop3:0x40
	v_dual_lshlrev_b32 v54, 24, v54 :: v_dual_cndmask_b32 v24, v24, v99, s7
	s_delay_alu instid0(VALU_DEP_2) | instskip(NEXT) | instid1(VALU_DEP_2)
	v_cndmask_b32_e64 v96, v96, v97, s7
	v_and_b32_e32 v54, 0x80000000, v54
	s_delay_alu instid0(VALU_DEP_3) | instskip(NEXT) | instid1(VALU_DEP_3)
	v_lshl_add_u32 v24, v24, 23, 0x3c000000
	v_lshlrev_b32_e32 v96, 20, v96
	s_delay_alu instid0(VALU_DEP_1)
	v_or3_b32 v96, v96, v54, v24
.LBB4_3450:                             ;   in Loop: Header=BB4_3403 Depth=2
	s_or_b32 exec_lo, exec_lo, s11
.LBB4_3451:                             ;   in Loop: Header=BB4_3403 Depth=2
	s_delay_alu instid0(SALU_CYCLE_1) | instskip(NEXT) | instid1(VALU_DEP_1)
	s_or_b32 exec_lo, exec_lo, s10
	v_mul_f32_e32 v24, v25, v96
                                        ; implicit-def: $vgpr113
	s_mov_b32 s10, exec_lo
	s_delay_alu instid0(VALU_DEP_1) | instskip(SKIP_1) | instid1(VALU_DEP_2)
	v_and_b32_e32 v54, 0x7f800000, v24
	v_lshrrev_b32_e32 v25, 24, v24
	v_cmpx_ne_u64_e32 0x7f800000, v[54:55]
	s_xor_b32 s11, exec_lo, s10
	s_cbranch_execz .LBB4_3465
; %bb.3452:                             ;   in Loop: Header=BB4_3403 Depth=2
	v_and_b32_e32 v54, 0x7fffffff, v24
	v_and_b32_e32 v98, 0x80, v25
                                        ; implicit-def: $vgpr113
	s_mov_b32 s10, exec_lo
	s_delay_alu instid0(VALU_DEP_2)
	v_cmpx_gt_u64_e32 0x43e00001, v[54:55]
	s_xor_b32 s29, exec_lo, s10
	s_cbranch_execz .LBB4_3462
; %bb.3453:                             ;   in Loop: Header=BB4_3403 Depth=2
	v_mov_b32_e32 v113, 0
	s_mov_b32 s40, exec_lo
	v_cmpx_ne_u32_e32 0, v24
	s_cbranch_execz .LBB4_3461
; %bb.3454:                             ;   in Loop: Header=BB4_3403 Depth=2
	v_bfe_u32 v99, v24, 23, 8
	v_and_b32_e32 v54, 0x7fffff, v24
	s_delay_alu instid0(VALU_DEP_2) | instskip(SKIP_1) | instid1(VALU_DEP_3)
	v_sub_nc_u32_e32 v25, 0x79, v99
	v_cmp_gt_u32_e64 s7, 0x7a, v99
	v_or_b32_e32 v96, 0x800000, v54
	s_delay_alu instid0(VALU_DEP_2) | instskip(SKIP_1) | instid1(VALU_DEP_1)
	v_cndmask_b32_e64 v25, 0, v25, s7
	v_cmp_eq_u32_e64 s7, 0, v99
	v_cndmask_b32_e64 v54, v96, v54, s7
	s_delay_alu instid0(VALU_DEP_3) | instskip(NEXT) | instid1(VALU_DEP_1)
	v_cndmask_b32_e64 v113, v25, 0x78, s7
	v_dual_add_nc_u32 v24, 20, v113 :: v_dual_add_nc_u32 v97, 19, v113
	s_delay_alu instid0(VALU_DEP_1) | instskip(NEXT) | instid1(VALU_DEP_2)
	v_lshlrev_b64_e64 v[24:25], v24, -1
	v_lshlrev_b64_e64 v[96:97], v97, 1
	s_delay_alu instid0(VALU_DEP_2) | instskip(NEXT) | instid1(VALU_DEP_3)
	v_bfi_b32 v43, v25, 0, 0
	v_bfi_b32 v42, v24, 0, v54
	v_lshrrev_b64 v[24:25], v113, v[54:55]
	s_delay_alu instid0(VALU_DEP_2) | instskip(NEXT) | instid1(VALU_DEP_2)
	v_cmp_eq_u64_e64 s10, v[42:43], v[96:97]
	v_mov_b64_e32 v[96:97], v[24:25]
	s_and_saveexec_b32 s41, s10
; %bb.3455:                             ;   in Loop: Header=BB4_3403 Depth=2
	v_bfe_u32 v54, v24, 20, 1
	s_delay_alu instid0(VALU_DEP_1) | instskip(NEXT) | instid1(VALU_DEP_1)
	v_add_nc_u64_e32 v[96:97], v[24:25], v[54:55]
	v_add_nc_u64_e32 v[96:97], -1, v[96:97]
; %bb.3456:                             ;   in Loop: Header=BB4_3403 Depth=2
	s_or_b32 exec_lo, exec_lo, s41
	v_add_nc_u32_e32 v25, 0xffffff81, v99
	v_lshrrev_b32_e32 v54, 23, v24
	s_mov_b32 s10, exec_lo
	s_delay_alu instid0(VALU_DEP_2) | instskip(NEXT) | instid1(VALU_DEP_1)
	v_cndmask_b32_e64 v25, v25, 0xffffff82, s7
	v_add3_u32 v97, v113, v25, v54
	v_and_b32_e32 v25, 0xfffff, v96
                                        ; implicit-def: $vgpr96
	s_delay_alu instid0(VALU_DEP_1) | instskip(NEXT) | instid1(VALU_DEP_1)
	v_dual_add_nc_u32 v99, 6, v97 :: v_dual_add_nc_u32 v54, v25, v24
                                        ; implicit-def: $vgpr24_vgpr25
	v_cmpx_ne_u32_e32 0, v99
	s_xor_b32 s10, exec_lo, s10
; %bb.3457:                             ;   in Loop: Header=BB4_3403 Depth=2
	s_delay_alu instid0(VALU_DEP_2) | instskip(SKIP_1) | instid1(VALU_DEP_1)
	v_cmp_lt_u64_e64 s7, 0xffffff, v[54:55]
	v_add_nc_u32_e32 v24, 7, v97
	v_cndmask_b32_e64 v96, v99, v24, s7
	v_cndmask_b32_e64 v24, 0, 1, s7
	s_delay_alu instid0(VALU_DEP_1)
	v_lshrrev_b64 v[24:25], v24, v[54:55]
; %bb.3458:                             ;   in Loop: Header=BB4_3403 Depth=2
	s_and_not1_saveexec_b32 s7, s10
; %bb.3459:                             ;   in Loop: Header=BB4_3403 Depth=2
	v_mov_b64_e32 v[24:25], v[54:55]
	v_bfe_u32 v96, v54, 23, 1
; %bb.3460:                             ;   in Loop: Header=BB4_3403 Depth=2
	s_or_b32 exec_lo, exec_lo, s7
	s_delay_alu instid0(VALU_DEP_2) | instskip(NEXT) | instid1(VALU_DEP_2)
	v_lshrrev_b64 v[24:25], 20, v[24:25]
	v_cmp_gt_i32_e64 s7, 16, v96
	v_min_i32_e32 v54, 15, v96
	v_cmp_eq_u32_e64 s10, 0, v96
	s_delay_alu instid0(VALU_DEP_2) | instskip(SKIP_1) | instid1(VALU_DEP_2)
	v_dual_cndmask_b32 v25, 0, v25, s7 :: v_dual_lshlrev_b32 v54, 3, v54
	v_cndmask_b32_e64 v24, 7, v24, s7
	v_and_b32_e32 v54, 0xf8, v54
	s_delay_alu instid0(VALU_DEP_2) | instskip(NEXT) | instid1(VALU_DEP_2)
	v_cmp_eq_u64_e64 s7, 0, v[24:25]
	v_and_or_b32 v24, v24, 7, v54
	s_and_b32 s7, s10, s7
	s_delay_alu instid0(VALU_DEP_1) | instid1(SALU_CYCLE_1)
	v_cndmask_b32_e64 v24, v24, 0, s7
	s_delay_alu instid0(VALU_DEP_1)
	v_or_b32_e32 v113, v24, v98
.LBB4_3461:                             ;   in Loop: Header=BB4_3403 Depth=2
	s_or_b32 exec_lo, exec_lo, s40
                                        ; implicit-def: $vgpr98
.LBB4_3462:                             ;   in Loop: Header=BB4_3403 Depth=2
	s_and_not1_saveexec_b32 s7, s29
; %bb.3463:                             ;   in Loop: Header=BB4_3403 Depth=2
	v_or_b32_e32 v113, 0x7e, v98
; %bb.3464:                             ;   in Loop: Header=BB4_3403 Depth=2
	s_or_b32 exec_lo, exec_lo, s7
                                        ; implicit-def: $vgpr25
.LBB4_3465:                             ;   in Loop: Header=BB4_3403 Depth=2
	s_and_not1_saveexec_b32 s7, s11
; %bb.3466:                             ;   in Loop: Header=BB4_3403 Depth=2
	v_or_b32_e32 v113, 0x7f, v25
; %bb.3467:                             ;   in Loop: Header=BB4_3403 Depth=2
	s_or_b32 exec_lo, exec_lo, s7
	v_dual_mov_b32 v25, 0 :: v_dual_lshrrev_b32 v24, 16, v14
	s_mov_b32 s10, exec_lo
	s_delay_alu instid0(VALU_DEP_1) | instskip(NEXT) | instid1(VALU_DEP_1)
	v_and_b32_e32 v54, 0xff, v24
	v_cmpx_ne_u16_e32 0, v54
	s_cbranch_execz .LBB4_3475
; %bb.3468:                             ;   in Loop: Header=BB4_3403 Depth=2
	v_bfrev_b32_e32 v25, 1
	s_mov_b32 s11, exec_lo
	v_cmpx_ne_u16_e32 0x80, v54
	s_cbranch_execz .LBB4_3474
; %bb.3469:                             ;   in Loop: Header=BB4_3403 Depth=2
	v_bfe_u32 v96, v14, 16, 7
	v_mov_b32_e32 v25, 0x7f800001
	s_mov_b32 s29, exec_lo
	s_delay_alu instid0(VALU_DEP_2)
	v_cmpx_ne_u32_e32 0x7f, v96
	s_cbranch_execz .LBB4_3473
; %bb.3470:                             ;   in Loop: Header=BB4_3403 Depth=2
	v_and_b32_e32 v54, 7, v24
	v_lshrrev_b32_e32 v25, 3, v96
	s_mov_b32 s40, exec_lo
	v_cmpx_gt_u32_e32 8, v96
; %bb.3471:                             ;   in Loop: Header=BB4_3403 Depth=2
	s_delay_alu instid0(VALU_DEP_3) | instskip(NEXT) | instid1(VALU_DEP_1)
	v_clz_i32_u32_e32 v25, v54
	v_min_u32_e32 v25, 32, v25
	s_delay_alu instid0(VALU_DEP_1) | instskip(NEXT) | instid1(VALU_DEP_1)
	v_subrev_nc_u32_e32 v96, 28, v25
	v_lshlrev_b64_e32 v[96:97], v96, v[54:55]
	s_delay_alu instid0(VALU_DEP_1)
	v_dual_sub_nc_u32 v25, 29, v25 :: v_dual_bitop2_b32 v54, 7, v96 bitop3:0x40
; %bb.3472:                             ;   in Loop: Header=BB4_3403 Depth=2
	s_or_b32 exec_lo, exec_lo, s40
	s_delay_alu instid0(VALU_DEP_1) | instskip(NEXT) | instid1(VALU_DEP_2)
	v_dual_lshlrev_b32 v24, 24, v24 :: v_dual_lshlrev_b32 v54, 20, v54
	v_lshl_add_u32 v25, v25, 23, 0x3c000000
	s_delay_alu instid0(VALU_DEP_2) | instskip(NEXT) | instid1(VALU_DEP_1)
	v_and_b32_e32 v24, 0x80000000, v24
	v_or3_b32 v25, v54, v24, v25
.LBB4_3473:                             ;   in Loop: Header=BB4_3403 Depth=2
	s_or_b32 exec_lo, exec_lo, s29
.LBB4_3474:                             ;   in Loop: Header=BB4_3403 Depth=2
	s_delay_alu instid0(SALU_CYCLE_1)
	s_or_b32 exec_lo, exec_lo, s11
.LBB4_3475:                             ;   in Loop: Header=BB4_3403 Depth=2
	s_delay_alu instid0(SALU_CYCLE_1) | instskip(SKIP_3) | instid1(VALU_DEP_1)
	s_or_b32 exec_lo, exec_lo, s10
	v_lshrrev_b32_e32 v24, 16, v10
	s_mov_b32 s11, 0
	s_mov_b32 s10, exec_lo
	v_and_b32_e32 v96, 0xff, v24
	s_delay_alu instid0(VALU_DEP_1)
	v_cmpx_lt_i16_e32 0x7f, v96
	s_xor_b32 s10, exec_lo, s10
	s_cbranch_execz .LBB4_3480
; %bb.3476:                             ;   in Loop: Header=BB4_3403 Depth=2
	s_mov_b32 s11, -1
	s_mov_b32 s29, exec_lo
	v_cmpx_eq_u16_e32 0x80, v96
; %bb.3477:                             ;   in Loop: Header=BB4_3403 Depth=2
	s_xor_b32 s11, exec_lo, -1
; %bb.3478:                             ;   in Loop: Header=BB4_3403 Depth=2
	s_or_b32 exec_lo, exec_lo, s29
	s_delay_alu instid0(SALU_CYCLE_1)
	s_and_b32 s11, s11, exec_lo
                                        ; implicit-def: $vgpr96
	s_or_saveexec_b32 s10, s10
	v_bfrev_b32_e32 v54, 1
	s_xor_b32 exec_lo, exec_lo, s10
	s_cbranch_execnz .LBB4_3481
.LBB4_3479:                             ;   in Loop: Header=BB4_3403 Depth=2
	s_or_b32 exec_lo, exec_lo, s10
	s_and_saveexec_b32 s10, s11
	s_cbranch_execnz .LBB4_3482
	s_branch .LBB4_3485
.LBB4_3480:                             ;   in Loop: Header=BB4_3403 Depth=2
	s_or_saveexec_b32 s10, s10
	v_bfrev_b32_e32 v54, 1
	s_xor_b32 exec_lo, exec_lo, s10
	s_cbranch_execz .LBB4_3479
.LBB4_3481:                             ;   in Loop: Header=BB4_3403 Depth=2
	v_cmp_ne_u16_e64 s7, 0, v96
	v_mov_b32_e32 v54, 0
	s_and_not1_b32 s11, s11, exec_lo
	s_and_b32 s7, s7, exec_lo
	s_delay_alu instid0(SALU_CYCLE_1)
	s_or_b32 s11, s11, s7
	s_or_b32 exec_lo, exec_lo, s10
	s_and_saveexec_b32 s10, s11
	s_cbranch_execz .LBB4_3485
.LBB4_3482:                             ;   in Loop: Header=BB4_3403 Depth=2
	v_and_b32_e32 v96, 0x7f, v24
	v_mov_b32_e32 v54, 0x7f800001
	s_mov_b32 s11, exec_lo
	s_delay_alu instid0(VALU_DEP_2)
	v_cmpx_ne_u32_e32 0x7f, v96
	s_cbranch_execz .LBB4_3484
; %bb.3483:                             ;   in Loop: Header=BB4_3403 Depth=2
	v_and_b32_e32 v54, 7, v24
	v_cmp_gt_u32_e64 s7, 8, v96
	s_delay_alu instid0(VALU_DEP_2) | instskip(NEXT) | instid1(VALU_DEP_1)
	v_clz_i32_u32_e32 v97, v54
	v_min_u32_e32 v97, 32, v97
	s_delay_alu instid0(VALU_DEP_1) | instskip(SKIP_1) | instid1(VALU_DEP_2)
	v_subrev_nc_u32_e32 v98, 28, v97
	v_sub_nc_u32_e32 v97, 29, v97
	v_lshlrev_b64_e32 v[98:99], v98, v[24:25]
	s_delay_alu instid0(VALU_DEP_1) | instskip(NEXT) | instid1(VALU_DEP_1)
	v_dual_lshrrev_b32 v99, 3, v96 :: v_dual_bitop2_b32 v96, 7, v98 bitop3:0x40
	v_dual_lshlrev_b32 v24, 24, v24 :: v_dual_cndmask_b32 v97, v99, v97, s7
	s_delay_alu instid0(VALU_DEP_2) | instskip(NEXT) | instid1(VALU_DEP_2)
	v_cndmask_b32_e64 v54, v54, v96, s7
	v_and_b32_e32 v24, 0x80000000, v24
	s_delay_alu instid0(VALU_DEP_3) | instskip(NEXT) | instid1(VALU_DEP_3)
	v_lshl_add_u32 v96, v97, 23, 0x3c000000
	v_lshlrev_b32_e32 v54, 20, v54
	s_delay_alu instid0(VALU_DEP_1)
	v_or3_b32 v54, v54, v24, v96
.LBB4_3484:                             ;   in Loop: Header=BB4_3403 Depth=2
	s_or_b32 exec_lo, exec_lo, s11
.LBB4_3485:                             ;   in Loop: Header=BB4_3403 Depth=2
	s_delay_alu instid0(SALU_CYCLE_1) | instskip(NEXT) | instid1(VALU_DEP_1)
	s_or_b32 exec_lo, exec_lo, s10
	v_mul_f32_e32 v24, v25, v54
                                        ; implicit-def: $vgpr119
	s_mov_b32 s10, exec_lo
	s_delay_alu instid0(VALU_DEP_1) | instskip(SKIP_1) | instid1(VALU_DEP_2)
	v_and_b32_e32 v54, 0x7f800000, v24
	v_lshrrev_b32_e32 v25, 24, v24
	v_cmpx_ne_u64_e32 0x7f800000, v[54:55]
	s_xor_b32 s11, exec_lo, s10
	s_cbranch_execz .LBB4_3499
; %bb.3486:                             ;   in Loop: Header=BB4_3403 Depth=2
	v_and_b32_e32 v54, 0x7fffffff, v24
	v_and_b32_e32 v98, 0x80, v25
                                        ; implicit-def: $vgpr119
	s_mov_b32 s10, exec_lo
	s_delay_alu instid0(VALU_DEP_2)
	v_cmpx_gt_u64_e32 0x43e00001, v[54:55]
	s_xor_b32 s29, exec_lo, s10
	s_cbranch_execz .LBB4_3496
; %bb.3487:                             ;   in Loop: Header=BB4_3403 Depth=2
	v_mov_b32_e32 v119, 0
	s_mov_b32 s40, exec_lo
	v_cmpx_ne_u32_e32 0, v24
	s_cbranch_execz .LBB4_3495
; %bb.3488:                             ;   in Loop: Header=BB4_3403 Depth=2
	v_bfe_u32 v99, v24, 23, 8
	v_and_b32_e32 v54, 0x7fffff, v24
	s_delay_alu instid0(VALU_DEP_2) | instskip(SKIP_1) | instid1(VALU_DEP_3)
	v_sub_nc_u32_e32 v25, 0x79, v99
	v_cmp_gt_u32_e64 s7, 0x7a, v99
	v_or_b32_e32 v96, 0x800000, v54
	s_delay_alu instid0(VALU_DEP_2) | instskip(SKIP_1) | instid1(VALU_DEP_1)
	v_cndmask_b32_e64 v25, 0, v25, s7
	v_cmp_eq_u32_e64 s7, 0, v99
	v_cndmask_b32_e64 v119, v25, 0x78, s7
	s_delay_alu instid0(VALU_DEP_1) | instskip(SKIP_1) | instid1(VALU_DEP_2)
	v_dual_cndmask_b32 v54, v96, v54, s7 :: v_dual_add_nc_u32 v97, 19, v119
	v_add_nc_u32_e32 v24, 20, v119
	v_lshlrev_b64_e64 v[96:97], v97, 1
	s_delay_alu instid0(VALU_DEP_2) | instskip(NEXT) | instid1(VALU_DEP_1)
	v_lshlrev_b64_e64 v[24:25], v24, -1
	v_bfi_b32 v43, v25, 0, 0
	s_delay_alu instid0(VALU_DEP_2) | instskip(SKIP_1) | instid1(VALU_DEP_2)
	v_bfi_b32 v42, v24, 0, v54
	v_lshrrev_b64 v[24:25], v119, v[54:55]
	v_cmp_eq_u64_e64 s10, v[42:43], v[96:97]
	s_delay_alu instid0(VALU_DEP_2)
	v_mov_b64_e32 v[96:97], v[24:25]
	s_and_saveexec_b32 s41, s10
; %bb.3489:                             ;   in Loop: Header=BB4_3403 Depth=2
	v_bfe_u32 v54, v24, 20, 1
	s_delay_alu instid0(VALU_DEP_1) | instskip(NEXT) | instid1(VALU_DEP_1)
	v_add_nc_u64_e32 v[96:97], v[24:25], v[54:55]
	v_add_nc_u64_e32 v[96:97], -1, v[96:97]
; %bb.3490:                             ;   in Loop: Header=BB4_3403 Depth=2
	s_or_b32 exec_lo, exec_lo, s41
	v_add_nc_u32_e32 v25, 0xffffff81, v99
	v_lshrrev_b32_e32 v54, 23, v24
	s_mov_b32 s10, exec_lo
	s_delay_alu instid0(VALU_DEP_2) | instskip(NEXT) | instid1(VALU_DEP_1)
	v_cndmask_b32_e64 v25, v25, 0xffffff82, s7
	v_add3_u32 v97, v119, v25, v54
	v_and_b32_e32 v25, 0xfffff, v96
                                        ; implicit-def: $vgpr96
	s_delay_alu instid0(VALU_DEP_1) | instskip(NEXT) | instid1(VALU_DEP_1)
	v_dual_add_nc_u32 v99, 6, v97 :: v_dual_add_nc_u32 v54, v25, v24
                                        ; implicit-def: $vgpr24_vgpr25
	v_cmpx_ne_u32_e32 0, v99
	s_xor_b32 s10, exec_lo, s10
; %bb.3491:                             ;   in Loop: Header=BB4_3403 Depth=2
	s_delay_alu instid0(VALU_DEP_2) | instskip(SKIP_1) | instid1(VALU_DEP_1)
	v_cmp_lt_u64_e64 s7, 0xffffff, v[54:55]
	v_add_nc_u32_e32 v24, 7, v97
	v_cndmask_b32_e64 v96, v99, v24, s7
	v_cndmask_b32_e64 v24, 0, 1, s7
	s_delay_alu instid0(VALU_DEP_1)
	v_lshrrev_b64 v[24:25], v24, v[54:55]
; %bb.3492:                             ;   in Loop: Header=BB4_3403 Depth=2
	s_and_not1_saveexec_b32 s7, s10
; %bb.3493:                             ;   in Loop: Header=BB4_3403 Depth=2
	v_mov_b64_e32 v[24:25], v[54:55]
	v_bfe_u32 v96, v54, 23, 1
; %bb.3494:                             ;   in Loop: Header=BB4_3403 Depth=2
	s_or_b32 exec_lo, exec_lo, s7
	s_delay_alu instid0(VALU_DEP_2) | instskip(NEXT) | instid1(VALU_DEP_2)
	v_lshrrev_b64 v[24:25], 20, v[24:25]
	v_cmp_gt_i32_e64 s7, 16, v96
	v_min_i32_e32 v54, 15, v96
	v_cmp_eq_u32_e64 s10, 0, v96
	s_delay_alu instid0(VALU_DEP_2) | instskip(SKIP_1) | instid1(VALU_DEP_2)
	v_dual_cndmask_b32 v25, 0, v25, s7 :: v_dual_lshlrev_b32 v54, 3, v54
	v_cndmask_b32_e64 v24, 7, v24, s7
	v_and_b32_e32 v54, 0xf8, v54
	s_delay_alu instid0(VALU_DEP_2) | instskip(NEXT) | instid1(VALU_DEP_2)
	v_cmp_eq_u64_e64 s7, 0, v[24:25]
	v_and_or_b32 v24, v24, 7, v54
	s_and_b32 s7, s10, s7
	s_delay_alu instid0(VALU_DEP_1) | instid1(SALU_CYCLE_1)
	v_cndmask_b32_e64 v24, v24, 0, s7
	s_delay_alu instid0(VALU_DEP_1)
	v_or_b32_e32 v119, v24, v98
.LBB4_3495:                             ;   in Loop: Header=BB4_3403 Depth=2
	s_or_b32 exec_lo, exec_lo, s40
                                        ; implicit-def: $vgpr98
.LBB4_3496:                             ;   in Loop: Header=BB4_3403 Depth=2
	s_and_not1_saveexec_b32 s7, s29
; %bb.3497:                             ;   in Loop: Header=BB4_3403 Depth=2
	v_or_b32_e32 v119, 0x7e, v98
; %bb.3498:                             ;   in Loop: Header=BB4_3403 Depth=2
	s_or_b32 exec_lo, exec_lo, s7
                                        ; implicit-def: $vgpr25
.LBB4_3499:                             ;   in Loop: Header=BB4_3403 Depth=2
	s_and_not1_saveexec_b32 s7, s11
; %bb.3500:                             ;   in Loop: Header=BB4_3403 Depth=2
	v_or_b32_e32 v119, 0x7f, v25
; %bb.3501:                             ;   in Loop: Header=BB4_3403 Depth=2
	s_or_b32 exec_lo, exec_lo, s7
	v_mov_b32_e32 v25, 0
	s_mov_b32 s10, exec_lo
	v_cmpx_lt_u32_e32 0xffffff, v14
	s_cbranch_execz .LBB4_3509
; %bb.3502:                             ;   in Loop: Header=BB4_3403 Depth=2
	v_lshrrev_b32_e32 v24, 24, v14
	v_bfrev_b32_e32 v25, 1
	s_mov_b32 s11, exec_lo
	s_delay_alu instid0(VALU_DEP_2)
	v_cmpx_ne_u32_e32 0x80, v24
	s_cbranch_execz .LBB4_3508
; %bb.3503:                             ;   in Loop: Header=BB4_3403 Depth=2
	v_bfe_u32 v96, v14, 24, 7
	v_mov_b32_e32 v25, 0x7f800001
	s_mov_b32 s29, exec_lo
	s_delay_alu instid0(VALU_DEP_2)
	v_cmpx_ne_u32_e32 0x7f, v96
	s_cbranch_execz .LBB4_3507
; %bb.3504:                             ;   in Loop: Header=BB4_3403 Depth=2
	v_and_b32_e32 v54, 7, v24
	v_lshrrev_b32_e32 v25, 3, v96
	s_mov_b32 s40, exec_lo
	v_cmpx_gt_u32_e32 8, v96
; %bb.3505:                             ;   in Loop: Header=BB4_3403 Depth=2
	s_delay_alu instid0(VALU_DEP_3) | instskip(NEXT) | instid1(VALU_DEP_1)
	v_clz_i32_u32_e32 v25, v54
	v_min_u32_e32 v25, 32, v25
	s_delay_alu instid0(VALU_DEP_1) | instskip(NEXT) | instid1(VALU_DEP_1)
	v_subrev_nc_u32_e32 v96, 28, v25
	v_lshlrev_b64_e32 v[96:97], v96, v[54:55]
	s_delay_alu instid0(VALU_DEP_1)
	v_dual_sub_nc_u32 v25, 29, v25 :: v_dual_bitop2_b32 v54, 7, v96 bitop3:0x40
; %bb.3506:                             ;   in Loop: Header=BB4_3403 Depth=2
	s_or_b32 exec_lo, exec_lo, s40
	s_delay_alu instid0(VALU_DEP_1) | instskip(NEXT) | instid1(VALU_DEP_2)
	v_dual_lshlrev_b32 v24, 24, v24 :: v_dual_lshlrev_b32 v54, 20, v54
	v_lshl_add_u32 v25, v25, 23, 0x3c000000
	s_delay_alu instid0(VALU_DEP_2) | instskip(NEXT) | instid1(VALU_DEP_1)
	v_and_b32_e32 v24, 0x80000000, v24
	v_or3_b32 v25, v54, v24, v25
.LBB4_3507:                             ;   in Loop: Header=BB4_3403 Depth=2
	s_or_b32 exec_lo, exec_lo, s29
.LBB4_3508:                             ;   in Loop: Header=BB4_3403 Depth=2
	s_delay_alu instid0(SALU_CYCLE_1)
	s_or_b32 exec_lo, exec_lo, s11
.LBB4_3509:                             ;   in Loop: Header=BB4_3403 Depth=2
	s_delay_alu instid0(SALU_CYCLE_1) | instskip(SKIP_3) | instid1(VALU_DEP_3)
	s_or_b32 exec_lo, exec_lo, s10
	v_lshrrev_b32_e32 v24, 24, v10
	v_bfe_u32 v54, v10, 24, 7
	v_cmp_gt_u32_e64 s11, 0x1000000, v10
	v_cmp_eq_u32_e64 s7, 0x80, v24
	s_delay_alu instid0(VALU_DEP_3) | instskip(NEXT) | instid1(VALU_DEP_2)
	v_cmp_eq_u32_e64 s10, 0x7f, v54
	v_cndmask_b32_e64 v96, 0x7f800001, v117, s7
	s_or_b32 s7, s7, s10
	s_delay_alu instid0(SALU_CYCLE_1) | instskip(NEXT) | instid1(VALU_DEP_1)
	s_nor_b32 s7, s11, s7
	v_cndmask_b32_e64 v96, v96, 0, s11
	s_and_saveexec_b32 s10, s7
	s_cbranch_execz .LBB4_3511
; %bb.3510:                             ;   in Loop: Header=BB4_3403 Depth=2
	v_and_b32_e32 v98, 7, v24
	v_cmp_gt_u32_e64 s7, 8, v54
	s_delay_alu instid0(VALU_DEP_2) | instskip(NEXT) | instid1(VALU_DEP_1)
	v_clz_i32_u32_e32 v96, v98
	v_min_u32_e32 v99, 32, v96
	s_delay_alu instid0(VALU_DEP_1) | instskip(NEXT) | instid1(VALU_DEP_1)
	v_subrev_nc_u32_e32 v96, 28, v99
	v_lshlrev_b64_e32 v[96:97], v96, v[24:25]
	v_dual_lshrrev_b32 v97, 3, v54 :: v_dual_sub_nc_u32 v99, 29, v99
	v_lshlrev_b32_e32 v24, 24, v24
	s_delay_alu instid0(VALU_DEP_2) | instskip(NEXT) | instid1(VALU_DEP_2)
	v_dual_cndmask_b32 v96, v97, v99, s7 :: v_dual_bitop2_b32 v54, 7, v96 bitop3:0x40
	v_and_b32_e32 v24, 0x80000000, v24
	s_delay_alu instid0(VALU_DEP_2) | instskip(NEXT) | instid1(VALU_DEP_3)
	v_cndmask_b32_e64 v54, v98, v54, s7
	v_lshl_add_u32 v96, v96, 23, 0x3c000000
	s_delay_alu instid0(VALU_DEP_2) | instskip(NEXT) | instid1(VALU_DEP_1)
	v_lshlrev_b32_e32 v54, 20, v54
	v_or3_b32 v96, v54, v24, v96
.LBB4_3511:                             ;   in Loop: Header=BB4_3403 Depth=2
	s_or_b32 exec_lo, exec_lo, s10
	s_delay_alu instid0(VALU_DEP_1) | instskip(SKIP_1) | instid1(VALU_DEP_1)
	v_mul_f32_e32 v24, v25, v96
                                        ; implicit-def: $vgpr41
	s_mov_b32 s10, exec_lo
	v_and_b32_e32 v54, 0x7f800000, v24
	v_lshrrev_b32_e32 v25, 24, v24
	s_delay_alu instid0(VALU_DEP_2)
	v_cmpx_ne_u64_e32 0x7f800000, v[54:55]
	s_xor_b32 s11, exec_lo, s10
	s_cbranch_execz .LBB4_3525
; %bb.3512:                             ;   in Loop: Header=BB4_3403 Depth=2
	v_and_b32_e32 v54, 0x7fffffff, v24
	v_and_b32_e32 v98, 0x80, v25
                                        ; implicit-def: $vgpr41
	s_mov_b32 s10, exec_lo
	s_delay_alu instid0(VALU_DEP_2)
	v_cmpx_gt_u64_e32 0x43e00001, v[54:55]
	s_xor_b32 s29, exec_lo, s10
	s_cbranch_execz .LBB4_3522
; %bb.3513:                             ;   in Loop: Header=BB4_3403 Depth=2
	v_mov_b32_e32 v41, 0
	s_mov_b32 s40, exec_lo
	v_cmpx_ne_u32_e32 0, v24
	s_cbranch_execz .LBB4_3521
; %bb.3514:                             ;   in Loop: Header=BB4_3403 Depth=2
	v_bfe_u32 v99, v24, 23, 8
	v_and_b32_e32 v54, 0x7fffff, v24
	s_delay_alu instid0(VALU_DEP_2) | instskip(SKIP_1) | instid1(VALU_DEP_3)
	v_sub_nc_u32_e32 v25, 0x79, v99
	v_cmp_gt_u32_e64 s7, 0x7a, v99
	v_or_b32_e32 v96, 0x800000, v54
	s_delay_alu instid0(VALU_DEP_2) | instskip(SKIP_1) | instid1(VALU_DEP_1)
	v_cndmask_b32_e64 v25, 0, v25, s7
	v_cmp_eq_u32_e64 s7, 0, v99
	v_cndmask_b32_e64 v54, v96, v54, s7
	s_delay_alu instid0(VALU_DEP_3) | instskip(NEXT) | instid1(VALU_DEP_1)
	v_cndmask_b32_e64 v41, v25, 0x78, s7
	v_dual_add_nc_u32 v24, 20, v41 :: v_dual_add_nc_u32 v97, 19, v41
	s_delay_alu instid0(VALU_DEP_1) | instskip(NEXT) | instid1(VALU_DEP_2)
	v_lshlrev_b64_e64 v[24:25], v24, -1
	v_lshlrev_b64_e64 v[96:97], v97, 1
	s_delay_alu instid0(VALU_DEP_2) | instskip(NEXT) | instid1(VALU_DEP_3)
	v_bfi_b32 v43, v25, 0, 0
	v_bfi_b32 v42, v24, 0, v54
	v_lshrrev_b64 v[24:25], v41, v[54:55]
	s_delay_alu instid0(VALU_DEP_2) | instskip(NEXT) | instid1(VALU_DEP_2)
	v_cmp_eq_u64_e64 s10, v[42:43], v[96:97]
	v_mov_b64_e32 v[96:97], v[24:25]
	s_and_saveexec_b32 s41, s10
; %bb.3515:                             ;   in Loop: Header=BB4_3403 Depth=2
	v_bfe_u32 v54, v24, 20, 1
	s_delay_alu instid0(VALU_DEP_1) | instskip(NEXT) | instid1(VALU_DEP_1)
	v_add_nc_u64_e32 v[96:97], v[24:25], v[54:55]
	v_add_nc_u64_e32 v[96:97], -1, v[96:97]
; %bb.3516:                             ;   in Loop: Header=BB4_3403 Depth=2
	s_or_b32 exec_lo, exec_lo, s41
	v_add_nc_u32_e32 v25, 0xffffff81, v99
	v_lshrrev_b32_e32 v54, 23, v24
	s_mov_b32 s10, exec_lo
	s_delay_alu instid0(VALU_DEP_2) | instskip(NEXT) | instid1(VALU_DEP_1)
	v_cndmask_b32_e64 v25, v25, 0xffffff82, s7
	v_add3_u32 v97, v41, v25, v54
	v_and_b32_e32 v25, 0xfffff, v96
                                        ; implicit-def: $vgpr96
	s_delay_alu instid0(VALU_DEP_1) | instskip(NEXT) | instid1(VALU_DEP_1)
	v_dual_add_nc_u32 v99, 6, v97 :: v_dual_add_nc_u32 v54, v25, v24
                                        ; implicit-def: $vgpr24_vgpr25
	v_cmpx_ne_u32_e32 0, v99
	s_xor_b32 s10, exec_lo, s10
; %bb.3517:                             ;   in Loop: Header=BB4_3403 Depth=2
	s_delay_alu instid0(VALU_DEP_2) | instskip(SKIP_1) | instid1(VALU_DEP_1)
	v_cmp_lt_u64_e64 s7, 0xffffff, v[54:55]
	v_add_nc_u32_e32 v24, 7, v97
	v_cndmask_b32_e64 v96, v99, v24, s7
	v_cndmask_b32_e64 v24, 0, 1, s7
	s_delay_alu instid0(VALU_DEP_1)
	v_lshrrev_b64 v[24:25], v24, v[54:55]
; %bb.3518:                             ;   in Loop: Header=BB4_3403 Depth=2
	s_and_not1_saveexec_b32 s7, s10
; %bb.3519:                             ;   in Loop: Header=BB4_3403 Depth=2
	v_mov_b64_e32 v[24:25], v[54:55]
	v_bfe_u32 v96, v54, 23, 1
; %bb.3520:                             ;   in Loop: Header=BB4_3403 Depth=2
	s_or_b32 exec_lo, exec_lo, s7
	s_delay_alu instid0(VALU_DEP_2) | instskip(NEXT) | instid1(VALU_DEP_2)
	v_lshrrev_b64 v[24:25], 20, v[24:25]
	v_cmp_gt_i32_e64 s7, 16, v96
	v_min_i32_e32 v54, 15, v96
	v_cmp_eq_u32_e64 s10, 0, v96
	s_delay_alu instid0(VALU_DEP_2) | instskip(SKIP_1) | instid1(VALU_DEP_2)
	v_dual_cndmask_b32 v25, 0, v25, s7 :: v_dual_lshlrev_b32 v54, 3, v54
	v_cndmask_b32_e64 v24, 7, v24, s7
	v_and_b32_e32 v54, 0xf8, v54
	s_delay_alu instid0(VALU_DEP_2) | instskip(NEXT) | instid1(VALU_DEP_2)
	v_cmp_eq_u64_e64 s7, 0, v[24:25]
	v_and_or_b32 v24, v24, 7, v54
	s_and_b32 s7, s10, s7
	s_delay_alu instid0(VALU_DEP_1) | instid1(SALU_CYCLE_1)
	v_cndmask_b32_e64 v24, v24, 0, s7
	s_delay_alu instid0(VALU_DEP_1)
	v_or_b32_e32 v41, v24, v98
.LBB4_3521:                             ;   in Loop: Header=BB4_3403 Depth=2
	s_or_b32 exec_lo, exec_lo, s40
                                        ; implicit-def: $vgpr98
.LBB4_3522:                             ;   in Loop: Header=BB4_3403 Depth=2
	s_and_not1_saveexec_b32 s7, s29
; %bb.3523:                             ;   in Loop: Header=BB4_3403 Depth=2
	v_or_b32_e32 v41, 0x7e, v98
; %bb.3524:                             ;   in Loop: Header=BB4_3403 Depth=2
	s_or_b32 exec_lo, exec_lo, s7
                                        ; implicit-def: $vgpr25
.LBB4_3525:                             ;   in Loop: Header=BB4_3403 Depth=2
	s_and_not1_saveexec_b32 s7, s11
; %bb.3526:                             ;   in Loop: Header=BB4_3403 Depth=2
	v_or_b32_e32 v41, 0x7f, v25
; %bb.3527:                             ;   in Loop: Header=BB4_3403 Depth=2
	s_or_b32 exec_lo, exec_lo, s7
	v_and_b32_e32 v24, 0xff, v15
	v_dual_mov_b32 v54, v15 :: v_dual_mov_b32 v96, 0
	s_mov_b32 s10, exec_lo
	s_delay_alu instid0(VALU_DEP_2)
	v_cmpx_ne_u16_e32 0, v24
	s_cbranch_execz .LBB4_3533
; %bb.3528:                             ;   in Loop: Header=BB4_3403 Depth=2
	v_bfrev_b32_e32 v96, 1
	s_mov_b32 s11, exec_lo
	v_cmpx_ne_u16_e32 0x80, v24
	s_cbranch_execz .LBB4_3532
; %bb.3529:                             ;   in Loop: Header=BB4_3403 Depth=2
	v_and_b32_e32 v24, 0x7f, v15
	v_mov_b32_e32 v96, 0x7f800001
	s_mov_b32 s29, exec_lo
	s_delay_alu instid0(VALU_DEP_2)
	v_cmpx_ne_u32_e32 0x7f, v24
	s_cbranch_execz .LBB4_3531
; %bb.3530:                             ;   in Loop: Header=BB4_3403 Depth=2
	v_dual_lshrrev_b32 v96, 3, v24 :: v_dual_bitop2_b32 v25, 7, v15 bitop3:0x40
	v_cmp_gt_u32_e64 s7, 8, v24
	s_delay_alu instid0(VALU_DEP_2) | instskip(NEXT) | instid1(VALU_DEP_1)
	v_clz_i32_u32_e32 v25, v25
	v_min_u32_e32 v25, 32, v25
	s_delay_alu instid0(VALU_DEP_1) | instskip(SKIP_1) | instid1(VALU_DEP_2)
	v_subrev_nc_u32_e32 v97, 28, v25
	v_sub_nc_u32_e32 v25, 29, v25
	v_cndmask_b32_e64 v24, 0, v97, s7
	s_delay_alu instid0(VALU_DEP_2) | instskip(NEXT) | instid1(VALU_DEP_2)
	v_cndmask_b32_e64 v96, v96, v25, s7
	v_lshlrev_b64_e32 v[24:25], v24, v[54:55]
	v_lshlrev_b32_e32 v25, 24, v54
	s_delay_alu instid0(VALU_DEP_3) | instskip(NEXT) | instid1(VALU_DEP_2)
	v_lshl_add_u32 v96, v96, 23, 0x3c000000
	v_and_b32_e32 v25, 0x80000000, v25
	s_delay_alu instid0(VALU_DEP_4) | instskip(NEXT) | instid1(VALU_DEP_1)
	v_lshlrev_b32_e32 v24, 20, v24
	v_and_b32_e32 v24, 0x700000, v24
	s_delay_alu instid0(VALU_DEP_1)
	v_or3_b32 v96, v24, v25, v96
.LBB4_3531:                             ;   in Loop: Header=BB4_3403 Depth=2
	s_or_b32 exec_lo, exec_lo, s29
.LBB4_3532:                             ;   in Loop: Header=BB4_3403 Depth=2
	s_delay_alu instid0(SALU_CYCLE_1)
	s_or_b32 exec_lo, exec_lo, s11
.LBB4_3533:                             ;   in Loop: Header=BB4_3403 Depth=2
	s_delay_alu instid0(SALU_CYCLE_1) | instskip(SKIP_4) | instid1(VALU_DEP_2)
	s_or_b32 exec_lo, exec_lo, s10
	v_and_b32_e32 v25, 0xff, v11
	v_mov_b32_e32 v24, v11
	s_mov_b32 s10, 0
	s_mov_b32 s11, exec_lo
	v_cmpx_lt_i16_e32 0x7f, v25
	s_xor_b32 s11, exec_lo, s11
	s_cbranch_execz .LBB4_3568
; %bb.3534:                             ;   in Loop: Header=BB4_3403 Depth=2
	s_mov_b32 s10, -1
	s_mov_b32 s29, exec_lo
	v_cmpx_eq_u16_e32 0x80, v25
; %bb.3535:                             ;   in Loop: Header=BB4_3403 Depth=2
	s_xor_b32 s10, exec_lo, -1
; %bb.3536:                             ;   in Loop: Header=BB4_3403 Depth=2
	s_or_b32 exec_lo, exec_lo, s29
	s_delay_alu instid0(SALU_CYCLE_1)
	s_and_b32 s10, s10, exec_lo
                                        ; implicit-def: $vgpr25
	s_or_saveexec_b32 s11, s11
	v_bfrev_b32_e32 v97, 1
	s_xor_b32 exec_lo, exec_lo, s11
	s_cbranch_execnz .LBB4_3569
.LBB4_3537:                             ;   in Loop: Header=BB4_3403 Depth=2
	s_or_b32 exec_lo, exec_lo, s11
	v_mov_b32_e32 v25, v55
	s_and_saveexec_b32 s11, s10
	s_cbranch_execz .LBB4_3539
.LBB4_3538:                             ;   in Loop: Header=BB4_3403 Depth=2
	v_and_b32_e32 v97, 7, v11
	v_and_b32_e32 v42, 0x7f, v11
	v_bfe_u32 v98, v11, 3, 4
	s_delay_alu instid0(VALU_DEP_3) | instskip(NEXT) | instid1(VALU_DEP_3)
	v_clz_i32_u32_e32 v97, v97
	v_cmp_gt_u32_e64 s7, 8, v42
	s_delay_alu instid0(VALU_DEP_2) | instskip(NEXT) | instid1(VALU_DEP_1)
	v_min_u32_e32 v97, 32, v97
	v_subrev_nc_u32_e32 v99, 28, v97
	v_sub_nc_u32_e32 v97, 29, v97
	s_delay_alu instid0(VALU_DEP_1) | instskip(SKIP_1) | instid1(VALU_DEP_2)
	v_dual_cndmask_b32 v97, v98, v97, s7 :: v_dual_cndmask_b32 v98, 0, v99, s7
	v_cmp_ne_u32_e64 s7, 0x7f, v42
	v_lshlrev_b64_e32 v[98:99], v98, v[24:25]
	v_lshlrev_b32_e32 v25, 24, v24
	s_delay_alu instid0(VALU_DEP_1) | instskip(NEXT) | instid1(VALU_DEP_3)
	v_and_b32_e32 v25, 0x80000000, v25
	v_lshlrev_b32_e32 v98, 20, v98
	v_lshl_add_u32 v97, v97, 23, 0x3c000000
	s_delay_alu instid0(VALU_DEP_2) | instskip(NEXT) | instid1(VALU_DEP_1)
	v_and_b32_e32 v98, 0x700000, v98
	v_or3_b32 v25, v98, v25, v97
	s_delay_alu instid0(VALU_DEP_1)
	v_cndmask_b32_e64 v97, 0x7f800001, v25, s7
.LBB4_3539:                             ;   in Loop: Header=BB4_3403 Depth=2
	s_or_b32 exec_lo, exec_lo, s11
	s_delay_alu instid0(VALU_DEP_1) | instskip(NEXT) | instid1(VALU_DEP_1)
	v_dual_mul_f32 v96, v96, v97 :: v_dual_mov_b32 v99, v55
	v_and_b32_e32 v98, 0x7f800000, v96
	v_lshrrev_b32_e32 v25, 24, v96
	s_delay_alu instid0(VALU_DEP_2) | instskip(SKIP_1) | instid1(SALU_CYCLE_1)
	v_cmp_ne_u64_e64 s7, 0x7f800000, v[98:99]
                                        ; implicit-def: $vgpr98
	s_and_saveexec_b32 s10, s7
	s_xor_b32 s11, exec_lo, s10
	s_cbranch_execz .LBB4_3553
; %bb.3540:                             ;   in Loop: Header=BB4_3403 Depth=2
	v_and_b32_e32 v98, 0x7fffffff, v96
	v_mov_b32_e32 v99, v55
	v_and_b32_e32 v25, 0x80, v25
	s_delay_alu instid0(VALU_DEP_2) | instskip(SKIP_1) | instid1(SALU_CYCLE_1)
	v_cmp_gt_u64_e64 s7, 0x43e00001, v[98:99]
                                        ; implicit-def: $vgpr98
	s_and_saveexec_b32 s10, s7
	s_xor_b32 s29, exec_lo, s10
	s_cbranch_execz .LBB4_3550
; %bb.3541:                             ;   in Loop: Header=BB4_3403 Depth=2
	v_mov_b32_e32 v98, 0
	s_mov_b32 s40, exec_lo
	v_cmpx_ne_u32_e32 0, v96
	s_cbranch_execz .LBB4_3549
; %bb.3542:                             ;   in Loop: Header=BB4_3403 Depth=2
	v_bfe_u32 v42, v96, 23, 8
	v_and_b32_e32 v98, 0x7fffff, v96
	s_mov_b32 s41, exec_lo
	s_delay_alu instid0(VALU_DEP_2) | instskip(SKIP_1) | instid1(VALU_DEP_3)
	v_sub_nc_u32_e32 v97, 0x79, v42
	v_cmp_gt_u32_e64 s7, 0x7a, v42
	v_or_b32_e32 v99, 0x800000, v98
	s_delay_alu instid0(VALU_DEP_2) | instskip(SKIP_1) | instid1(VALU_DEP_1)
	v_cndmask_b32_e64 v97, 0, v97, s7
	v_cmp_eq_u32_e64 s7, 0, v42
	v_cndmask_b32_e64 v43, v97, 0x78, s7
	s_delay_alu instid0(VALU_DEP_4) | instskip(NEXT) | instid1(VALU_DEP_2)
	v_cndmask_b32_e64 v98, v99, v98, s7
	v_dual_mov_b32 v99, v55 :: v_dual_add_nc_u32 v96, 20, v43
	v_add_nc_u32_e32 v44, 19, v43
	s_delay_alu instid0(VALU_DEP_2) | instskip(NEXT) | instid1(VALU_DEP_2)
	v_lshlrev_b64_e64 v[96:97], v96, -1
	v_lshlrev_b64_e64 v[44:45], v44, 1
	s_delay_alu instid0(VALU_DEP_2) | instskip(NEXT) | instid1(VALU_DEP_3)
	v_bfi_b32 v47, v97, 0, 0
	v_bfi_b32 v46, v96, 0, v98
	v_lshrrev_b64 v[96:97], v43, v[98:99]
	s_delay_alu instid0(VALU_DEP_1) | instskip(NEXT) | instid1(VALU_DEP_3)
	v_mov_b64_e32 v[98:99], v[96:97]
	v_cmpx_eq_u64_e64 v[46:47], v[44:45]
; %bb.3543:                             ;   in Loop: Header=BB4_3403 Depth=2
	v_bfe_u32 v98, v96, 20, 1
	v_mov_b32_e32 v99, v55
	s_delay_alu instid0(VALU_DEP_1) | instskip(NEXT) | instid1(VALU_DEP_1)
	v_add_nc_u64_e32 v[98:99], v[96:97], v[98:99]
	v_add_nc_u64_e32 v[98:99], -1, v[98:99]
; %bb.3544:                             ;   in Loop: Header=BB4_3403 Depth=2
	s_or_b32 exec_lo, exec_lo, s41
	v_add_nc_u32_e32 v97, 0xffffff81, v42
	v_lshrrev_b32_e32 v99, 23, v96
	s_mov_b32 s10, exec_lo
	s_delay_alu instid0(VALU_DEP_2) | instskip(NEXT) | instid1(VALU_DEP_1)
	v_cndmask_b32_e64 v97, v97, 0xffffff82, s7
	v_add3_u32 v99, v43, v97, v99
	v_and_b32_e32 v97, 0xfffff, v98
                                        ; implicit-def: $vgpr98
	s_delay_alu instid0(VALU_DEP_1) | instskip(SKIP_1) | instid1(VALU_DEP_2)
	v_dual_add_nc_u32 v42, 6, v99 :: v_dual_add_nc_u32 v96, v97, v96
	v_mov_b32_e32 v97, v55
	v_cmpx_ne_u32_e32 0, v42
	s_xor_b32 s10, exec_lo, s10
; %bb.3545:                             ;   in Loop: Header=BB4_3403 Depth=2
	s_delay_alu instid0(VALU_DEP_2) | instskip(SKIP_1) | instid1(VALU_DEP_2)
	v_cmp_lt_u64_e64 s7, 0xffffff, v[96:97]
	v_add_nc_u32_e32 v98, 7, v99
	v_cndmask_b32_e64 v99, 0, 1, s7
	s_delay_alu instid0(VALU_DEP_2) | instskip(NEXT) | instid1(VALU_DEP_2)
	v_cndmask_b32_e64 v98, v42, v98, s7
	v_lshrrev_b64 v[96:97], v99, v[96:97]
; %bb.3546:                             ;   in Loop: Header=BB4_3403 Depth=2
	s_and_not1_saveexec_b32 s7, s10
; %bb.3547:                             ;   in Loop: Header=BB4_3403 Depth=2
	s_delay_alu instid0(VALU_DEP_1)
	v_bfe_u32 v98, v96, 23, 1
; %bb.3548:                             ;   in Loop: Header=BB4_3403 Depth=2
	s_or_b32 exec_lo, exec_lo, s7
	s_delay_alu instid0(VALU_DEP_2) | instskip(NEXT) | instid1(VALU_DEP_2)
	v_lshrrev_b64 v[96:97], 20, v[96:97]
	v_cmp_gt_i32_e64 s7, 16, v98
	v_min_i32_e32 v99, 15, v98
	v_cmp_eq_u32_e64 s10, 0, v98
	s_delay_alu instid0(VALU_DEP_2) | instskip(SKIP_1) | instid1(VALU_DEP_2)
	v_dual_cndmask_b32 v97, 0, v97, s7 :: v_dual_lshlrev_b32 v99, 3, v99
	v_cndmask_b32_e64 v96, 7, v96, s7
	v_and_b32_e32 v99, 0xf8, v99
	s_delay_alu instid0(VALU_DEP_2) | instskip(NEXT) | instid1(VALU_DEP_2)
	v_cmp_eq_u64_e64 s7, 0, v[96:97]
	v_and_or_b32 v96, v96, 7, v99
	s_and_b32 s7, s10, s7
	s_delay_alu instid0(VALU_DEP_1) | instid1(SALU_CYCLE_1)
	v_cndmask_b32_e64 v96, v96, 0, s7
	s_delay_alu instid0(VALU_DEP_1)
	v_or_b32_e32 v98, v96, v25
.LBB4_3549:                             ;   in Loop: Header=BB4_3403 Depth=2
	s_or_b32 exec_lo, exec_lo, s40
                                        ; implicit-def: $vgpr25
.LBB4_3550:                             ;   in Loop: Header=BB4_3403 Depth=2
	s_and_not1_saveexec_b32 s7, s29
; %bb.3551:                             ;   in Loop: Header=BB4_3403 Depth=2
	v_or_b32_e32 v98, 0x7e, v25
; %bb.3552:                             ;   in Loop: Header=BB4_3403 Depth=2
	s_or_b32 exec_lo, exec_lo, s7
                                        ; implicit-def: $vgpr25
.LBB4_3553:                             ;   in Loop: Header=BB4_3403 Depth=2
	s_and_not1_saveexec_b32 s7, s11
; %bb.3554:                             ;   in Loop: Header=BB4_3403 Depth=2
	v_or_b32_e32 v98, 0x7f, v25
; %bb.3555:                             ;   in Loop: Header=BB4_3403 Depth=2
	s_or_b32 exec_lo, exec_lo, s7
	v_lshrrev_b16 v96, 8, v54
	v_mov_b32_e32 v25, 0
	s_mov_b32 s10, exec_lo
	s_delay_alu instid0(VALU_DEP_2)
	v_cmpx_ne_u16_e32 0, v96
	s_cbranch_execz .LBB4_3563
; %bb.3556:                             ;   in Loop: Header=BB4_3403 Depth=2
	v_bfrev_b32_e32 v25, 1
	s_mov_b32 s11, exec_lo
	v_cmpx_ne_u16_e32 0x80, v96
	s_cbranch_execz .LBB4_3562
; %bb.3557:                             ;   in Loop: Header=BB4_3403 Depth=2
	v_and_b32_e32 v96, 0xffff, v96
	v_mov_b32_e32 v25, 0x7f800001
	s_mov_b32 s29, exec_lo
	s_delay_alu instid0(VALU_DEP_2) | instskip(NEXT) | instid1(VALU_DEP_1)
	v_and_b32_e32 v99, 0x7f, v96
	v_cmpx_ne_u32_e32 0x7f, v99
	s_cbranch_execz .LBB4_3561
; %bb.3558:                             ;   in Loop: Header=BB4_3403 Depth=2
	v_dual_mov_b32 v97, v55 :: v_dual_bitop2_b32 v96, 7, v96 bitop3:0x40
	v_lshrrev_b32_e32 v25, 3, v99
	s_mov_b32 s40, exec_lo
	v_cmpx_gt_u32_e32 8, v99
; %bb.3559:                             ;   in Loop: Header=BB4_3403 Depth=2
	s_delay_alu instid0(VALU_DEP_3) | instskip(NEXT) | instid1(VALU_DEP_1)
	v_clz_i32_u32_e32 v25, v96
	v_min_u32_e32 v25, 32, v25
	s_delay_alu instid0(VALU_DEP_1) | instskip(NEXT) | instid1(VALU_DEP_1)
	v_subrev_nc_u32_e32 v99, 28, v25
	v_lshlrev_b64_e32 v[96:97], v99, v[96:97]
	s_delay_alu instid0(VALU_DEP_1)
	v_dual_sub_nc_u32 v25, 29, v25 :: v_dual_bitop2_b32 v96, 7, v96 bitop3:0x40
; %bb.3560:                             ;   in Loop: Header=BB4_3403 Depth=2
	s_or_b32 exec_lo, exec_lo, s40
	s_delay_alu instid0(VALU_DEP_1) | instskip(NEXT) | instid1(VALU_DEP_2)
	v_dual_lshlrev_b32 v54, 16, v54 :: v_dual_lshlrev_b32 v96, 20, v96
	v_lshl_add_u32 v25, v25, 23, 0x3c000000
	s_delay_alu instid0(VALU_DEP_2) | instskip(NEXT) | instid1(VALU_DEP_1)
	v_and_b32_e32 v54, 0x80000000, v54
	v_or3_b32 v25, v96, v54, v25
.LBB4_3561:                             ;   in Loop: Header=BB4_3403 Depth=2
	s_or_b32 exec_lo, exec_lo, s29
.LBB4_3562:                             ;   in Loop: Header=BB4_3403 Depth=2
	s_delay_alu instid0(SALU_CYCLE_1)
	s_or_b32 exec_lo, exec_lo, s11
.LBB4_3563:                             ;   in Loop: Header=BB4_3403 Depth=2
	s_delay_alu instid0(SALU_CYCLE_1) | instskip(SKIP_3) | instid1(VALU_DEP_1)
	s_or_b32 exec_lo, exec_lo, s10
	v_lshrrev_b16 v54, 8, v24
	s_mov_b32 s11, 0
	s_mov_b32 s10, exec_lo
	v_cmpx_lt_i16_e32 0x7f, v54
	s_xor_b32 s10, exec_lo, s10
	s_cbranch_execz .LBB4_3570
; %bb.3564:                             ;   in Loop: Header=BB4_3403 Depth=2
	s_mov_b32 s11, -1
	s_mov_b32 s29, exec_lo
	v_cmpx_eq_u16_e32 0x80, v54
; %bb.3565:                             ;   in Loop: Header=BB4_3403 Depth=2
	s_xor_b32 s11, exec_lo, -1
; %bb.3566:                             ;   in Loop: Header=BB4_3403 Depth=2
	s_or_b32 exec_lo, exec_lo, s29
	s_delay_alu instid0(SALU_CYCLE_1)
	s_and_b32 s11, s11, exec_lo
	s_or_saveexec_b32 s10, s10
	v_bfrev_b32_e32 v96, 1
	s_xor_b32 exec_lo, exec_lo, s10
	s_cbranch_execnz .LBB4_3571
.LBB4_3567:                             ;   in Loop: Header=BB4_3403 Depth=2
	s_or_b32 exec_lo, exec_lo, s10
	s_and_saveexec_b32 s10, s11
	s_cbranch_execnz .LBB4_3572
	s_branch .LBB4_3575
.LBB4_3568:                             ;   in Loop: Header=BB4_3403 Depth=2
	s_or_saveexec_b32 s11, s11
	v_bfrev_b32_e32 v97, 1
	s_xor_b32 exec_lo, exec_lo, s11
	s_cbranch_execz .LBB4_3537
.LBB4_3569:                             ;   in Loop: Header=BB4_3403 Depth=2
	v_cmp_ne_u16_e64 s7, 0, v25
	v_mov_b32_e32 v97, 0
	s_and_not1_b32 s10, s10, exec_lo
	s_and_b32 s7, s7, exec_lo
	s_delay_alu instid0(SALU_CYCLE_1)
	s_or_b32 s10, s10, s7
	s_or_b32 exec_lo, exec_lo, s11
	v_mov_b32_e32 v25, v55
	s_and_saveexec_b32 s11, s10
	s_cbranch_execnz .LBB4_3538
	s_branch .LBB4_3539
.LBB4_3570:                             ;   in Loop: Header=BB4_3403 Depth=2
	s_or_saveexec_b32 s10, s10
	v_bfrev_b32_e32 v96, 1
	s_xor_b32 exec_lo, exec_lo, s10
	s_cbranch_execz .LBB4_3567
.LBB4_3571:                             ;   in Loop: Header=BB4_3403 Depth=2
	v_cmp_ne_u16_e64 s7, 0, v54
	v_mov_b32_e32 v96, 0
	s_and_not1_b32 s11, s11, exec_lo
	s_and_b32 s7, s7, exec_lo
	s_delay_alu instid0(SALU_CYCLE_1)
	s_or_b32 s11, s11, s7
	s_or_b32 exec_lo, exec_lo, s10
	s_and_saveexec_b32 s10, s11
	s_cbranch_execz .LBB4_3575
.LBB4_3572:                             ;   in Loop: Header=BB4_3403 Depth=2
	v_and_b32_e32 v24, 0xffff, v54
	v_mov_b32_e32 v96, 0x7f800001
	s_mov_b32 s11, exec_lo
	s_delay_alu instid0(VALU_DEP_2) | instskip(NEXT) | instid1(VALU_DEP_1)
	v_and_b32_e32 v97, 0x7f, v24
	v_cmpx_ne_u32_e32 0x7f, v97
	s_cbranch_execz .LBB4_3574
; %bb.3573:                             ;   in Loop: Header=BB4_3403 Depth=2
	v_and_b32_e32 v96, 7, v24
	v_cmp_gt_u32_e64 s7, 8, v97
	s_delay_alu instid0(VALU_DEP_2) | instskip(NEXT) | instid1(VALU_DEP_1)
	v_clz_i32_u32_e32 v99, v96
	v_min_u32_e32 v99, 32, v99
	s_delay_alu instid0(VALU_DEP_1) | instskip(NEXT) | instid1(VALU_DEP_1)
	v_subrev_nc_u32_e32 v42, 28, v99
	v_lshlrev_b64_e32 v[42:43], v42, v[24:25]
	v_dual_lshrrev_b32 v24, 3, v97 :: v_dual_sub_nc_u32 v99, 29, v99
	s_delay_alu instid0(VALU_DEP_2) | instskip(NEXT) | instid1(VALU_DEP_2)
	v_and_b32_e32 v97, 7, v42
	v_dual_lshlrev_b32 v54, 24, v54 :: v_dual_cndmask_b32 v24, v24, v99, s7
	s_delay_alu instid0(VALU_DEP_2) | instskip(NEXT) | instid1(VALU_DEP_2)
	v_cndmask_b32_e64 v96, v96, v97, s7
	v_and_b32_e32 v54, 0x80000000, v54
	s_delay_alu instid0(VALU_DEP_3) | instskip(NEXT) | instid1(VALU_DEP_3)
	v_lshl_add_u32 v24, v24, 23, 0x3c000000
	v_lshlrev_b32_e32 v96, 20, v96
	s_delay_alu instid0(VALU_DEP_1)
	v_or3_b32 v96, v96, v54, v24
.LBB4_3574:                             ;   in Loop: Header=BB4_3403 Depth=2
	s_or_b32 exec_lo, exec_lo, s11
.LBB4_3575:                             ;   in Loop: Header=BB4_3403 Depth=2
	s_delay_alu instid0(SALU_CYCLE_1) | instskip(NEXT) | instid1(VALU_DEP_1)
	s_or_b32 exec_lo, exec_lo, s10
	v_mul_f32_e32 v24, v25, v96
                                        ; implicit-def: $vgpr99
	s_mov_b32 s10, exec_lo
	s_delay_alu instid0(VALU_DEP_1) | instskip(SKIP_1) | instid1(VALU_DEP_2)
	v_and_b32_e32 v54, 0x7f800000, v24
	v_lshrrev_b32_e32 v25, 24, v24
	v_cmpx_ne_u64_e32 0x7f800000, v[54:55]
	s_xor_b32 s11, exec_lo, s10
	s_cbranch_execz .LBB4_3589
; %bb.3576:                             ;   in Loop: Header=BB4_3403 Depth=2
	v_and_b32_e32 v54, 0x7fffffff, v24
	v_and_b32_e32 v42, 0x80, v25
                                        ; implicit-def: $vgpr99
	s_mov_b32 s10, exec_lo
	s_delay_alu instid0(VALU_DEP_2)
	v_cmpx_gt_u64_e32 0x43e00001, v[54:55]
	s_xor_b32 s29, exec_lo, s10
	s_cbranch_execz .LBB4_3586
; %bb.3577:                             ;   in Loop: Header=BB4_3403 Depth=2
	v_mov_b32_e32 v99, 0
	s_mov_b32 s40, exec_lo
	v_cmpx_ne_u32_e32 0, v24
	s_cbranch_execz .LBB4_3585
; %bb.3578:                             ;   in Loop: Header=BB4_3403 Depth=2
	v_bfe_u32 v99, v24, 23, 8
	v_and_b32_e32 v54, 0x7fffff, v24
	s_delay_alu instid0(VALU_DEP_2) | instskip(SKIP_1) | instid1(VALU_DEP_3)
	v_sub_nc_u32_e32 v25, 0x79, v99
	v_cmp_gt_u32_e64 s7, 0x7a, v99
	v_or_b32_e32 v96, 0x800000, v54
	s_delay_alu instid0(VALU_DEP_2) | instskip(SKIP_1) | instid1(VALU_DEP_1)
	v_cndmask_b32_e64 v25, 0, v25, s7
	v_cmp_eq_u32_e64 s7, 0, v99
	v_cndmask_b32_e64 v43, v25, 0x78, s7
	s_delay_alu instid0(VALU_DEP_1) | instskip(SKIP_1) | instid1(VALU_DEP_2)
	v_dual_cndmask_b32 v54, v96, v54, s7 :: v_dual_add_nc_u32 v97, 19, v43
	v_add_nc_u32_e32 v24, 20, v43
	v_lshlrev_b64_e64 v[96:97], v97, 1
	s_delay_alu instid0(VALU_DEP_2) | instskip(NEXT) | instid1(VALU_DEP_1)
	v_lshlrev_b64_e64 v[24:25], v24, -1
	v_bfi_b32 v45, v25, 0, 0
	s_delay_alu instid0(VALU_DEP_2) | instskip(SKIP_1) | instid1(VALU_DEP_2)
	v_bfi_b32 v44, v24, 0, v54
	v_lshrrev_b64 v[24:25], v43, v[54:55]
	v_cmp_eq_u64_e64 s10, v[44:45], v[96:97]
	s_delay_alu instid0(VALU_DEP_2)
	v_mov_b64_e32 v[96:97], v[24:25]
	s_and_saveexec_b32 s41, s10
; %bb.3579:                             ;   in Loop: Header=BB4_3403 Depth=2
	v_bfe_u32 v54, v24, 20, 1
	s_delay_alu instid0(VALU_DEP_1) | instskip(NEXT) | instid1(VALU_DEP_1)
	v_add_nc_u64_e32 v[96:97], v[24:25], v[54:55]
	v_add_nc_u64_e32 v[96:97], -1, v[96:97]
; %bb.3580:                             ;   in Loop: Header=BB4_3403 Depth=2
	s_or_b32 exec_lo, exec_lo, s41
	v_add_nc_u32_e32 v25, 0xffffff81, v99
	v_lshrrev_b32_e32 v54, 23, v24
	s_mov_b32 s10, exec_lo
	s_delay_alu instid0(VALU_DEP_2) | instskip(NEXT) | instid1(VALU_DEP_1)
	v_cndmask_b32_e64 v25, v25, 0xffffff82, s7
	v_add3_u32 v97, v43, v25, v54
	v_and_b32_e32 v25, 0xfffff, v96
                                        ; implicit-def: $vgpr96
	s_delay_alu instid0(VALU_DEP_1) | instskip(NEXT) | instid1(VALU_DEP_1)
	v_dual_add_nc_u32 v99, 6, v97 :: v_dual_add_nc_u32 v54, v25, v24
                                        ; implicit-def: $vgpr24_vgpr25
	v_cmpx_ne_u32_e32 0, v99
	s_xor_b32 s10, exec_lo, s10
; %bb.3581:                             ;   in Loop: Header=BB4_3403 Depth=2
	s_delay_alu instid0(VALU_DEP_2) | instskip(SKIP_1) | instid1(VALU_DEP_1)
	v_cmp_lt_u64_e64 s7, 0xffffff, v[54:55]
	v_add_nc_u32_e32 v24, 7, v97
	v_cndmask_b32_e64 v96, v99, v24, s7
	v_cndmask_b32_e64 v24, 0, 1, s7
	s_delay_alu instid0(VALU_DEP_1)
	v_lshrrev_b64 v[24:25], v24, v[54:55]
; %bb.3582:                             ;   in Loop: Header=BB4_3403 Depth=2
	s_and_not1_saveexec_b32 s7, s10
; %bb.3583:                             ;   in Loop: Header=BB4_3403 Depth=2
	v_mov_b64_e32 v[24:25], v[54:55]
	v_bfe_u32 v96, v54, 23, 1
; %bb.3584:                             ;   in Loop: Header=BB4_3403 Depth=2
	s_or_b32 exec_lo, exec_lo, s7
	s_delay_alu instid0(VALU_DEP_2) | instskip(NEXT) | instid1(VALU_DEP_2)
	v_lshrrev_b64 v[24:25], 20, v[24:25]
	v_cmp_gt_i32_e64 s7, 16, v96
	v_min_i32_e32 v54, 15, v96
	v_cmp_eq_u32_e64 s10, 0, v96
	s_delay_alu instid0(VALU_DEP_2) | instskip(SKIP_1) | instid1(VALU_DEP_2)
	v_dual_cndmask_b32 v25, 0, v25, s7 :: v_dual_lshlrev_b32 v54, 3, v54
	v_cndmask_b32_e64 v24, 7, v24, s7
	v_and_b32_e32 v54, 0xf8, v54
	s_delay_alu instid0(VALU_DEP_2) | instskip(NEXT) | instid1(VALU_DEP_2)
	v_cmp_eq_u64_e64 s7, 0, v[24:25]
	v_and_or_b32 v24, v24, 7, v54
	s_and_b32 s7, s10, s7
	s_delay_alu instid0(VALU_DEP_1) | instid1(SALU_CYCLE_1)
	v_cndmask_b32_e64 v24, v24, 0, s7
	s_delay_alu instid0(VALU_DEP_1)
	v_or_b32_e32 v99, v24, v42
.LBB4_3585:                             ;   in Loop: Header=BB4_3403 Depth=2
	s_or_b32 exec_lo, exec_lo, s40
                                        ; implicit-def: $vgpr42
.LBB4_3586:                             ;   in Loop: Header=BB4_3403 Depth=2
	s_and_not1_saveexec_b32 s7, s29
; %bb.3587:                             ;   in Loop: Header=BB4_3403 Depth=2
	v_or_b32_e32 v99, 0x7e, v42
; %bb.3588:                             ;   in Loop: Header=BB4_3403 Depth=2
	s_or_b32 exec_lo, exec_lo, s7
                                        ; implicit-def: $vgpr25
.LBB4_3589:                             ;   in Loop: Header=BB4_3403 Depth=2
	s_and_not1_saveexec_b32 s7, s11
; %bb.3590:                             ;   in Loop: Header=BB4_3403 Depth=2
	v_or_b32_e32 v99, 0x7f, v25
; %bb.3591:                             ;   in Loop: Header=BB4_3403 Depth=2
	s_or_b32 exec_lo, exec_lo, s7
	v_dual_mov_b32 v25, 0 :: v_dual_lshrrev_b32 v24, 16, v15
	s_mov_b32 s10, exec_lo
	s_delay_alu instid0(VALU_DEP_1) | instskip(NEXT) | instid1(VALU_DEP_1)
	v_and_b32_e32 v54, 0xff, v24
	v_cmpx_ne_u16_e32 0, v54
	s_cbranch_execz .LBB4_3599
; %bb.3592:                             ;   in Loop: Header=BB4_3403 Depth=2
	v_bfrev_b32_e32 v25, 1
	s_mov_b32 s11, exec_lo
	v_cmpx_ne_u16_e32 0x80, v54
	s_cbranch_execz .LBB4_3598
; %bb.3593:                             ;   in Loop: Header=BB4_3403 Depth=2
	v_bfe_u32 v96, v15, 16, 7
	v_mov_b32_e32 v25, 0x7f800001
	s_mov_b32 s29, exec_lo
	s_delay_alu instid0(VALU_DEP_2)
	v_cmpx_ne_u32_e32 0x7f, v96
	s_cbranch_execz .LBB4_3597
; %bb.3594:                             ;   in Loop: Header=BB4_3403 Depth=2
	v_and_b32_e32 v54, 7, v24
	v_lshrrev_b32_e32 v25, 3, v96
	s_mov_b32 s40, exec_lo
	v_cmpx_gt_u32_e32 8, v96
; %bb.3595:                             ;   in Loop: Header=BB4_3403 Depth=2
	s_delay_alu instid0(VALU_DEP_3) | instskip(NEXT) | instid1(VALU_DEP_1)
	v_clz_i32_u32_e32 v25, v54
	v_min_u32_e32 v25, 32, v25
	s_delay_alu instid0(VALU_DEP_1) | instskip(NEXT) | instid1(VALU_DEP_1)
	v_subrev_nc_u32_e32 v96, 28, v25
	v_lshlrev_b64_e32 v[96:97], v96, v[54:55]
	s_delay_alu instid0(VALU_DEP_1)
	v_dual_sub_nc_u32 v25, 29, v25 :: v_dual_bitop2_b32 v54, 7, v96 bitop3:0x40
; %bb.3596:                             ;   in Loop: Header=BB4_3403 Depth=2
	s_or_b32 exec_lo, exec_lo, s40
	s_delay_alu instid0(VALU_DEP_1) | instskip(NEXT) | instid1(VALU_DEP_2)
	v_dual_lshlrev_b32 v24, 24, v24 :: v_dual_lshlrev_b32 v54, 20, v54
	v_lshl_add_u32 v25, v25, 23, 0x3c000000
	s_delay_alu instid0(VALU_DEP_2) | instskip(NEXT) | instid1(VALU_DEP_1)
	v_and_b32_e32 v24, 0x80000000, v24
	v_or3_b32 v25, v54, v24, v25
.LBB4_3597:                             ;   in Loop: Header=BB4_3403 Depth=2
	s_or_b32 exec_lo, exec_lo, s29
.LBB4_3598:                             ;   in Loop: Header=BB4_3403 Depth=2
	s_delay_alu instid0(SALU_CYCLE_1)
	s_or_b32 exec_lo, exec_lo, s11
.LBB4_3599:                             ;   in Loop: Header=BB4_3403 Depth=2
	s_delay_alu instid0(SALU_CYCLE_1) | instskip(SKIP_3) | instid1(VALU_DEP_1)
	s_or_b32 exec_lo, exec_lo, s10
	v_lshrrev_b32_e32 v24, 16, v11
	s_mov_b32 s11, 0
	s_mov_b32 s10, exec_lo
	v_and_b32_e32 v96, 0xff, v24
	s_delay_alu instid0(VALU_DEP_1)
	v_cmpx_lt_i16_e32 0x7f, v96
	s_xor_b32 s10, exec_lo, s10
	s_cbranch_execz .LBB4_3604
; %bb.3600:                             ;   in Loop: Header=BB4_3403 Depth=2
	s_mov_b32 s11, -1
	s_mov_b32 s29, exec_lo
	v_cmpx_eq_u16_e32 0x80, v96
; %bb.3601:                             ;   in Loop: Header=BB4_3403 Depth=2
	s_xor_b32 s11, exec_lo, -1
; %bb.3602:                             ;   in Loop: Header=BB4_3403 Depth=2
	s_or_b32 exec_lo, exec_lo, s29
	s_delay_alu instid0(SALU_CYCLE_1)
	s_and_b32 s11, s11, exec_lo
                                        ; implicit-def: $vgpr96
	s_or_saveexec_b32 s10, s10
	v_bfrev_b32_e32 v54, 1
	s_xor_b32 exec_lo, exec_lo, s10
	s_cbranch_execnz .LBB4_3605
.LBB4_3603:                             ;   in Loop: Header=BB4_3403 Depth=2
	s_or_b32 exec_lo, exec_lo, s10
	s_and_saveexec_b32 s10, s11
	s_cbranch_execnz .LBB4_3606
	s_branch .LBB4_3609
.LBB4_3604:                             ;   in Loop: Header=BB4_3403 Depth=2
	s_or_saveexec_b32 s10, s10
	v_bfrev_b32_e32 v54, 1
	s_xor_b32 exec_lo, exec_lo, s10
	s_cbranch_execz .LBB4_3603
.LBB4_3605:                             ;   in Loop: Header=BB4_3403 Depth=2
	v_cmp_ne_u16_e64 s7, 0, v96
	v_mov_b32_e32 v54, 0
	s_and_not1_b32 s11, s11, exec_lo
	s_and_b32 s7, s7, exec_lo
	s_delay_alu instid0(SALU_CYCLE_1)
	s_or_b32 s11, s11, s7
	s_or_b32 exec_lo, exec_lo, s10
	s_and_saveexec_b32 s10, s11
	s_cbranch_execz .LBB4_3609
.LBB4_3606:                             ;   in Loop: Header=BB4_3403 Depth=2
	v_and_b32_e32 v96, 0x7f, v24
	v_mov_b32_e32 v54, 0x7f800001
	s_mov_b32 s11, exec_lo
	s_delay_alu instid0(VALU_DEP_2)
	v_cmpx_ne_u32_e32 0x7f, v96
	s_cbranch_execz .LBB4_3608
; %bb.3607:                             ;   in Loop: Header=BB4_3403 Depth=2
	v_and_b32_e32 v54, 7, v24
	v_cmp_gt_u32_e64 s7, 8, v96
	s_delay_alu instid0(VALU_DEP_2) | instskip(NEXT) | instid1(VALU_DEP_1)
	v_clz_i32_u32_e32 v97, v54
	v_min_u32_e32 v97, 32, v97
	s_delay_alu instid0(VALU_DEP_1) | instskip(SKIP_1) | instid1(VALU_DEP_2)
	v_subrev_nc_u32_e32 v42, 28, v97
	v_sub_nc_u32_e32 v97, 29, v97
	v_lshlrev_b64_e32 v[42:43], v42, v[24:25]
	s_delay_alu instid0(VALU_DEP_1) | instskip(NEXT) | instid1(VALU_DEP_1)
	v_dual_lshrrev_b32 v43, 3, v96 :: v_dual_bitop2_b32 v96, 7, v42 bitop3:0x40
	v_dual_lshlrev_b32 v24, 24, v24 :: v_dual_cndmask_b32 v97, v43, v97, s7
	s_delay_alu instid0(VALU_DEP_2) | instskip(NEXT) | instid1(VALU_DEP_2)
	v_cndmask_b32_e64 v54, v54, v96, s7
	v_and_b32_e32 v24, 0x80000000, v24
	s_delay_alu instid0(VALU_DEP_3) | instskip(NEXT) | instid1(VALU_DEP_3)
	v_lshl_add_u32 v96, v97, 23, 0x3c000000
	v_lshlrev_b32_e32 v54, 20, v54
	s_delay_alu instid0(VALU_DEP_1)
	v_or3_b32 v54, v54, v24, v96
.LBB4_3608:                             ;   in Loop: Header=BB4_3403 Depth=2
	s_or_b32 exec_lo, exec_lo, s11
.LBB4_3609:                             ;   in Loop: Header=BB4_3403 Depth=2
	s_delay_alu instid0(SALU_CYCLE_1) | instskip(NEXT) | instid1(VALU_DEP_1)
	s_or_b32 exec_lo, exec_lo, s10
	v_mul_f32_e32 v24, v25, v54
                                        ; implicit-def: $vgpr96
	s_mov_b32 s10, exec_lo
	s_delay_alu instid0(VALU_DEP_1) | instskip(SKIP_1) | instid1(VALU_DEP_2)
	v_and_b32_e32 v54, 0x7f800000, v24
	v_lshrrev_b32_e32 v25, 24, v24
	v_cmpx_ne_u64_e32 0x7f800000, v[54:55]
	s_xor_b32 s11, exec_lo, s10
	s_cbranch_execz .LBB4_3623
; %bb.3610:                             ;   in Loop: Header=BB4_3403 Depth=2
	v_and_b32_e32 v54, 0x7fffffff, v24
	v_and_b32_e32 v42, 0x80, v25
                                        ; implicit-def: $vgpr96
	s_mov_b32 s10, exec_lo
	s_delay_alu instid0(VALU_DEP_2)
	v_cmpx_gt_u64_e32 0x43e00001, v[54:55]
	s_xor_b32 s29, exec_lo, s10
	s_cbranch_execz .LBB4_3620
; %bb.3611:                             ;   in Loop: Header=BB4_3403 Depth=2
	v_mov_b32_e32 v96, 0
	s_mov_b32 s40, exec_lo
	v_cmpx_ne_u32_e32 0, v24
	s_cbranch_execz .LBB4_3619
; %bb.3612:                             ;   in Loop: Header=BB4_3403 Depth=2
	v_bfe_u32 v43, v24, 23, 8
	v_and_b32_e32 v54, 0x7fffff, v24
	s_delay_alu instid0(VALU_DEP_2) | instskip(SKIP_1) | instid1(VALU_DEP_3)
	v_sub_nc_u32_e32 v25, 0x79, v43
	v_cmp_gt_u32_e64 s7, 0x7a, v43
	v_or_b32_e32 v96, 0x800000, v54
	s_delay_alu instid0(VALU_DEP_2) | instskip(SKIP_1) | instid1(VALU_DEP_1)
	v_cndmask_b32_e64 v25, 0, v25, s7
	v_cmp_eq_u32_e64 s7, 0, v43
	v_cndmask_b32_e64 v44, v25, 0x78, s7
	s_delay_alu instid0(VALU_DEP_1) | instskip(SKIP_1) | instid1(VALU_DEP_2)
	v_dual_cndmask_b32 v54, v96, v54, s7 :: v_dual_add_nc_u32 v97, 19, v44
	v_add_nc_u32_e32 v24, 20, v44
	v_lshlrev_b64_e64 v[96:97], v97, 1
	s_delay_alu instid0(VALU_DEP_2) | instskip(NEXT) | instid1(VALU_DEP_1)
	v_lshlrev_b64_e64 v[24:25], v24, -1
	v_bfi_b32 v47, v25, 0, 0
	s_delay_alu instid0(VALU_DEP_2) | instskip(SKIP_1) | instid1(VALU_DEP_2)
	v_bfi_b32 v46, v24, 0, v54
	v_lshrrev_b64 v[24:25], v44, v[54:55]
	v_cmp_eq_u64_e64 s10, v[46:47], v[96:97]
	s_delay_alu instid0(VALU_DEP_2)
	v_mov_b64_e32 v[96:97], v[24:25]
	s_and_saveexec_b32 s41, s10
; %bb.3613:                             ;   in Loop: Header=BB4_3403 Depth=2
	v_bfe_u32 v54, v24, 20, 1
	s_delay_alu instid0(VALU_DEP_1) | instskip(NEXT) | instid1(VALU_DEP_1)
	v_add_nc_u64_e32 v[96:97], v[24:25], v[54:55]
	v_add_nc_u64_e32 v[96:97], -1, v[96:97]
; %bb.3614:                             ;   in Loop: Header=BB4_3403 Depth=2
	s_or_b32 exec_lo, exec_lo, s41
	v_add_nc_u32_e32 v25, 0xffffff81, v43
	v_lshrrev_b32_e32 v54, 23, v24
	s_mov_b32 s10, exec_lo
	s_delay_alu instid0(VALU_DEP_2) | instskip(NEXT) | instid1(VALU_DEP_1)
	v_cndmask_b32_e64 v25, v25, 0xffffff82, s7
	v_add3_u32 v97, v44, v25, v54
	v_and_b32_e32 v25, 0xfffff, v96
                                        ; implicit-def: $vgpr96
	s_delay_alu instid0(VALU_DEP_1) | instskip(NEXT) | instid1(VALU_DEP_1)
	v_dual_add_nc_u32 v43, 6, v97 :: v_dual_add_nc_u32 v54, v25, v24
                                        ; implicit-def: $vgpr24_vgpr25
	v_cmpx_ne_u32_e32 0, v43
	s_xor_b32 s10, exec_lo, s10
; %bb.3615:                             ;   in Loop: Header=BB4_3403 Depth=2
	s_delay_alu instid0(VALU_DEP_2) | instskip(SKIP_1) | instid1(VALU_DEP_1)
	v_cmp_lt_u64_e64 s7, 0xffffff, v[54:55]
	v_add_nc_u32_e32 v24, 7, v97
	v_cndmask_b32_e64 v96, v43, v24, s7
	v_cndmask_b32_e64 v24, 0, 1, s7
	s_delay_alu instid0(VALU_DEP_1)
	v_lshrrev_b64 v[24:25], v24, v[54:55]
; %bb.3616:                             ;   in Loop: Header=BB4_3403 Depth=2
	s_and_not1_saveexec_b32 s7, s10
; %bb.3617:                             ;   in Loop: Header=BB4_3403 Depth=2
	v_mov_b64_e32 v[24:25], v[54:55]
	v_bfe_u32 v96, v54, 23, 1
; %bb.3618:                             ;   in Loop: Header=BB4_3403 Depth=2
	s_or_b32 exec_lo, exec_lo, s7
	s_delay_alu instid0(VALU_DEP_2) | instskip(NEXT) | instid1(VALU_DEP_2)
	v_lshrrev_b64 v[24:25], 20, v[24:25]
	v_cmp_gt_i32_e64 s7, 16, v96
	v_min_i32_e32 v54, 15, v96
	v_cmp_eq_u32_e64 s10, 0, v96
	s_delay_alu instid0(VALU_DEP_2) | instskip(SKIP_1) | instid1(VALU_DEP_2)
	v_dual_cndmask_b32 v25, 0, v25, s7 :: v_dual_lshlrev_b32 v54, 3, v54
	v_cndmask_b32_e64 v24, 7, v24, s7
	v_and_b32_e32 v54, 0xf8, v54
	s_delay_alu instid0(VALU_DEP_2) | instskip(NEXT) | instid1(VALU_DEP_2)
	v_cmp_eq_u64_e64 s7, 0, v[24:25]
	v_and_or_b32 v24, v24, 7, v54
	s_and_b32 s7, s10, s7
	s_delay_alu instid0(VALU_DEP_1) | instid1(SALU_CYCLE_1)
	v_cndmask_b32_e64 v24, v24, 0, s7
	s_delay_alu instid0(VALU_DEP_1)
	v_or_b32_e32 v96, v24, v42
.LBB4_3619:                             ;   in Loop: Header=BB4_3403 Depth=2
	s_or_b32 exec_lo, exec_lo, s40
                                        ; implicit-def: $vgpr42
.LBB4_3620:                             ;   in Loop: Header=BB4_3403 Depth=2
	s_and_not1_saveexec_b32 s7, s29
; %bb.3621:                             ;   in Loop: Header=BB4_3403 Depth=2
	v_or_b32_e32 v96, 0x7e, v42
; %bb.3622:                             ;   in Loop: Header=BB4_3403 Depth=2
	s_or_b32 exec_lo, exec_lo, s7
                                        ; implicit-def: $vgpr25
.LBB4_3623:                             ;   in Loop: Header=BB4_3403 Depth=2
	s_and_not1_saveexec_b32 s7, s11
; %bb.3624:                             ;   in Loop: Header=BB4_3403 Depth=2
	v_or_b32_e32 v96, 0x7f, v25
; %bb.3625:                             ;   in Loop: Header=BB4_3403 Depth=2
	s_or_b32 exec_lo, exec_lo, s7
	v_mov_b32_e32 v24, 0
	s_mov_b32 s10, exec_lo
	v_cmpx_lt_u64_e64 s[12:13], v[14:15]
	s_cbranch_execz .LBB4_3633
; %bb.3626:                             ;   in Loop: Header=BB4_3403 Depth=2
	v_lshrrev_b32_e32 v14, 24, v15
	v_bfrev_b32_e32 v24, 1
	s_mov_b32 s11, exec_lo
	s_delay_alu instid0(VALU_DEP_2)
	v_cmpx_ne_u32_e32 0x80, v14
	s_cbranch_execz .LBB4_3632
; %bb.3627:                             ;   in Loop: Header=BB4_3403 Depth=2
	v_bfe_u32 v25, v15, 24, 7
	v_mov_b32_e32 v24, 0x7f800001
	s_mov_b32 s29, exec_lo
	s_delay_alu instid0(VALU_DEP_2)
	v_cmpx_ne_u32_e32 0x7f, v25
	s_cbranch_execz .LBB4_3631
; %bb.3628:                             ;   in Loop: Header=BB4_3403 Depth=2
	v_dual_lshrrev_b32 v15, 3, v25 :: v_dual_bitop2_b32 v54, 7, v14 bitop3:0x40
	s_mov_b32 s40, exec_lo
	v_cmpx_gt_u32_e32 8, v25
; %bb.3629:                             ;   in Loop: Header=BB4_3403 Depth=2
	s_delay_alu instid0(VALU_DEP_2) | instskip(NEXT) | instid1(VALU_DEP_1)
	v_clz_i32_u32_e32 v15, v54
	v_min_u32_e32 v15, 32, v15
	s_delay_alu instid0(VALU_DEP_1) | instskip(NEXT) | instid1(VALU_DEP_1)
	v_subrev_nc_u32_e32 v24, 28, v15
	v_lshlrev_b64_e32 v[24:25], v24, v[54:55]
	s_delay_alu instid0(VALU_DEP_1)
	v_dual_sub_nc_u32 v15, 29, v15 :: v_dual_bitop2_b32 v54, 7, v24 bitop3:0x40
; %bb.3630:                             ;   in Loop: Header=BB4_3403 Depth=2
	s_or_b32 exec_lo, exec_lo, s40
	v_lshlrev_b32_e32 v14, 24, v14
	s_delay_alu instid0(VALU_DEP_2) | instskip(NEXT) | instid1(VALU_DEP_3)
	v_lshlrev_b32_e32 v24, 20, v54
	v_lshl_add_u32 v15, v15, 23, 0x3c000000
	s_delay_alu instid0(VALU_DEP_3) | instskip(NEXT) | instid1(VALU_DEP_1)
	v_and_b32_e32 v14, 0x80000000, v14
	v_or3_b32 v24, v24, v14, v15
.LBB4_3631:                             ;   in Loop: Header=BB4_3403 Depth=2
	s_or_b32 exec_lo, exec_lo, s29
.LBB4_3632:                             ;   in Loop: Header=BB4_3403 Depth=2
	s_delay_alu instid0(SALU_CYCLE_1)
	s_or_b32 exec_lo, exec_lo, s11
.LBB4_3633:                             ;   in Loop: Header=BB4_3403 Depth=2
	s_delay_alu instid0(SALU_CYCLE_1) | instskip(SKIP_3) | instid1(VALU_DEP_3)
	s_or_b32 exec_lo, exec_lo, s10
	v_lshrrev_b32_e32 v14, 24, v11
	v_bfe_u32 v15, v11, 24, 7
	v_cmp_gt_u64_e64 s11, s[14:15], v[10:11]
	v_cmp_eq_u32_e64 s10, 0x80, v14
	s_delay_alu instid0(VALU_DEP_3) | instskip(NEXT) | instid1(VALU_DEP_2)
	v_cmp_eq_u32_e64 s7, 0x7f, v15
	v_cndmask_b32_e64 v25, 0x7f800001, v117, s10
	s_or_b32 s7, s10, s7
	s_delay_alu instid0(SALU_CYCLE_1) | instskip(NEXT) | instid1(VALU_DEP_1)
	s_nor_b32 s7, s11, s7
	v_cndmask_b32_e64 v10, v25, 0, s11
	s_and_saveexec_b32 s10, s7
	s_cbranch_execz .LBB4_3635
; %bb.3634:                             ;   in Loop: Header=BB4_3403 Depth=2
	v_and_b32_e32 v25, 7, v14
	v_cmp_gt_u32_e64 s7, 8, v15
	s_delay_alu instid0(VALU_DEP_2) | instskip(NEXT) | instid1(VALU_DEP_1)
	v_clz_i32_u32_e32 v10, v25
	v_min_u32_e32 v54, 32, v10
	s_delay_alu instid0(VALU_DEP_1) | instskip(SKIP_1) | instid1(VALU_DEP_2)
	v_subrev_nc_u32_e32 v10, 28, v54
	v_sub_nc_u32_e32 v54, 29, v54
	v_lshlrev_b64_e32 v[10:11], v10, v[14:15]
	v_dual_lshrrev_b32 v11, 3, v15 :: v_dual_lshlrev_b32 v14, 24, v14
	s_delay_alu instid0(VALU_DEP_1) | instskip(NEXT) | instid1(VALU_DEP_3)
	v_cndmask_b32_e64 v11, v11, v54, s7
	v_and_b32_e32 v10, 7, v10
	s_delay_alu instid0(VALU_DEP_3) | instskip(NEXT) | instid1(VALU_DEP_3)
	v_and_b32_e32 v14, 0x80000000, v14
	v_lshl_add_u32 v11, v11, 23, 0x3c000000
	s_delay_alu instid0(VALU_DEP_3) | instskip(NEXT) | instid1(VALU_DEP_1)
	v_cndmask_b32_e64 v10, v25, v10, s7
	v_lshlrev_b32_e32 v10, 20, v10
	s_delay_alu instid0(VALU_DEP_1)
	v_or3_b32 v10, v10, v14, v11
.LBB4_3635:                             ;   in Loop: Header=BB4_3403 Depth=2
	s_or_b32 exec_lo, exec_lo, s10
	s_delay_alu instid0(VALU_DEP_1) | instskip(SKIP_1) | instid1(VALU_DEP_1)
	v_mul_f32_e32 v10, v24, v10
                                        ; implicit-def: $vgpr97
	s_mov_b32 s10, exec_lo
	v_and_b32_e32 v54, 0x7f800000, v10
	v_lshrrev_b32_e32 v11, 24, v10
	s_delay_alu instid0(VALU_DEP_2)
	v_cmpx_ne_u64_e32 0x7f800000, v[54:55]
	s_xor_b32 s11, exec_lo, s10
	s_cbranch_execz .LBB4_3649
; %bb.3636:                             ;   in Loop: Header=BB4_3403 Depth=2
	v_and_b32_e32 v54, 0x7fffffff, v10
	v_and_b32_e32 v24, 0x80, v11
                                        ; implicit-def: $vgpr97
	s_mov_b32 s10, exec_lo
	s_delay_alu instid0(VALU_DEP_2)
	v_cmpx_gt_u64_e32 0x43e00001, v[54:55]
	s_xor_b32 s29, exec_lo, s10
	s_cbranch_execz .LBB4_3646
; %bb.3637:                             ;   in Loop: Header=BB4_3403 Depth=2
	v_mov_b32_e32 v97, 0
	s_mov_b32 s40, exec_lo
	v_cmpx_ne_u32_e32 0, v10
	s_cbranch_execz .LBB4_3645
; %bb.3638:                             ;   in Loop: Header=BB4_3403 Depth=2
	v_bfe_u32 v25, v10, 23, 8
	v_and_b32_e32 v14, 0x7fffff, v10
	s_delay_alu instid0(VALU_DEP_2) | instskip(SKIP_1) | instid1(VALU_DEP_3)
	v_sub_nc_u32_e32 v11, 0x79, v25
	v_cmp_gt_u32_e64 s7, 0x7a, v25
	v_or_b32_e32 v15, 0x800000, v14
	s_delay_alu instid0(VALU_DEP_2) | instskip(SKIP_1) | instid1(VALU_DEP_1)
	v_cndmask_b32_e64 v11, 0, v11, s7
	v_cmp_eq_u32_e64 s7, 0, v25
	v_cndmask_b32_e64 v97, v11, 0x78, s7
	s_delay_alu instid0(VALU_DEP_1) | instskip(SKIP_1) | instid1(VALU_DEP_2)
	v_dual_cndmask_b32 v54, v15, v14, s7 :: v_dual_add_nc_u32 v42, 19, v97
	v_add_nc_u32_e32 v10, 20, v97
	v_lshlrev_b64_e64 v[14:15], v42, 1
	s_delay_alu instid0(VALU_DEP_2) | instskip(NEXT) | instid1(VALU_DEP_1)
	v_lshlrev_b64_e64 v[10:11], v10, -1
	v_bfi_b32 v43, v11, 0, 0
	s_delay_alu instid0(VALU_DEP_2) | instskip(SKIP_1) | instid1(VALU_DEP_2)
	v_bfi_b32 v42, v10, 0, v54
	v_lshrrev_b64 v[10:11], v97, v[54:55]
	v_cmp_eq_u64_e64 s10, v[42:43], v[14:15]
	s_delay_alu instid0(VALU_DEP_2)
	v_mov_b64_e32 v[14:15], v[10:11]
	s_and_saveexec_b32 s41, s10
; %bb.3639:                             ;   in Loop: Header=BB4_3403 Depth=2
	v_bfe_u32 v54, v10, 20, 1
	s_delay_alu instid0(VALU_DEP_1) | instskip(NEXT) | instid1(VALU_DEP_1)
	v_add_nc_u64_e32 v[14:15], v[10:11], v[54:55]
	v_add_nc_u64_e32 v[14:15], -1, v[14:15]
; %bb.3640:                             ;   in Loop: Header=BB4_3403 Depth=2
	s_or_b32 exec_lo, exec_lo, s41
	v_add_nc_u32_e32 v11, 0xffffff81, v25
	v_lshrrev_b32_e32 v15, 23, v10
	s_mov_b32 s10, exec_lo
	s_delay_alu instid0(VALU_DEP_2) | instskip(NEXT) | instid1(VALU_DEP_1)
	v_cndmask_b32_e64 v11, v11, 0xffffff82, s7
	v_add3_u32 v15, v97, v11, v15
	v_and_b32_e32 v11, 0xfffff, v14
                                        ; implicit-def: $vgpr14
	s_delay_alu instid0(VALU_DEP_1) | instskip(NEXT) | instid1(VALU_DEP_1)
	v_dual_add_nc_u32 v25, 6, v15 :: v_dual_add_nc_u32 v54, v11, v10
                                        ; implicit-def: $vgpr10_vgpr11
	v_cmpx_ne_u32_e32 0, v25
	s_xor_b32 s10, exec_lo, s10
; %bb.3641:                             ;   in Loop: Header=BB4_3403 Depth=2
	s_delay_alu instid0(VALU_DEP_2) | instskip(SKIP_1) | instid1(VALU_DEP_1)
	v_cmp_lt_u64_e64 s7, 0xffffff, v[54:55]
	v_add_nc_u32_e32 v10, 7, v15
	v_cndmask_b32_e64 v14, v25, v10, s7
	v_cndmask_b32_e64 v10, 0, 1, s7
	s_delay_alu instid0(VALU_DEP_1)
	v_lshrrev_b64 v[10:11], v10, v[54:55]
; %bb.3642:                             ;   in Loop: Header=BB4_3403 Depth=2
	s_and_not1_saveexec_b32 s7, s10
; %bb.3643:                             ;   in Loop: Header=BB4_3403 Depth=2
	v_mov_b64_e32 v[10:11], v[54:55]
	v_bfe_u32 v14, v54, 23, 1
; %bb.3644:                             ;   in Loop: Header=BB4_3403 Depth=2
	s_or_b32 exec_lo, exec_lo, s7
	s_delay_alu instid0(VALU_DEP_2) | instskip(NEXT) | instid1(VALU_DEP_2)
	v_lshrrev_b64 v[10:11], 20, v[10:11]
	v_cmp_gt_i32_e64 s7, 16, v14
	v_min_i32_e32 v15, 15, v14
	v_cmp_eq_u32_e64 s10, 0, v14
	s_delay_alu instid0(VALU_DEP_3) | instskip(NEXT) | instid1(VALU_DEP_3)
	v_cndmask_b32_e64 v11, 0, v11, s7
	v_dual_lshlrev_b32 v15, 3, v15 :: v_dual_cndmask_b32 v10, 7, v10, s7
	s_delay_alu instid0(VALU_DEP_1) | instskip(NEXT) | instid1(VALU_DEP_2)
	v_and_b32_e32 v15, 0xf8, v15
	v_cmp_eq_u64_e64 s7, 0, v[10:11]
	s_delay_alu instid0(VALU_DEP_2)
	v_and_or_b32 v10, v10, 7, v15
	s_and_b32 s7, s10, s7
	s_delay_alu instid0(VALU_DEP_1) | instid1(SALU_CYCLE_1)
	v_cndmask_b32_e64 v10, v10, 0, s7
	s_delay_alu instid0(VALU_DEP_1)
	v_or_b32_e32 v97, v10, v24
.LBB4_3645:                             ;   in Loop: Header=BB4_3403 Depth=2
	s_or_b32 exec_lo, exec_lo, s40
                                        ; implicit-def: $vgpr24
.LBB4_3646:                             ;   in Loop: Header=BB4_3403 Depth=2
	s_and_not1_saveexec_b32 s7, s29
; %bb.3647:                             ;   in Loop: Header=BB4_3403 Depth=2
	v_or_b32_e32 v97, 0x7e, v24
; %bb.3648:                             ;   in Loop: Header=BB4_3403 Depth=2
	s_or_b32 exec_lo, exec_lo, s7
                                        ; implicit-def: $vgpr11
.LBB4_3649:                             ;   in Loop: Header=BB4_3403 Depth=2
	s_and_not1_saveexec_b32 s7, s11
; %bb.3650:                             ;   in Loop: Header=BB4_3403 Depth=2
	v_or_b32_e32 v97, 0x7f, v11
; %bb.3651:                             ;   in Loop: Header=BB4_3403 Depth=2
	s_or_b32 exec_lo, exec_lo, s7
	v_and_b32_e32 v11, 0xff, v16
	v_mov_b32_e32 v10, 0
	s_mov_b32 s10, exec_lo
	s_delay_alu instid0(VALU_DEP_2)
	v_cmpx_ne_u16_e32 0, v11
	s_cbranch_execz .LBB4_3657
; %bb.3652:                             ;   in Loop: Header=BB4_3403 Depth=2
	v_bfrev_b32_e32 v10, 1
	s_mov_b32 s11, exec_lo
	v_cmpx_ne_u16_e32 0x80, v11
	s_cbranch_execz .LBB4_3656
; %bb.3653:                             ;   in Loop: Header=BB4_3403 Depth=2
	v_and_b32_e32 v11, 0x7f, v16
	v_mov_b32_e32 v10, 0x7f800001
	s_mov_b32 s29, exec_lo
	s_delay_alu instid0(VALU_DEP_2)
	v_cmpx_ne_u32_e32 0x7f, v11
	s_cbranch_execz .LBB4_3655
; %bb.3654:                             ;   in Loop: Header=BB4_3403 Depth=2
	v_dual_lshrrev_b32 v14, 3, v11 :: v_dual_bitop2_b32 v10, 7, v16 bitop3:0x40
	v_cmp_gt_u32_e64 s7, 8, v11
	s_delay_alu instid0(VALU_DEP_2) | instskip(NEXT) | instid1(VALU_DEP_1)
	v_clz_i32_u32_e32 v10, v10
	v_min_u32_e32 v10, 32, v10
	s_delay_alu instid0(VALU_DEP_1) | instskip(SKIP_1) | instid1(VALU_DEP_1)
	v_subrev_nc_u32_e32 v15, 28, v10
	v_sub_nc_u32_e32 v10, 29, v10
	v_dual_cndmask_b32 v14, v14, v10, s7 :: v_dual_cndmask_b32 v10, 0, v15, s7
	s_delay_alu instid0(VALU_DEP_1) | instskip(NEXT) | instid1(VALU_DEP_2)
	v_lshl_add_u32 v14, v14, 23, 0x3c000000
	v_lshlrev_b64_e32 v[10:11], v10, v[16:17]
	v_lshlrev_b32_e32 v11, 24, v16
	s_delay_alu instid0(VALU_DEP_1) | instskip(NEXT) | instid1(VALU_DEP_3)
	v_and_b32_e32 v11, 0x80000000, v11
	v_lshlrev_b32_e32 v10, 20, v10
	s_delay_alu instid0(VALU_DEP_1) | instskip(NEXT) | instid1(VALU_DEP_1)
	v_and_b32_e32 v10, 0x700000, v10
	v_or3_b32 v10, v10, v11, v14
.LBB4_3655:                             ;   in Loop: Header=BB4_3403 Depth=2
	s_or_b32 exec_lo, exec_lo, s29
.LBB4_3656:                             ;   in Loop: Header=BB4_3403 Depth=2
	s_delay_alu instid0(SALU_CYCLE_1)
	s_or_b32 exec_lo, exec_lo, s11
.LBB4_3657:                             ;   in Loop: Header=BB4_3403 Depth=2
	s_delay_alu instid0(SALU_CYCLE_1) | instskip(SKIP_3) | instid1(VALU_DEP_1)
	s_or_b32 exec_lo, exec_lo, s10
	v_and_b32_e32 v14, 0xff, v12
	s_mov_b32 s10, 0
	s_mov_b32 s11, exec_lo
	v_cmpx_lt_i16_e32 0x7f, v14
	s_xor_b32 s11, exec_lo, s11
	s_cbranch_execz .LBB4_3692
; %bb.3658:                             ;   in Loop: Header=BB4_3403 Depth=2
	s_mov_b32 s10, -1
	s_mov_b32 s29, exec_lo
	v_cmpx_eq_u16_e32 0x80, v14
; %bb.3659:                             ;   in Loop: Header=BB4_3403 Depth=2
	s_xor_b32 s10, exec_lo, -1
; %bb.3660:                             ;   in Loop: Header=BB4_3403 Depth=2
	s_or_b32 exec_lo, exec_lo, s29
	s_delay_alu instid0(SALU_CYCLE_1)
	s_and_b32 s10, s10, exec_lo
                                        ; implicit-def: $vgpr14
	s_or_saveexec_b32 s11, s11
	v_bfrev_b32_e32 v11, 1
	s_xor_b32 exec_lo, exec_lo, s11
	s_cbranch_execnz .LBB4_3693
.LBB4_3661:                             ;   in Loop: Header=BB4_3403 Depth=2
	s_or_b32 exec_lo, exec_lo, s11
	s_and_saveexec_b32 s11, s10
	s_cbranch_execz .LBB4_3663
.LBB4_3662:                             ;   in Loop: Header=BB4_3403 Depth=2
	v_and_b32_e32 v24, 0x7f, v12
	v_bfe_u32 v14, v12, 3, 4
	s_delay_alu instid0(VALU_DEP_2) | instskip(SKIP_1) | instid1(VALU_DEP_1)
	v_cmp_gt_u32_e64 s7, 8, v24
	v_and_b32_e32 v11, 7, v12
	v_clz_i32_u32_e32 v11, v11
	s_delay_alu instid0(VALU_DEP_1) | instskip(NEXT) | instid1(VALU_DEP_1)
	v_min_u32_e32 v11, 32, v11
	v_subrev_nc_u32_e32 v15, 28, v11
	v_sub_nc_u32_e32 v11, 29, v11
	s_delay_alu instid0(VALU_DEP_1) | instskip(NEXT) | instid1(VALU_DEP_3)
	v_cndmask_b32_e64 v11, v14, v11, s7
	v_cndmask_b32_e64 v14, 0, v15, s7
	v_cmp_ne_u32_e64 s7, 0x7f, v24
	s_delay_alu instid0(VALU_DEP_2) | instskip(SKIP_1) | instid1(VALU_DEP_1)
	v_lshlrev_b64_e32 v[14:15], v14, v[12:13]
	v_lshlrev_b32_e32 v15, 24, v12
	v_and_b32_e32 v15, 0x80000000, v15
	s_delay_alu instid0(VALU_DEP_3) | instskip(SKIP_1) | instid1(VALU_DEP_2)
	v_lshlrev_b32_e32 v14, 20, v14
	v_lshl_add_u32 v11, v11, 23, 0x3c000000
	v_and_b32_e32 v14, 0x700000, v14
	s_delay_alu instid0(VALU_DEP_1) | instskip(NEXT) | instid1(VALU_DEP_1)
	v_or3_b32 v11, v14, v15, v11
	v_cndmask_b32_e64 v11, 0x7f800001, v11, s7
.LBB4_3663:                             ;   in Loop: Header=BB4_3403 Depth=2
	s_or_b32 exec_lo, exec_lo, s11
	s_delay_alu instid0(VALU_DEP_1) | instskip(SKIP_1) | instid1(VALU_DEP_1)
	v_mul_f32_e32 v10, v10, v11
                                        ; implicit-def: $vgpr42
	s_mov_b32 s10, exec_lo
	v_and_b32_e32 v54, 0x7f800000, v10
	v_lshrrev_b32_e32 v11, 24, v10
	s_delay_alu instid0(VALU_DEP_2)
	v_cmpx_ne_u64_e32 0x7f800000, v[54:55]
	s_xor_b32 s11, exec_lo, s10
	s_cbranch_execz .LBB4_3677
; %bb.3664:                             ;   in Loop: Header=BB4_3403 Depth=2
	v_and_b32_e32 v54, 0x7fffffff, v10
	v_and_b32_e32 v24, 0x80, v11
                                        ; implicit-def: $vgpr42
	s_mov_b32 s10, exec_lo
	s_delay_alu instid0(VALU_DEP_2)
	v_cmpx_gt_u64_e32 0x43e00001, v[54:55]
	s_xor_b32 s29, exec_lo, s10
	s_cbranch_execz .LBB4_3674
; %bb.3665:                             ;   in Loop: Header=BB4_3403 Depth=2
	v_mov_b32_e32 v42, 0
	s_mov_b32 s40, exec_lo
	v_cmpx_ne_u32_e32 0, v10
	s_cbranch_execz .LBB4_3673
; %bb.3666:                             ;   in Loop: Header=BB4_3403 Depth=2
	v_bfe_u32 v25, v10, 23, 8
	v_and_b32_e32 v14, 0x7fffff, v10
	s_delay_alu instid0(VALU_DEP_2) | instskip(SKIP_1) | instid1(VALU_DEP_3)
	v_sub_nc_u32_e32 v11, 0x79, v25
	v_cmp_gt_u32_e64 s7, 0x7a, v25
	v_or_b32_e32 v15, 0x800000, v14
	s_delay_alu instid0(VALU_DEP_2) | instskip(SKIP_1) | instid1(VALU_DEP_1)
	v_cndmask_b32_e64 v11, 0, v11, s7
	v_cmp_eq_u32_e64 s7, 0, v25
	v_cndmask_b32_e64 v42, v11, 0x78, s7
	s_delay_alu instid0(VALU_DEP_4) | instskip(NEXT) | instid1(VALU_DEP_2)
	v_cndmask_b32_e64 v54, v15, v14, s7
	v_dual_add_nc_u32 v10, 20, v42 :: v_dual_add_nc_u32 v43, 19, v42
	s_delay_alu instid0(VALU_DEP_1) | instskip(NEXT) | instid1(VALU_DEP_2)
	v_lshlrev_b64_e64 v[10:11], v10, -1
	v_lshlrev_b64_e64 v[14:15], v43, 1
	s_delay_alu instid0(VALU_DEP_2) | instskip(NEXT) | instid1(VALU_DEP_3)
	v_bfi_b32 v45, v11, 0, 0
	v_bfi_b32 v44, v10, 0, v54
	v_lshrrev_b64 v[10:11], v42, v[54:55]
	s_delay_alu instid0(VALU_DEP_2) | instskip(NEXT) | instid1(VALU_DEP_2)
	v_cmp_eq_u64_e64 s10, v[44:45], v[14:15]
	v_mov_b64_e32 v[14:15], v[10:11]
	s_and_saveexec_b32 s41, s10
; %bb.3667:                             ;   in Loop: Header=BB4_3403 Depth=2
	v_bfe_u32 v54, v10, 20, 1
	s_delay_alu instid0(VALU_DEP_1) | instskip(NEXT) | instid1(VALU_DEP_1)
	v_add_nc_u64_e32 v[14:15], v[10:11], v[54:55]
	v_add_nc_u64_e32 v[14:15], -1, v[14:15]
; %bb.3668:                             ;   in Loop: Header=BB4_3403 Depth=2
	s_or_b32 exec_lo, exec_lo, s41
	v_add_nc_u32_e32 v11, 0xffffff81, v25
	v_lshrrev_b32_e32 v15, 23, v10
	s_mov_b32 s10, exec_lo
	s_delay_alu instid0(VALU_DEP_2) | instskip(NEXT) | instid1(VALU_DEP_1)
	v_cndmask_b32_e64 v11, v11, 0xffffff82, s7
	v_add3_u32 v15, v42, v11, v15
	v_and_b32_e32 v11, 0xfffff, v14
                                        ; implicit-def: $vgpr14
	s_delay_alu instid0(VALU_DEP_1) | instskip(NEXT) | instid1(VALU_DEP_1)
	v_dual_add_nc_u32 v25, 6, v15 :: v_dual_add_nc_u32 v54, v11, v10
                                        ; implicit-def: $vgpr10_vgpr11
	v_cmpx_ne_u32_e32 0, v25
	s_xor_b32 s10, exec_lo, s10
; %bb.3669:                             ;   in Loop: Header=BB4_3403 Depth=2
	s_delay_alu instid0(VALU_DEP_2) | instskip(SKIP_1) | instid1(VALU_DEP_1)
	v_cmp_lt_u64_e64 s7, 0xffffff, v[54:55]
	v_add_nc_u32_e32 v10, 7, v15
	v_cndmask_b32_e64 v14, v25, v10, s7
	v_cndmask_b32_e64 v10, 0, 1, s7
	s_delay_alu instid0(VALU_DEP_1)
	v_lshrrev_b64 v[10:11], v10, v[54:55]
; %bb.3670:                             ;   in Loop: Header=BB4_3403 Depth=2
	s_and_not1_saveexec_b32 s7, s10
; %bb.3671:                             ;   in Loop: Header=BB4_3403 Depth=2
	v_mov_b64_e32 v[10:11], v[54:55]
	v_bfe_u32 v14, v54, 23, 1
; %bb.3672:                             ;   in Loop: Header=BB4_3403 Depth=2
	s_or_b32 exec_lo, exec_lo, s7
	s_delay_alu instid0(VALU_DEP_2) | instskip(NEXT) | instid1(VALU_DEP_2)
	v_lshrrev_b64 v[10:11], 20, v[10:11]
	v_cmp_gt_i32_e64 s7, 16, v14
	v_min_i32_e32 v15, 15, v14
	v_cmp_eq_u32_e64 s10, 0, v14
	s_delay_alu instid0(VALU_DEP_3) | instskip(NEXT) | instid1(VALU_DEP_3)
	v_cndmask_b32_e64 v11, 0, v11, s7
	v_dual_lshlrev_b32 v15, 3, v15 :: v_dual_cndmask_b32 v10, 7, v10, s7
	s_delay_alu instid0(VALU_DEP_1) | instskip(NEXT) | instid1(VALU_DEP_2)
	v_and_b32_e32 v15, 0xf8, v15
	v_cmp_eq_u64_e64 s7, 0, v[10:11]
	s_delay_alu instid0(VALU_DEP_2)
	v_and_or_b32 v10, v10, 7, v15
	s_and_b32 s7, s10, s7
	s_delay_alu instid0(VALU_DEP_1) | instid1(SALU_CYCLE_1)
	v_cndmask_b32_e64 v10, v10, 0, s7
	s_delay_alu instid0(VALU_DEP_1)
	v_or_b32_e32 v42, v10, v24
.LBB4_3673:                             ;   in Loop: Header=BB4_3403 Depth=2
	s_or_b32 exec_lo, exec_lo, s40
                                        ; implicit-def: $vgpr24
.LBB4_3674:                             ;   in Loop: Header=BB4_3403 Depth=2
	s_and_not1_saveexec_b32 s7, s29
; %bb.3675:                             ;   in Loop: Header=BB4_3403 Depth=2
	v_or_b32_e32 v42, 0x7e, v24
; %bb.3676:                             ;   in Loop: Header=BB4_3403 Depth=2
	s_or_b32 exec_lo, exec_lo, s7
                                        ; implicit-def: $vgpr11
.LBB4_3677:                             ;   in Loop: Header=BB4_3403 Depth=2
	s_and_not1_saveexec_b32 s7, s11
; %bb.3678:                             ;   in Loop: Header=BB4_3403 Depth=2
	v_or_b32_e32 v42, 0x7f, v11
; %bb.3679:                             ;   in Loop: Header=BB4_3403 Depth=2
	s_or_b32 exec_lo, exec_lo, s7
	v_lshrrev_b16 v10, 8, v16
	v_mov_b32_e32 v11, 0
	s_mov_b32 s10, exec_lo
	s_delay_alu instid0(VALU_DEP_2)
	v_cmpx_ne_u16_e32 0, v10
	s_cbranch_execz .LBB4_3687
; %bb.3680:                             ;   in Loop: Header=BB4_3403 Depth=2
	v_bfrev_b32_e32 v11, 1
	s_mov_b32 s11, exec_lo
	v_cmpx_ne_u16_e32 0x80, v10
	s_cbranch_execz .LBB4_3686
; %bb.3681:                             ;   in Loop: Header=BB4_3403 Depth=2
	v_and_b32_e32 v10, 0xffff, v10
	v_mov_b32_e32 v11, 0x7f800001
	s_mov_b32 s29, exec_lo
	s_delay_alu instid0(VALU_DEP_2) | instskip(NEXT) | instid1(VALU_DEP_1)
	v_and_b32_e32 v14, 0x7f, v10
	v_cmpx_ne_u32_e32 0x7f, v14
	s_cbranch_execz .LBB4_3685
; %bb.3682:                             ;   in Loop: Header=BB4_3403 Depth=2
	v_and_b32_e32 v54, 7, v10
	v_lshrrev_b32_e32 v10, 3, v14
	s_mov_b32 s40, exec_lo
	v_cmpx_gt_u32_e32 8, v14
; %bb.3683:                             ;   in Loop: Header=BB4_3403 Depth=2
	s_delay_alu instid0(VALU_DEP_3) | instskip(NEXT) | instid1(VALU_DEP_1)
	v_clz_i32_u32_e32 v10, v54
	v_min_u32_e32 v10, 32, v10
	s_delay_alu instid0(VALU_DEP_1) | instskip(SKIP_1) | instid1(VALU_DEP_2)
	v_subrev_nc_u32_e32 v11, 28, v10
	v_sub_nc_u32_e32 v10, 29, v10
	v_lshlrev_b64_e32 v[14:15], v11, v[54:55]
	s_delay_alu instid0(VALU_DEP_1)
	v_and_b32_e32 v54, 7, v14
; %bb.3684:                             ;   in Loop: Header=BB4_3403 Depth=2
	s_or_b32 exec_lo, exec_lo, s40
	s_delay_alu instid0(VALU_DEP_1) | instskip(SKIP_1) | instid1(VALU_DEP_2)
	v_dual_lshlrev_b32 v11, 16, v16 :: v_dual_lshlrev_b32 v14, 20, v54
	v_lshl_add_u32 v10, v10, 23, 0x3c000000
	v_and_b32_e32 v11, 0x80000000, v11
	s_delay_alu instid0(VALU_DEP_1)
	v_or3_b32 v11, v14, v11, v10
.LBB4_3685:                             ;   in Loop: Header=BB4_3403 Depth=2
	s_or_b32 exec_lo, exec_lo, s29
.LBB4_3686:                             ;   in Loop: Header=BB4_3403 Depth=2
	s_delay_alu instid0(SALU_CYCLE_1)
	s_or_b32 exec_lo, exec_lo, s11
.LBB4_3687:                             ;   in Loop: Header=BB4_3403 Depth=2
	s_delay_alu instid0(SALU_CYCLE_1) | instskip(SKIP_3) | instid1(VALU_DEP_1)
	s_or_b32 exec_lo, exec_lo, s10
	v_lshrrev_b16 v14, 8, v12
	s_mov_b32 s11, 0
	s_mov_b32 s10, exec_lo
	v_cmpx_lt_i16_e32 0x7f, v14
	s_xor_b32 s10, exec_lo, s10
	s_cbranch_execz .LBB4_3694
; %bb.3688:                             ;   in Loop: Header=BB4_3403 Depth=2
	s_mov_b32 s11, -1
	s_mov_b32 s29, exec_lo
	v_cmpx_eq_u16_e32 0x80, v14
; %bb.3689:                             ;   in Loop: Header=BB4_3403 Depth=2
	s_xor_b32 s11, exec_lo, -1
; %bb.3690:                             ;   in Loop: Header=BB4_3403 Depth=2
	s_or_b32 exec_lo, exec_lo, s29
	s_delay_alu instid0(SALU_CYCLE_1)
	s_and_b32 s11, s11, exec_lo
	s_or_saveexec_b32 s10, s10
	v_bfrev_b32_e32 v15, 1
	s_xor_b32 exec_lo, exec_lo, s10
	s_cbranch_execnz .LBB4_3695
.LBB4_3691:                             ;   in Loop: Header=BB4_3403 Depth=2
	s_or_b32 exec_lo, exec_lo, s10
	s_and_saveexec_b32 s10, s11
	s_cbranch_execnz .LBB4_3696
	s_branch .LBB4_3699
.LBB4_3692:                             ;   in Loop: Header=BB4_3403 Depth=2
	s_or_saveexec_b32 s11, s11
	v_bfrev_b32_e32 v11, 1
	s_xor_b32 exec_lo, exec_lo, s11
	s_cbranch_execz .LBB4_3661
.LBB4_3693:                             ;   in Loop: Header=BB4_3403 Depth=2
	v_cmp_ne_u16_e64 s7, 0, v14
	v_mov_b32_e32 v11, 0
	s_and_not1_b32 s10, s10, exec_lo
	s_and_b32 s7, s7, exec_lo
	s_delay_alu instid0(SALU_CYCLE_1)
	s_or_b32 s10, s10, s7
	s_or_b32 exec_lo, exec_lo, s11
	s_and_saveexec_b32 s11, s10
	s_cbranch_execnz .LBB4_3662
	s_branch .LBB4_3663
.LBB4_3694:                             ;   in Loop: Header=BB4_3403 Depth=2
	s_or_saveexec_b32 s10, s10
	v_bfrev_b32_e32 v15, 1
	s_xor_b32 exec_lo, exec_lo, s10
	s_cbranch_execz .LBB4_3691
.LBB4_3695:                             ;   in Loop: Header=BB4_3403 Depth=2
	v_cmp_ne_u16_e64 s7, 0, v14
	v_mov_b32_e32 v15, 0
	s_and_not1_b32 s11, s11, exec_lo
	s_and_b32 s7, s7, exec_lo
	s_delay_alu instid0(SALU_CYCLE_1)
	s_or_b32 s11, s11, s7
	s_or_b32 exec_lo, exec_lo, s10
	s_and_saveexec_b32 s10, s11
	s_cbranch_execz .LBB4_3699
.LBB4_3696:                             ;   in Loop: Header=BB4_3403 Depth=2
	v_and_b32_e32 v10, 0xffff, v14
	v_mov_b32_e32 v15, 0x7f800001
	s_mov_b32 s11, exec_lo
	s_delay_alu instid0(VALU_DEP_2) | instskip(NEXT) | instid1(VALU_DEP_1)
	v_and_b32_e32 v24, 0x7f, v10
	v_cmpx_ne_u32_e32 0x7f, v24
	s_cbranch_execz .LBB4_3698
; %bb.3697:                             ;   in Loop: Header=BB4_3403 Depth=2
	v_and_b32_e32 v15, 7, v10
	v_cmp_gt_u32_e64 s7, 8, v24
	s_delay_alu instid0(VALU_DEP_2) | instskip(NEXT) | instid1(VALU_DEP_1)
	v_clz_i32_u32_e32 v25, v15
	v_min_u32_e32 v25, 32, v25
	s_delay_alu instid0(VALU_DEP_1) | instskip(NEXT) | instid1(VALU_DEP_1)
	v_subrev_nc_u32_e32 v54, 28, v25
	v_lshlrev_b64_e32 v[44:45], v54, v[10:11]
	v_dual_lshrrev_b32 v10, 3, v24 :: v_dual_sub_nc_u32 v25, 29, v25
	s_delay_alu instid0(VALU_DEP_2) | instskip(NEXT) | instid1(VALU_DEP_1)
	v_dual_lshlrev_b32 v14, 24, v14 :: v_dual_bitop2_b32 v24, 7, v44 bitop3:0x40
	v_dual_cndmask_b32 v10, v10, v25, s7 :: v_dual_cndmask_b32 v15, v15, v24, s7
	s_delay_alu instid0(VALU_DEP_2) | instskip(NEXT) | instid1(VALU_DEP_2)
	v_and_b32_e32 v14, 0x80000000, v14
	v_lshl_add_u32 v10, v10, 23, 0x3c000000
	s_delay_alu instid0(VALU_DEP_3) | instskip(NEXT) | instid1(VALU_DEP_1)
	v_lshlrev_b32_e32 v15, 20, v15
	v_or3_b32 v15, v15, v14, v10
.LBB4_3698:                             ;   in Loop: Header=BB4_3403 Depth=2
	s_or_b32 exec_lo, exec_lo, s11
.LBB4_3699:                             ;   in Loop: Header=BB4_3403 Depth=2
	s_delay_alu instid0(SALU_CYCLE_1) | instskip(NEXT) | instid1(VALU_DEP_1)
	s_or_b32 exec_lo, exec_lo, s10
	v_mul_f32_e32 v10, v11, v15
                                        ; implicit-def: $vgpr43
	s_mov_b32 s10, exec_lo
	s_delay_alu instid0(VALU_DEP_1) | instskip(SKIP_1) | instid1(VALU_DEP_2)
	v_and_b32_e32 v54, 0x7f800000, v10
	v_lshrrev_b32_e32 v11, 24, v10
	v_cmpx_ne_u64_e32 0x7f800000, v[54:55]
	s_xor_b32 s11, exec_lo, s10
	s_cbranch_execz .LBB4_3713
; %bb.3700:                             ;   in Loop: Header=BB4_3403 Depth=2
	v_and_b32_e32 v54, 0x7fffffff, v10
	v_and_b32_e32 v24, 0x80, v11
                                        ; implicit-def: $vgpr43
	s_mov_b32 s10, exec_lo
	s_delay_alu instid0(VALU_DEP_2)
	v_cmpx_gt_u64_e32 0x43e00001, v[54:55]
	s_xor_b32 s29, exec_lo, s10
	s_cbranch_execz .LBB4_3710
; %bb.3701:                             ;   in Loop: Header=BB4_3403 Depth=2
	v_mov_b32_e32 v43, 0
	s_mov_b32 s40, exec_lo
	v_cmpx_ne_u32_e32 0, v10
	s_cbranch_execz .LBB4_3709
; %bb.3702:                             ;   in Loop: Header=BB4_3403 Depth=2
	v_bfe_u32 v25, v10, 23, 8
	v_and_b32_e32 v14, 0x7fffff, v10
	s_delay_alu instid0(VALU_DEP_2) | instskip(SKIP_1) | instid1(VALU_DEP_3)
	v_sub_nc_u32_e32 v11, 0x79, v25
	v_cmp_gt_u32_e64 s7, 0x7a, v25
	v_or_b32_e32 v15, 0x800000, v14
	s_delay_alu instid0(VALU_DEP_2) | instskip(SKIP_1) | instid1(VALU_DEP_1)
	v_cndmask_b32_e64 v11, 0, v11, s7
	v_cmp_eq_u32_e64 s7, 0, v25
	v_cndmask_b32_e64 v54, v15, v14, s7
	s_delay_alu instid0(VALU_DEP_3) | instskip(NEXT) | instid1(VALU_DEP_1)
	v_cndmask_b32_e64 v43, v11, 0x78, s7
	v_dual_add_nc_u32 v10, 20, v43 :: v_dual_add_nc_u32 v44, 19, v43
	s_delay_alu instid0(VALU_DEP_1) | instskip(NEXT) | instid1(VALU_DEP_2)
	v_lshlrev_b64_e64 v[10:11], v10, -1
	v_lshlrev_b64_e64 v[14:15], v44, 1
	s_delay_alu instid0(VALU_DEP_2) | instskip(NEXT) | instid1(VALU_DEP_3)
	v_bfi_b32 v45, v11, 0, 0
	v_bfi_b32 v44, v10, 0, v54
	v_lshrrev_b64 v[10:11], v43, v[54:55]
	s_delay_alu instid0(VALU_DEP_2) | instskip(NEXT) | instid1(VALU_DEP_2)
	v_cmp_eq_u64_e64 s10, v[44:45], v[14:15]
	v_mov_b64_e32 v[14:15], v[10:11]
	s_and_saveexec_b32 s41, s10
; %bb.3703:                             ;   in Loop: Header=BB4_3403 Depth=2
	v_bfe_u32 v54, v10, 20, 1
	s_delay_alu instid0(VALU_DEP_1) | instskip(NEXT) | instid1(VALU_DEP_1)
	v_add_nc_u64_e32 v[14:15], v[10:11], v[54:55]
	v_add_nc_u64_e32 v[14:15], -1, v[14:15]
; %bb.3704:                             ;   in Loop: Header=BB4_3403 Depth=2
	s_or_b32 exec_lo, exec_lo, s41
	v_add_nc_u32_e32 v11, 0xffffff81, v25
	v_lshrrev_b32_e32 v15, 23, v10
	s_mov_b32 s10, exec_lo
	s_delay_alu instid0(VALU_DEP_2) | instskip(NEXT) | instid1(VALU_DEP_1)
	v_cndmask_b32_e64 v11, v11, 0xffffff82, s7
	v_add3_u32 v15, v43, v11, v15
	v_and_b32_e32 v11, 0xfffff, v14
                                        ; implicit-def: $vgpr14
	s_delay_alu instid0(VALU_DEP_1) | instskip(NEXT) | instid1(VALU_DEP_1)
	v_dual_add_nc_u32 v25, 6, v15 :: v_dual_add_nc_u32 v54, v11, v10
                                        ; implicit-def: $vgpr10_vgpr11
	v_cmpx_ne_u32_e32 0, v25
	s_xor_b32 s10, exec_lo, s10
; %bb.3705:                             ;   in Loop: Header=BB4_3403 Depth=2
	s_delay_alu instid0(VALU_DEP_2) | instskip(SKIP_1) | instid1(VALU_DEP_1)
	v_cmp_lt_u64_e64 s7, 0xffffff, v[54:55]
	v_add_nc_u32_e32 v10, 7, v15
	v_cndmask_b32_e64 v14, v25, v10, s7
	v_cndmask_b32_e64 v10, 0, 1, s7
	s_delay_alu instid0(VALU_DEP_1)
	v_lshrrev_b64 v[10:11], v10, v[54:55]
; %bb.3706:                             ;   in Loop: Header=BB4_3403 Depth=2
	s_and_not1_saveexec_b32 s7, s10
; %bb.3707:                             ;   in Loop: Header=BB4_3403 Depth=2
	v_mov_b64_e32 v[10:11], v[54:55]
	v_bfe_u32 v14, v54, 23, 1
; %bb.3708:                             ;   in Loop: Header=BB4_3403 Depth=2
	s_or_b32 exec_lo, exec_lo, s7
	s_delay_alu instid0(VALU_DEP_2) | instskip(NEXT) | instid1(VALU_DEP_2)
	v_lshrrev_b64 v[10:11], 20, v[10:11]
	v_cmp_gt_i32_e64 s7, 16, v14
	v_min_i32_e32 v15, 15, v14
	v_cmp_eq_u32_e64 s10, 0, v14
	s_delay_alu instid0(VALU_DEP_3) | instskip(NEXT) | instid1(VALU_DEP_3)
	v_cndmask_b32_e64 v11, 0, v11, s7
	v_dual_lshlrev_b32 v15, 3, v15 :: v_dual_cndmask_b32 v10, 7, v10, s7
	s_delay_alu instid0(VALU_DEP_1) | instskip(NEXT) | instid1(VALU_DEP_2)
	v_and_b32_e32 v15, 0xf8, v15
	v_cmp_eq_u64_e64 s7, 0, v[10:11]
	s_delay_alu instid0(VALU_DEP_2)
	v_and_or_b32 v10, v10, 7, v15
	s_and_b32 s7, s10, s7
	s_delay_alu instid0(VALU_DEP_1) | instid1(SALU_CYCLE_1)
	v_cndmask_b32_e64 v10, v10, 0, s7
	s_delay_alu instid0(VALU_DEP_1)
	v_or_b32_e32 v43, v10, v24
.LBB4_3709:                             ;   in Loop: Header=BB4_3403 Depth=2
	s_or_b32 exec_lo, exec_lo, s40
                                        ; implicit-def: $vgpr24
.LBB4_3710:                             ;   in Loop: Header=BB4_3403 Depth=2
	s_and_not1_saveexec_b32 s7, s29
; %bb.3711:                             ;   in Loop: Header=BB4_3403 Depth=2
	v_or_b32_e32 v43, 0x7e, v24
; %bb.3712:                             ;   in Loop: Header=BB4_3403 Depth=2
	s_or_b32 exec_lo, exec_lo, s7
                                        ; implicit-def: $vgpr11
.LBB4_3713:                             ;   in Loop: Header=BB4_3403 Depth=2
	s_and_not1_saveexec_b32 s7, s11
; %bb.3714:                             ;   in Loop: Header=BB4_3403 Depth=2
	v_or_b32_e32 v43, 0x7f, v11
; %bb.3715:                             ;   in Loop: Header=BB4_3403 Depth=2
	s_or_b32 exec_lo, exec_lo, s7
	v_dual_mov_b32 v11, 0 :: v_dual_lshrrev_b32 v10, 16, v16
	s_mov_b32 s10, exec_lo
	s_delay_alu instid0(VALU_DEP_1) | instskip(NEXT) | instid1(VALU_DEP_1)
	v_and_b32_e32 v14, 0xff, v10
	v_cmpx_ne_u16_e32 0, v14
	s_cbranch_execz .LBB4_3723
; %bb.3716:                             ;   in Loop: Header=BB4_3403 Depth=2
	v_bfrev_b32_e32 v11, 1
	s_mov_b32 s11, exec_lo
	v_cmpx_ne_u16_e32 0x80, v14
	s_cbranch_execz .LBB4_3722
; %bb.3717:                             ;   in Loop: Header=BB4_3403 Depth=2
	v_bfe_u32 v14, v16, 16, 7
	v_mov_b32_e32 v11, 0x7f800001
	s_mov_b32 s29, exec_lo
	s_delay_alu instid0(VALU_DEP_2)
	v_cmpx_ne_u32_e32 0x7f, v14
	s_cbranch_execz .LBB4_3721
; %bb.3718:                             ;   in Loop: Header=BB4_3403 Depth=2
	v_and_b32_e32 v54, 7, v10
	v_lshrrev_b32_e32 v11, 3, v14
	s_mov_b32 s40, exec_lo
	v_cmpx_gt_u32_e32 8, v14
; %bb.3719:                             ;   in Loop: Header=BB4_3403 Depth=2
	s_delay_alu instid0(VALU_DEP_3) | instskip(NEXT) | instid1(VALU_DEP_1)
	v_clz_i32_u32_e32 v11, v54
	v_min_u32_e32 v11, 32, v11
	s_delay_alu instid0(VALU_DEP_1) | instskip(NEXT) | instid1(VALU_DEP_1)
	v_subrev_nc_u32_e32 v14, 28, v11
	v_lshlrev_b64_e32 v[14:15], v14, v[54:55]
	s_delay_alu instid0(VALU_DEP_1)
	v_dual_sub_nc_u32 v11, 29, v11 :: v_dual_bitop2_b32 v54, 7, v14 bitop3:0x40
; %bb.3720:                             ;   in Loop: Header=BB4_3403 Depth=2
	s_or_b32 exec_lo, exec_lo, s40
	v_lshlrev_b32_e32 v10, 24, v10
	s_delay_alu instid0(VALU_DEP_2) | instskip(NEXT) | instid1(VALU_DEP_3)
	v_lshlrev_b32_e32 v14, 20, v54
	v_lshl_add_u32 v11, v11, 23, 0x3c000000
	s_delay_alu instid0(VALU_DEP_3) | instskip(NEXT) | instid1(VALU_DEP_1)
	v_and_b32_e32 v10, 0x80000000, v10
	v_or3_b32 v11, v14, v10, v11
.LBB4_3721:                             ;   in Loop: Header=BB4_3403 Depth=2
	s_or_b32 exec_lo, exec_lo, s29
.LBB4_3722:                             ;   in Loop: Header=BB4_3403 Depth=2
	s_delay_alu instid0(SALU_CYCLE_1)
	s_or_b32 exec_lo, exec_lo, s11
.LBB4_3723:                             ;   in Loop: Header=BB4_3403 Depth=2
	s_delay_alu instid0(SALU_CYCLE_1) | instskip(SKIP_3) | instid1(VALU_DEP_1)
	s_or_b32 exec_lo, exec_lo, s10
	v_lshrrev_b32_e32 v10, 16, v12
	s_mov_b32 s11, 0
	s_mov_b32 s10, exec_lo
	v_and_b32_e32 v15, 0xff, v10
	s_delay_alu instid0(VALU_DEP_1)
	v_cmpx_lt_i16_e32 0x7f, v15
	s_xor_b32 s10, exec_lo, s10
	s_cbranch_execz .LBB4_3728
; %bb.3724:                             ;   in Loop: Header=BB4_3403 Depth=2
	s_mov_b32 s11, -1
	s_mov_b32 s29, exec_lo
	v_cmpx_eq_u16_e32 0x80, v15
; %bb.3725:                             ;   in Loop: Header=BB4_3403 Depth=2
	s_xor_b32 s11, exec_lo, -1
; %bb.3726:                             ;   in Loop: Header=BB4_3403 Depth=2
	s_or_b32 exec_lo, exec_lo, s29
	s_delay_alu instid0(SALU_CYCLE_1)
	s_and_b32 s11, s11, exec_lo
                                        ; implicit-def: $vgpr15
	s_or_saveexec_b32 s10, s10
	v_bfrev_b32_e32 v14, 1
	s_xor_b32 exec_lo, exec_lo, s10
	s_cbranch_execnz .LBB4_3729
.LBB4_3727:                             ;   in Loop: Header=BB4_3403 Depth=2
	s_or_b32 exec_lo, exec_lo, s10
	s_and_saveexec_b32 s10, s11
	s_cbranch_execnz .LBB4_3730
	s_branch .LBB4_3733
.LBB4_3728:                             ;   in Loop: Header=BB4_3403 Depth=2
	s_or_saveexec_b32 s10, s10
	v_bfrev_b32_e32 v14, 1
	s_xor_b32 exec_lo, exec_lo, s10
	s_cbranch_execz .LBB4_3727
.LBB4_3729:                             ;   in Loop: Header=BB4_3403 Depth=2
	v_cmp_ne_u16_e64 s7, 0, v15
	v_mov_b32_e32 v14, 0
	s_and_not1_b32 s11, s11, exec_lo
	s_and_b32 s7, s7, exec_lo
	s_delay_alu instid0(SALU_CYCLE_1)
	s_or_b32 s11, s11, s7
	s_or_b32 exec_lo, exec_lo, s10
	s_and_saveexec_b32 s10, s11
	s_cbranch_execz .LBB4_3733
.LBB4_3730:                             ;   in Loop: Header=BB4_3403 Depth=2
	v_and_b32_e32 v15, 0x7f, v10
	v_mov_b32_e32 v14, 0x7f800001
	s_mov_b32 s11, exec_lo
	s_delay_alu instid0(VALU_DEP_2)
	v_cmpx_ne_u32_e32 0x7f, v15
	s_cbranch_execz .LBB4_3732
; %bb.3731:                             ;   in Loop: Header=BB4_3403 Depth=2
	v_and_b32_e32 v14, 7, v10
	v_cmp_gt_u32_e64 s7, 8, v15
	s_delay_alu instid0(VALU_DEP_2) | instskip(NEXT) | instid1(VALU_DEP_1)
	v_clz_i32_u32_e32 v24, v14
	v_min_u32_e32 v54, 32, v24
	s_delay_alu instid0(VALU_DEP_1) | instskip(NEXT) | instid1(VALU_DEP_1)
	v_subrev_nc_u32_e32 v24, 28, v54
	v_lshlrev_b64_e32 v[24:25], v24, v[10:11]
	v_dual_lshrrev_b32 v25, 3, v15 :: v_dual_sub_nc_u32 v54, 29, v54
	s_delay_alu instid0(VALU_DEP_2) | instskip(NEXT) | instid1(VALU_DEP_1)
	v_dual_lshlrev_b32 v10, 24, v10 :: v_dual_bitop2_b32 v15, 7, v24 bitop3:0x40
	v_dual_cndmask_b32 v24, v25, v54, s7 :: v_dual_cndmask_b32 v14, v14, v15, s7
	s_delay_alu instid0(VALU_DEP_2) | instskip(NEXT) | instid1(VALU_DEP_2)
	v_and_b32_e32 v10, 0x80000000, v10
	v_lshl_add_u32 v15, v24, 23, 0x3c000000
	s_delay_alu instid0(VALU_DEP_3) | instskip(NEXT) | instid1(VALU_DEP_1)
	v_lshlrev_b32_e32 v14, 20, v14
	v_or3_b32 v14, v14, v10, v15
.LBB4_3732:                             ;   in Loop: Header=BB4_3403 Depth=2
	s_or_b32 exec_lo, exec_lo, s11
.LBB4_3733:                             ;   in Loop: Header=BB4_3403 Depth=2
	s_delay_alu instid0(SALU_CYCLE_1) | instskip(NEXT) | instid1(VALU_DEP_1)
	s_or_b32 exec_lo, exec_lo, s10
	v_mul_f32_e32 v10, v11, v14
                                        ; implicit-def: $vgpr44
	s_mov_b32 s10, exec_lo
	s_delay_alu instid0(VALU_DEP_1) | instskip(SKIP_1) | instid1(VALU_DEP_2)
	v_and_b32_e32 v54, 0x7f800000, v10
	v_lshrrev_b32_e32 v11, 24, v10
	v_cmpx_ne_u64_e32 0x7f800000, v[54:55]
	s_xor_b32 s11, exec_lo, s10
	s_cbranch_execz .LBB4_3747
; %bb.3734:                             ;   in Loop: Header=BB4_3403 Depth=2
	v_and_b32_e32 v54, 0x7fffffff, v10
	v_and_b32_e32 v24, 0x80, v11
                                        ; implicit-def: $vgpr44
	s_mov_b32 s10, exec_lo
	s_delay_alu instid0(VALU_DEP_2)
	v_cmpx_gt_u64_e32 0x43e00001, v[54:55]
	s_xor_b32 s29, exec_lo, s10
	s_cbranch_execz .LBB4_3744
; %bb.3735:                             ;   in Loop: Header=BB4_3403 Depth=2
	v_mov_b32_e32 v44, 0
	s_mov_b32 s40, exec_lo
	v_cmpx_ne_u32_e32 0, v10
	s_cbranch_execz .LBB4_3743
; %bb.3736:                             ;   in Loop: Header=BB4_3403 Depth=2
	v_bfe_u32 v25, v10, 23, 8
	v_and_b32_e32 v14, 0x7fffff, v10
	s_delay_alu instid0(VALU_DEP_2) | instskip(SKIP_1) | instid1(VALU_DEP_3)
	v_sub_nc_u32_e32 v11, 0x79, v25
	v_cmp_gt_u32_e64 s7, 0x7a, v25
	v_or_b32_e32 v15, 0x800000, v14
	s_delay_alu instid0(VALU_DEP_2) | instskip(SKIP_1) | instid1(VALU_DEP_1)
	v_cndmask_b32_e64 v11, 0, v11, s7
	v_cmp_eq_u32_e64 s7, 0, v25
	v_cndmask_b32_e64 v44, v11, 0x78, s7
	s_delay_alu instid0(VALU_DEP_1) | instskip(SKIP_1) | instid1(VALU_DEP_2)
	v_dual_cndmask_b32 v54, v15, v14, s7 :: v_dual_add_nc_u32 v45, 19, v44
	v_add_nc_u32_e32 v10, 20, v44
	v_lshlrev_b64_e64 v[14:15], v45, 1
	s_delay_alu instid0(VALU_DEP_2) | instskip(NEXT) | instid1(VALU_DEP_1)
	v_lshlrev_b64_e64 v[10:11], v10, -1
	v_bfi_b32 v47, v11, 0, 0
	s_delay_alu instid0(VALU_DEP_2) | instskip(SKIP_1) | instid1(VALU_DEP_2)
	v_bfi_b32 v46, v10, 0, v54
	v_lshrrev_b64 v[10:11], v44, v[54:55]
	v_cmp_eq_u64_e64 s10, v[46:47], v[14:15]
	s_delay_alu instid0(VALU_DEP_2)
	v_mov_b64_e32 v[14:15], v[10:11]
	s_and_saveexec_b32 s41, s10
; %bb.3737:                             ;   in Loop: Header=BB4_3403 Depth=2
	v_bfe_u32 v54, v10, 20, 1
	s_delay_alu instid0(VALU_DEP_1) | instskip(NEXT) | instid1(VALU_DEP_1)
	v_add_nc_u64_e32 v[14:15], v[10:11], v[54:55]
	v_add_nc_u64_e32 v[14:15], -1, v[14:15]
; %bb.3738:                             ;   in Loop: Header=BB4_3403 Depth=2
	s_or_b32 exec_lo, exec_lo, s41
	v_add_nc_u32_e32 v11, 0xffffff81, v25
	v_lshrrev_b32_e32 v15, 23, v10
	s_mov_b32 s10, exec_lo
	s_delay_alu instid0(VALU_DEP_2) | instskip(NEXT) | instid1(VALU_DEP_1)
	v_cndmask_b32_e64 v11, v11, 0xffffff82, s7
	v_add3_u32 v15, v44, v11, v15
	v_and_b32_e32 v11, 0xfffff, v14
                                        ; implicit-def: $vgpr14
	s_delay_alu instid0(VALU_DEP_1) | instskip(NEXT) | instid1(VALU_DEP_1)
	v_dual_add_nc_u32 v25, 6, v15 :: v_dual_add_nc_u32 v54, v11, v10
                                        ; implicit-def: $vgpr10_vgpr11
	v_cmpx_ne_u32_e32 0, v25
	s_xor_b32 s10, exec_lo, s10
; %bb.3739:                             ;   in Loop: Header=BB4_3403 Depth=2
	s_delay_alu instid0(VALU_DEP_2) | instskip(SKIP_1) | instid1(VALU_DEP_1)
	v_cmp_lt_u64_e64 s7, 0xffffff, v[54:55]
	v_add_nc_u32_e32 v10, 7, v15
	v_cndmask_b32_e64 v14, v25, v10, s7
	v_cndmask_b32_e64 v10, 0, 1, s7
	s_delay_alu instid0(VALU_DEP_1)
	v_lshrrev_b64 v[10:11], v10, v[54:55]
; %bb.3740:                             ;   in Loop: Header=BB4_3403 Depth=2
	s_and_not1_saveexec_b32 s7, s10
; %bb.3741:                             ;   in Loop: Header=BB4_3403 Depth=2
	v_mov_b64_e32 v[10:11], v[54:55]
	v_bfe_u32 v14, v54, 23, 1
; %bb.3742:                             ;   in Loop: Header=BB4_3403 Depth=2
	s_or_b32 exec_lo, exec_lo, s7
	s_delay_alu instid0(VALU_DEP_2) | instskip(NEXT) | instid1(VALU_DEP_2)
	v_lshrrev_b64 v[10:11], 20, v[10:11]
	v_cmp_gt_i32_e64 s7, 16, v14
	v_min_i32_e32 v15, 15, v14
	v_cmp_eq_u32_e64 s10, 0, v14
	s_delay_alu instid0(VALU_DEP_3) | instskip(NEXT) | instid1(VALU_DEP_3)
	v_cndmask_b32_e64 v11, 0, v11, s7
	v_dual_lshlrev_b32 v15, 3, v15 :: v_dual_cndmask_b32 v10, 7, v10, s7
	s_delay_alu instid0(VALU_DEP_1) | instskip(NEXT) | instid1(VALU_DEP_2)
	v_and_b32_e32 v15, 0xf8, v15
	v_cmp_eq_u64_e64 s7, 0, v[10:11]
	s_delay_alu instid0(VALU_DEP_2)
	v_and_or_b32 v10, v10, 7, v15
	s_and_b32 s7, s10, s7
	s_delay_alu instid0(VALU_DEP_1) | instid1(SALU_CYCLE_1)
	v_cndmask_b32_e64 v10, v10, 0, s7
	s_delay_alu instid0(VALU_DEP_1)
	v_or_b32_e32 v44, v10, v24
.LBB4_3743:                             ;   in Loop: Header=BB4_3403 Depth=2
	s_or_b32 exec_lo, exec_lo, s40
                                        ; implicit-def: $vgpr24
.LBB4_3744:                             ;   in Loop: Header=BB4_3403 Depth=2
	s_and_not1_saveexec_b32 s7, s29
; %bb.3745:                             ;   in Loop: Header=BB4_3403 Depth=2
	v_or_b32_e32 v44, 0x7e, v24
; %bb.3746:                             ;   in Loop: Header=BB4_3403 Depth=2
	s_or_b32 exec_lo, exec_lo, s7
                                        ; implicit-def: $vgpr11
.LBB4_3747:                             ;   in Loop: Header=BB4_3403 Depth=2
	s_and_not1_saveexec_b32 s7, s11
; %bb.3748:                             ;   in Loop: Header=BB4_3403 Depth=2
	v_or_b32_e32 v44, 0x7f, v11
; %bb.3749:                             ;   in Loop: Header=BB4_3403 Depth=2
	s_or_b32 exec_lo, exec_lo, s7
	v_mov_b32_e32 v11, 0
	s_mov_b32 s10, exec_lo
	v_cmpx_lt_u32_e32 0xffffff, v16
	s_cbranch_execz .LBB4_3757
; %bb.3750:                             ;   in Loop: Header=BB4_3403 Depth=2
	v_lshrrev_b32_e32 v10, 24, v16
	v_bfrev_b32_e32 v11, 1
	s_mov_b32 s11, exec_lo
	s_delay_alu instid0(VALU_DEP_2)
	v_cmpx_ne_u32_e32 0x80, v10
	s_cbranch_execz .LBB4_3756
; %bb.3751:                             ;   in Loop: Header=BB4_3403 Depth=2
	v_bfe_u32 v14, v16, 24, 7
	v_mov_b32_e32 v11, 0x7f800001
	s_mov_b32 s29, exec_lo
	s_delay_alu instid0(VALU_DEP_2)
	v_cmpx_ne_u32_e32 0x7f, v14
	s_cbranch_execz .LBB4_3755
; %bb.3752:                             ;   in Loop: Header=BB4_3403 Depth=2
	v_and_b32_e32 v54, 7, v10
	v_lshrrev_b32_e32 v11, 3, v14
	s_mov_b32 s40, exec_lo
	v_cmpx_gt_u32_e32 8, v14
; %bb.3753:                             ;   in Loop: Header=BB4_3403 Depth=2
	s_delay_alu instid0(VALU_DEP_3) | instskip(NEXT) | instid1(VALU_DEP_1)
	v_clz_i32_u32_e32 v11, v54
	v_min_u32_e32 v11, 32, v11
	s_delay_alu instid0(VALU_DEP_1) | instskip(NEXT) | instid1(VALU_DEP_1)
	v_subrev_nc_u32_e32 v14, 28, v11
	v_lshlrev_b64_e32 v[14:15], v14, v[54:55]
	s_delay_alu instid0(VALU_DEP_1)
	v_dual_sub_nc_u32 v11, 29, v11 :: v_dual_bitop2_b32 v54, 7, v14 bitop3:0x40
; %bb.3754:                             ;   in Loop: Header=BB4_3403 Depth=2
	s_or_b32 exec_lo, exec_lo, s40
	v_lshlrev_b32_e32 v10, 24, v10
	s_delay_alu instid0(VALU_DEP_2) | instskip(NEXT) | instid1(VALU_DEP_3)
	v_lshlrev_b32_e32 v14, 20, v54
	v_lshl_add_u32 v11, v11, 23, 0x3c000000
	s_delay_alu instid0(VALU_DEP_3) | instskip(NEXT) | instid1(VALU_DEP_1)
	v_and_b32_e32 v10, 0x80000000, v10
	v_or3_b32 v11, v14, v10, v11
.LBB4_3755:                             ;   in Loop: Header=BB4_3403 Depth=2
	s_or_b32 exec_lo, exec_lo, s29
.LBB4_3756:                             ;   in Loop: Header=BB4_3403 Depth=2
	s_delay_alu instid0(SALU_CYCLE_1)
	s_or_b32 exec_lo, exec_lo, s11
.LBB4_3757:                             ;   in Loop: Header=BB4_3403 Depth=2
	s_delay_alu instid0(SALU_CYCLE_1) | instskip(SKIP_3) | instid1(VALU_DEP_3)
	s_or_b32 exec_lo, exec_lo, s10
	v_lshrrev_b32_e32 v10, 24, v12
	v_bfe_u32 v14, v12, 24, 7
	v_cmp_gt_u32_e64 s11, 0x1000000, v12
	v_cmp_eq_u32_e64 s7, 0x80, v10
	s_delay_alu instid0(VALU_DEP_3) | instskip(NEXT) | instid1(VALU_DEP_2)
	v_cmp_eq_u32_e64 s10, 0x7f, v14
	v_cndmask_b32_e64 v15, 0x7f800001, v117, s7
	s_or_b32 s7, s7, s10
	s_delay_alu instid0(SALU_CYCLE_1) | instskip(NEXT) | instid1(VALU_DEP_1)
	s_nor_b32 s7, s11, s7
	v_cndmask_b32_e64 v15, v15, 0, s11
	s_and_saveexec_b32 s10, s7
	s_cbranch_execz .LBB4_3759
; %bb.3758:                             ;   in Loop: Header=BB4_3403 Depth=2
	v_and_b32_e32 v15, 7, v10
	v_cmp_gt_u32_e64 s7, 8, v14
	s_delay_alu instid0(VALU_DEP_2) | instskip(NEXT) | instid1(VALU_DEP_1)
	v_clz_i32_u32_e32 v24, v15
	v_min_u32_e32 v54, 32, v24
	s_delay_alu instid0(VALU_DEP_1) | instskip(SKIP_1) | instid1(VALU_DEP_2)
	v_subrev_nc_u32_e32 v24, 28, v54
	v_sub_nc_u32_e32 v54, 29, v54
	v_lshlrev_b64_e32 v[24:25], v24, v[10:11]
	v_lshrrev_b32_e32 v25, 3, v14
	v_lshlrev_b32_e32 v10, 24, v10
	s_delay_alu instid0(VALU_DEP_1) | instskip(NEXT) | instid1(VALU_DEP_3)
	v_and_b32_e32 v10, 0x80000000, v10
	v_dual_cndmask_b32 v24, v25, v54, s7 :: v_dual_bitop2_b32 v14, 7, v24 bitop3:0x40
	s_delay_alu instid0(VALU_DEP_1) | instskip(NEXT) | instid1(VALU_DEP_2)
	v_cndmask_b32_e64 v14, v15, v14, s7
	v_lshl_add_u32 v15, v24, 23, 0x3c000000
	s_delay_alu instid0(VALU_DEP_2) | instskip(NEXT) | instid1(VALU_DEP_1)
	v_lshlrev_b32_e32 v14, 20, v14
	v_or3_b32 v15, v14, v10, v15
.LBB4_3759:                             ;   in Loop: Header=BB4_3403 Depth=2
	s_or_b32 exec_lo, exec_lo, s10
	s_delay_alu instid0(VALU_DEP_1) | instskip(SKIP_1) | instid1(VALU_DEP_1)
	v_mul_f32_e32 v10, v11, v15
                                        ; implicit-def: $vgpr45
	s_mov_b32 s10, exec_lo
	v_and_b32_e32 v54, 0x7f800000, v10
	v_lshrrev_b32_e32 v11, 24, v10
	s_delay_alu instid0(VALU_DEP_2)
	v_cmpx_ne_u64_e32 0x7f800000, v[54:55]
	s_xor_b32 s11, exec_lo, s10
	s_cbranch_execz .LBB4_3773
; %bb.3760:                             ;   in Loop: Header=BB4_3403 Depth=2
	v_and_b32_e32 v54, 0x7fffffff, v10
	v_and_b32_e32 v24, 0x80, v11
                                        ; implicit-def: $vgpr45
	s_mov_b32 s10, exec_lo
	s_delay_alu instid0(VALU_DEP_2)
	v_cmpx_gt_u64_e32 0x43e00001, v[54:55]
	s_xor_b32 s29, exec_lo, s10
	s_cbranch_execz .LBB4_3770
; %bb.3761:                             ;   in Loop: Header=BB4_3403 Depth=2
	v_mov_b32_e32 v45, 0
	s_mov_b32 s40, exec_lo
	v_cmpx_ne_u32_e32 0, v10
	s_cbranch_execz .LBB4_3769
; %bb.3762:                             ;   in Loop: Header=BB4_3403 Depth=2
	v_bfe_u32 v25, v10, 23, 8
	v_and_b32_e32 v14, 0x7fffff, v10
	s_delay_alu instid0(VALU_DEP_2) | instskip(SKIP_1) | instid1(VALU_DEP_3)
	v_sub_nc_u32_e32 v11, 0x79, v25
	v_cmp_gt_u32_e64 s7, 0x7a, v25
	v_or_b32_e32 v15, 0x800000, v14
	s_delay_alu instid0(VALU_DEP_2) | instskip(SKIP_1) | instid1(VALU_DEP_1)
	v_cndmask_b32_e64 v11, 0, v11, s7
	v_cmp_eq_u32_e64 s7, 0, v25
	v_cndmask_b32_e64 v45, v11, 0x78, s7
	s_delay_alu instid0(VALU_DEP_1) | instskip(SKIP_1) | instid1(VALU_DEP_2)
	v_dual_cndmask_b32 v54, v15, v14, s7 :: v_dual_add_nc_u32 v46, 19, v45
	v_add_nc_u32_e32 v10, 20, v45
	v_lshlrev_b64_e64 v[14:15], v46, 1
	s_delay_alu instid0(VALU_DEP_2) | instskip(NEXT) | instid1(VALU_DEP_1)
	v_lshlrev_b64_e64 v[10:11], v10, -1
	v_bfi_b32 v47, v11, 0, 0
	s_delay_alu instid0(VALU_DEP_2) | instskip(SKIP_1) | instid1(VALU_DEP_2)
	v_bfi_b32 v46, v10, 0, v54
	v_lshrrev_b64 v[10:11], v45, v[54:55]
	v_cmp_eq_u64_e64 s10, v[46:47], v[14:15]
	s_delay_alu instid0(VALU_DEP_2)
	v_mov_b64_e32 v[14:15], v[10:11]
	s_and_saveexec_b32 s41, s10
; %bb.3763:                             ;   in Loop: Header=BB4_3403 Depth=2
	v_bfe_u32 v54, v10, 20, 1
	s_delay_alu instid0(VALU_DEP_1) | instskip(NEXT) | instid1(VALU_DEP_1)
	v_add_nc_u64_e32 v[14:15], v[10:11], v[54:55]
	v_add_nc_u64_e32 v[14:15], -1, v[14:15]
; %bb.3764:                             ;   in Loop: Header=BB4_3403 Depth=2
	s_or_b32 exec_lo, exec_lo, s41
	v_add_nc_u32_e32 v11, 0xffffff81, v25
	v_lshrrev_b32_e32 v15, 23, v10
	s_mov_b32 s10, exec_lo
	s_delay_alu instid0(VALU_DEP_2) | instskip(NEXT) | instid1(VALU_DEP_1)
	v_cndmask_b32_e64 v11, v11, 0xffffff82, s7
	v_add3_u32 v15, v45, v11, v15
	v_and_b32_e32 v11, 0xfffff, v14
                                        ; implicit-def: $vgpr14
	s_delay_alu instid0(VALU_DEP_1) | instskip(NEXT) | instid1(VALU_DEP_1)
	v_dual_add_nc_u32 v25, 6, v15 :: v_dual_add_nc_u32 v54, v11, v10
                                        ; implicit-def: $vgpr10_vgpr11
	v_cmpx_ne_u32_e32 0, v25
	s_xor_b32 s10, exec_lo, s10
; %bb.3765:                             ;   in Loop: Header=BB4_3403 Depth=2
	s_delay_alu instid0(VALU_DEP_2) | instskip(SKIP_1) | instid1(VALU_DEP_1)
	v_cmp_lt_u64_e64 s7, 0xffffff, v[54:55]
	v_add_nc_u32_e32 v10, 7, v15
	v_cndmask_b32_e64 v14, v25, v10, s7
	v_cndmask_b32_e64 v10, 0, 1, s7
	s_delay_alu instid0(VALU_DEP_1)
	v_lshrrev_b64 v[10:11], v10, v[54:55]
; %bb.3766:                             ;   in Loop: Header=BB4_3403 Depth=2
	s_and_not1_saveexec_b32 s7, s10
; %bb.3767:                             ;   in Loop: Header=BB4_3403 Depth=2
	v_mov_b64_e32 v[10:11], v[54:55]
	v_bfe_u32 v14, v54, 23, 1
; %bb.3768:                             ;   in Loop: Header=BB4_3403 Depth=2
	s_or_b32 exec_lo, exec_lo, s7
	s_delay_alu instid0(VALU_DEP_2) | instskip(NEXT) | instid1(VALU_DEP_2)
	v_lshrrev_b64 v[10:11], 20, v[10:11]
	v_cmp_gt_i32_e64 s7, 16, v14
	v_min_i32_e32 v15, 15, v14
	v_cmp_eq_u32_e64 s10, 0, v14
	s_delay_alu instid0(VALU_DEP_3) | instskip(NEXT) | instid1(VALU_DEP_3)
	v_cndmask_b32_e64 v11, 0, v11, s7
	v_dual_lshlrev_b32 v15, 3, v15 :: v_dual_cndmask_b32 v10, 7, v10, s7
	s_delay_alu instid0(VALU_DEP_1) | instskip(NEXT) | instid1(VALU_DEP_2)
	v_and_b32_e32 v15, 0xf8, v15
	v_cmp_eq_u64_e64 s7, 0, v[10:11]
	s_delay_alu instid0(VALU_DEP_2)
	v_and_or_b32 v10, v10, 7, v15
	s_and_b32 s7, s10, s7
	s_delay_alu instid0(VALU_DEP_1) | instid1(SALU_CYCLE_1)
	v_cndmask_b32_e64 v10, v10, 0, s7
	s_delay_alu instid0(VALU_DEP_1)
	v_or_b32_e32 v45, v10, v24
.LBB4_3769:                             ;   in Loop: Header=BB4_3403 Depth=2
	s_or_b32 exec_lo, exec_lo, s40
                                        ; implicit-def: $vgpr24
.LBB4_3770:                             ;   in Loop: Header=BB4_3403 Depth=2
	s_and_not1_saveexec_b32 s7, s29
; %bb.3771:                             ;   in Loop: Header=BB4_3403 Depth=2
	v_or_b32_e32 v45, 0x7e, v24
; %bb.3772:                             ;   in Loop: Header=BB4_3403 Depth=2
	s_or_b32 exec_lo, exec_lo, s7
                                        ; implicit-def: $vgpr11
.LBB4_3773:                             ;   in Loop: Header=BB4_3403 Depth=2
	s_and_not1_saveexec_b32 s7, s11
; %bb.3774:                             ;   in Loop: Header=BB4_3403 Depth=2
	v_or_b32_e32 v45, 0x7f, v11
; %bb.3775:                             ;   in Loop: Header=BB4_3403 Depth=2
	s_or_b32 exec_lo, exec_lo, s7
	v_and_b32_e32 v10, 0xff, v17
	v_dual_mov_b32 v54, v17 :: v_dual_mov_b32 v14, 0
	s_mov_b32 s10, exec_lo
	s_delay_alu instid0(VALU_DEP_2)
	v_cmpx_ne_u16_e32 0, v10
	s_cbranch_execz .LBB4_3781
; %bb.3776:                             ;   in Loop: Header=BB4_3403 Depth=2
	v_bfrev_b32_e32 v14, 1
	s_mov_b32 s11, exec_lo
	v_cmpx_ne_u16_e32 0x80, v10
	s_cbranch_execz .LBB4_3780
; %bb.3777:                             ;   in Loop: Header=BB4_3403 Depth=2
	v_and_b32_e32 v10, 0x7f, v17
	v_mov_b32_e32 v14, 0x7f800001
	s_mov_b32 s29, exec_lo
	s_delay_alu instid0(VALU_DEP_2)
	v_cmpx_ne_u32_e32 0x7f, v10
	s_cbranch_execz .LBB4_3779
; %bb.3778:                             ;   in Loop: Header=BB4_3403 Depth=2
	v_dual_lshrrev_b32 v14, 3, v10 :: v_dual_bitop2_b32 v11, 7, v17 bitop3:0x40
	v_cmp_gt_u32_e64 s7, 8, v10
	s_delay_alu instid0(VALU_DEP_2) | instskip(NEXT) | instid1(VALU_DEP_1)
	v_clz_i32_u32_e32 v11, v11
	v_min_u32_e32 v11, 32, v11
	s_delay_alu instid0(VALU_DEP_1) | instskip(SKIP_1) | instid1(VALU_DEP_2)
	v_subrev_nc_u32_e32 v15, 28, v11
	v_sub_nc_u32_e32 v11, 29, v11
	v_cndmask_b32_e64 v10, 0, v15, s7
	s_delay_alu instid0(VALU_DEP_2) | instskip(NEXT) | instid1(VALU_DEP_2)
	v_cndmask_b32_e64 v14, v14, v11, s7
	v_lshlrev_b64_e32 v[10:11], v10, v[54:55]
	v_lshlrev_b32_e32 v11, 24, v54
	s_delay_alu instid0(VALU_DEP_3) | instskip(NEXT) | instid1(VALU_DEP_2)
	v_lshl_add_u32 v14, v14, 23, 0x3c000000
	v_and_b32_e32 v11, 0x80000000, v11
	s_delay_alu instid0(VALU_DEP_4) | instskip(NEXT) | instid1(VALU_DEP_1)
	v_lshlrev_b32_e32 v10, 20, v10
	v_and_b32_e32 v10, 0x700000, v10
	s_delay_alu instid0(VALU_DEP_1)
	v_or3_b32 v14, v10, v11, v14
.LBB4_3779:                             ;   in Loop: Header=BB4_3403 Depth=2
	s_or_b32 exec_lo, exec_lo, s29
.LBB4_3780:                             ;   in Loop: Header=BB4_3403 Depth=2
	s_delay_alu instid0(SALU_CYCLE_1)
	s_or_b32 exec_lo, exec_lo, s11
.LBB4_3781:                             ;   in Loop: Header=BB4_3403 Depth=2
	s_delay_alu instid0(SALU_CYCLE_1) | instskip(SKIP_4) | instid1(VALU_DEP_2)
	s_or_b32 exec_lo, exec_lo, s10
	v_and_b32_e32 v11, 0xff, v13
	v_mov_b32_e32 v10, v13
	s_mov_b32 s10, 0
	s_mov_b32 s11, exec_lo
	v_cmpx_lt_i16_e32 0x7f, v11
	s_xor_b32 s11, exec_lo, s11
	s_cbranch_execz .LBB4_3816
; %bb.3782:                             ;   in Loop: Header=BB4_3403 Depth=2
	s_mov_b32 s10, -1
	s_mov_b32 s29, exec_lo
	v_cmpx_eq_u16_e32 0x80, v11
; %bb.3783:                             ;   in Loop: Header=BB4_3403 Depth=2
	s_xor_b32 s10, exec_lo, -1
; %bb.3784:                             ;   in Loop: Header=BB4_3403 Depth=2
	s_or_b32 exec_lo, exec_lo, s29
	s_delay_alu instid0(SALU_CYCLE_1)
	s_and_b32 s10, s10, exec_lo
                                        ; implicit-def: $vgpr11
	s_or_saveexec_b32 s11, s11
	v_bfrev_b32_e32 v15, 1
	s_xor_b32 exec_lo, exec_lo, s11
	s_cbranch_execnz .LBB4_3817
.LBB4_3785:                             ;   in Loop: Header=BB4_3403 Depth=2
	s_or_b32 exec_lo, exec_lo, s11
	v_mov_b32_e32 v11, v55
	s_and_saveexec_b32 s11, s10
	s_cbranch_execz .LBB4_3787
.LBB4_3786:                             ;   in Loop: Header=BB4_3403 Depth=2
	v_and_b32_e32 v15, 7, v13
	v_and_b32_e32 v46, 0x7f, v13
	v_bfe_u32 v24, v13, 3, 4
	s_delay_alu instid0(VALU_DEP_3) | instskip(NEXT) | instid1(VALU_DEP_3)
	v_clz_i32_u32_e32 v15, v15
	v_cmp_gt_u32_e64 s7, 8, v46
	s_delay_alu instid0(VALU_DEP_2) | instskip(NEXT) | instid1(VALU_DEP_1)
	v_min_u32_e32 v15, 32, v15
	v_subrev_nc_u32_e32 v25, 28, v15
	v_sub_nc_u32_e32 v15, 29, v15
	s_delay_alu instid0(VALU_DEP_1) | instskip(SKIP_1) | instid1(VALU_DEP_2)
	v_dual_cndmask_b32 v15, v24, v15, s7 :: v_dual_cndmask_b32 v24, 0, v25, s7
	v_cmp_ne_u32_e64 s7, 0x7f, v46
	v_lshlrev_b64_e32 v[24:25], v24, v[10:11]
	v_lshlrev_b32_e32 v11, 24, v10
	s_delay_alu instid0(VALU_DEP_1) | instskip(NEXT) | instid1(VALU_DEP_3)
	v_and_b32_e32 v11, 0x80000000, v11
	v_lshlrev_b32_e32 v24, 20, v24
	v_lshl_add_u32 v15, v15, 23, 0x3c000000
	s_delay_alu instid0(VALU_DEP_2) | instskip(NEXT) | instid1(VALU_DEP_1)
	v_and_b32_e32 v24, 0x700000, v24
	v_or3_b32 v11, v24, v11, v15
	s_delay_alu instid0(VALU_DEP_1)
	v_cndmask_b32_e64 v15, 0x7f800001, v11, s7
.LBB4_3787:                             ;   in Loop: Header=BB4_3403 Depth=2
	s_or_b32 exec_lo, exec_lo, s11
	s_delay_alu instid0(VALU_DEP_1) | instskip(NEXT) | instid1(VALU_DEP_1)
	v_dual_mul_f32 v14, v14, v15 :: v_dual_mov_b32 v25, v55
	v_and_b32_e32 v24, 0x7f800000, v14
	v_lshrrev_b32_e32 v11, 24, v14
	s_delay_alu instid0(VALU_DEP_2) | instskip(SKIP_1) | instid1(SALU_CYCLE_1)
	v_cmp_ne_u64_e64 s7, 0x7f800000, v[24:25]
                                        ; implicit-def: $vgpr24
	s_and_saveexec_b32 s10, s7
	s_xor_b32 s11, exec_lo, s10
	s_cbranch_execz .LBB4_3801
; %bb.3788:                             ;   in Loop: Header=BB4_3403 Depth=2
	v_and_b32_e32 v24, 0x7fffffff, v14
	v_mov_b32_e32 v25, v55
	v_and_b32_e32 v11, 0x80, v11
	s_delay_alu instid0(VALU_DEP_2) | instskip(SKIP_1) | instid1(SALU_CYCLE_1)
	v_cmp_gt_u64_e64 s7, 0x43e00001, v[24:25]
                                        ; implicit-def: $vgpr24
	s_and_saveexec_b32 s10, s7
	s_xor_b32 s29, exec_lo, s10
	s_cbranch_execz .LBB4_3798
; %bb.3789:                             ;   in Loop: Header=BB4_3403 Depth=2
	v_mov_b32_e32 v24, 0
	s_mov_b32 s40, exec_lo
	v_cmpx_ne_u32_e32 0, v14
	s_cbranch_execz .LBB4_3797
; %bb.3790:                             ;   in Loop: Header=BB4_3403 Depth=2
	v_bfe_u32 v46, v14, 23, 8
	v_and_b32_e32 v24, 0x7fffff, v14
	s_mov_b32 s41, exec_lo
	s_delay_alu instid0(VALU_DEP_2) | instskip(SKIP_1) | instid1(VALU_DEP_3)
	v_sub_nc_u32_e32 v15, 0x79, v46
	v_cmp_gt_u32_e64 s7, 0x7a, v46
	v_or_b32_e32 v25, 0x800000, v24
	s_delay_alu instid0(VALU_DEP_2) | instskip(SKIP_1) | instid1(VALU_DEP_1)
	v_cndmask_b32_e64 v15, 0, v15, s7
	v_cmp_eq_u32_e64 s7, 0, v46
	v_cndmask_b32_e64 v24, v25, v24, s7
	s_delay_alu instid0(VALU_DEP_3) | instskip(NEXT) | instid1(VALU_DEP_1)
	v_cndmask_b32_e64 v47, v15, 0x78, s7
	v_dual_mov_b32 v25, v55 :: v_dual_add_nc_u32 v14, 20, v47
	v_add_nc_u32_e32 v56, 19, v47
	s_delay_alu instid0(VALU_DEP_2) | instskip(NEXT) | instid1(VALU_DEP_2)
	v_lshlrev_b64_e64 v[14:15], v14, -1
	v_lshlrev_b64_e64 v[56:57], v56, 1
	s_delay_alu instid0(VALU_DEP_2) | instskip(NEXT) | instid1(VALU_DEP_3)
	v_bfi_b32 v59, v15, 0, 0
	v_bfi_b32 v58, v14, 0, v24
	v_lshrrev_b64 v[14:15], v47, v[24:25]
	s_delay_alu instid0(VALU_DEP_1) | instskip(NEXT) | instid1(VALU_DEP_3)
	v_mov_b64_e32 v[24:25], v[14:15]
	v_cmpx_eq_u64_e64 v[58:59], v[56:57]
; %bb.3791:                             ;   in Loop: Header=BB4_3403 Depth=2
	v_bfe_u32 v24, v14, 20, 1
	v_mov_b32_e32 v25, v55
	s_delay_alu instid0(VALU_DEP_1) | instskip(NEXT) | instid1(VALU_DEP_1)
	v_add_nc_u64_e32 v[24:25], v[14:15], v[24:25]
	v_add_nc_u64_e32 v[24:25], -1, v[24:25]
; %bb.3792:                             ;   in Loop: Header=BB4_3403 Depth=2
	s_or_b32 exec_lo, exec_lo, s41
	v_add_nc_u32_e32 v15, 0xffffff81, v46
	v_lshrrev_b32_e32 v25, 23, v14
	s_mov_b32 s10, exec_lo
	s_delay_alu instid0(VALU_DEP_2) | instskip(NEXT) | instid1(VALU_DEP_1)
	v_cndmask_b32_e64 v15, v15, 0xffffff82, s7
	v_add3_u32 v25, v47, v15, v25
	v_and_b32_e32 v15, 0xfffff, v24
                                        ; implicit-def: $vgpr24
	s_delay_alu instid0(VALU_DEP_1) | instskip(SKIP_1) | instid1(VALU_DEP_2)
	v_dual_add_nc_u32 v46, 6, v25 :: v_dual_add_nc_u32 v14, v15, v14
	v_mov_b32_e32 v15, v55
	v_cmpx_ne_u32_e32 0, v46
	s_xor_b32 s10, exec_lo, s10
; %bb.3793:                             ;   in Loop: Header=BB4_3403 Depth=2
	s_delay_alu instid0(VALU_DEP_2) | instskip(SKIP_1) | instid1(VALU_DEP_2)
	v_cmp_lt_u64_e64 s7, 0xffffff, v[14:15]
	v_add_nc_u32_e32 v24, 7, v25
	v_cndmask_b32_e64 v25, 0, 1, s7
	s_delay_alu instid0(VALU_DEP_2) | instskip(NEXT) | instid1(VALU_DEP_2)
	v_cndmask_b32_e64 v24, v46, v24, s7
	v_lshrrev_b64 v[14:15], v25, v[14:15]
; %bb.3794:                             ;   in Loop: Header=BB4_3403 Depth=2
	s_and_not1_saveexec_b32 s7, s10
; %bb.3795:                             ;   in Loop: Header=BB4_3403 Depth=2
	s_delay_alu instid0(VALU_DEP_1)
	v_bfe_u32 v24, v14, 23, 1
; %bb.3796:                             ;   in Loop: Header=BB4_3403 Depth=2
	s_or_b32 exec_lo, exec_lo, s7
	s_delay_alu instid0(VALU_DEP_2) | instskip(NEXT) | instid1(VALU_DEP_2)
	v_lshrrev_b64 v[14:15], 20, v[14:15]
	v_cmp_gt_i32_e64 s7, 16, v24
	v_min_i32_e32 v25, 15, v24
	v_cmp_eq_u32_e64 s10, 0, v24
	s_delay_alu instid0(VALU_DEP_2) | instskip(SKIP_1) | instid1(VALU_DEP_2)
	v_dual_cndmask_b32 v15, 0, v15, s7 :: v_dual_lshlrev_b32 v25, 3, v25
	v_cndmask_b32_e64 v14, 7, v14, s7
	v_and_b32_e32 v25, 0xf8, v25
	s_delay_alu instid0(VALU_DEP_2) | instskip(NEXT) | instid1(VALU_DEP_2)
	v_cmp_eq_u64_e64 s7, 0, v[14:15]
	v_and_or_b32 v14, v14, 7, v25
	s_and_b32 s7, s10, s7
	s_delay_alu instid0(VALU_DEP_1) | instid1(SALU_CYCLE_1)
	v_cndmask_b32_e64 v14, v14, 0, s7
	s_delay_alu instid0(VALU_DEP_1)
	v_or_b32_e32 v24, v14, v11
.LBB4_3797:                             ;   in Loop: Header=BB4_3403 Depth=2
	s_or_b32 exec_lo, exec_lo, s40
                                        ; implicit-def: $vgpr11
.LBB4_3798:                             ;   in Loop: Header=BB4_3403 Depth=2
	s_and_not1_saveexec_b32 s7, s29
; %bb.3799:                             ;   in Loop: Header=BB4_3403 Depth=2
	v_or_b32_e32 v24, 0x7e, v11
; %bb.3800:                             ;   in Loop: Header=BB4_3403 Depth=2
	s_or_b32 exec_lo, exec_lo, s7
                                        ; implicit-def: $vgpr11
.LBB4_3801:                             ;   in Loop: Header=BB4_3403 Depth=2
	s_and_not1_saveexec_b32 s7, s11
; %bb.3802:                             ;   in Loop: Header=BB4_3403 Depth=2
	v_or_b32_e32 v24, 0x7f, v11
; %bb.3803:                             ;   in Loop: Header=BB4_3403 Depth=2
	s_or_b32 exec_lo, exec_lo, s7
	v_lshrrev_b16 v14, 8, v54
	v_mov_b32_e32 v11, 0
	s_mov_b32 s10, exec_lo
	s_delay_alu instid0(VALU_DEP_2)
	v_cmpx_ne_u16_e32 0, v14
	s_cbranch_execz .LBB4_3811
; %bb.3804:                             ;   in Loop: Header=BB4_3403 Depth=2
	v_bfrev_b32_e32 v11, 1
	s_mov_b32 s11, exec_lo
	v_cmpx_ne_u16_e32 0x80, v14
	s_cbranch_execz .LBB4_3810
; %bb.3805:                             ;   in Loop: Header=BB4_3403 Depth=2
	v_and_b32_e32 v14, 0xffff, v14
	v_mov_b32_e32 v11, 0x7f800001
	s_mov_b32 s29, exec_lo
	s_delay_alu instid0(VALU_DEP_2) | instskip(NEXT) | instid1(VALU_DEP_1)
	v_and_b32_e32 v25, 0x7f, v14
	v_cmpx_ne_u32_e32 0x7f, v25
	s_cbranch_execz .LBB4_3809
; %bb.3806:                             ;   in Loop: Header=BB4_3403 Depth=2
	v_dual_mov_b32 v15, v55 :: v_dual_bitop2_b32 v14, 7, v14 bitop3:0x40
	v_lshrrev_b32_e32 v11, 3, v25
	s_mov_b32 s40, exec_lo
	v_cmpx_gt_u32_e32 8, v25
; %bb.3807:                             ;   in Loop: Header=BB4_3403 Depth=2
	s_delay_alu instid0(VALU_DEP_3) | instskip(NEXT) | instid1(VALU_DEP_1)
	v_clz_i32_u32_e32 v11, v14
	v_min_u32_e32 v11, 32, v11
	s_delay_alu instid0(VALU_DEP_1) | instskip(NEXT) | instid1(VALU_DEP_1)
	v_subrev_nc_u32_e32 v25, 28, v11
	v_lshlrev_b64_e32 v[14:15], v25, v[14:15]
	s_delay_alu instid0(VALU_DEP_1)
	v_dual_sub_nc_u32 v11, 29, v11 :: v_dual_bitop2_b32 v14, 7, v14 bitop3:0x40
; %bb.3808:                             ;   in Loop: Header=BB4_3403 Depth=2
	s_or_b32 exec_lo, exec_lo, s40
	v_lshlrev_b32_e32 v15, 16, v54
	s_delay_alu instid0(VALU_DEP_2) | instskip(NEXT) | instid1(VALU_DEP_3)
	v_lshlrev_b32_e32 v14, 20, v14
	v_lshl_add_u32 v11, v11, 23, 0x3c000000
	s_delay_alu instid0(VALU_DEP_3) | instskip(NEXT) | instid1(VALU_DEP_1)
	v_and_b32_e32 v15, 0x80000000, v15
	v_or3_b32 v11, v14, v15, v11
.LBB4_3809:                             ;   in Loop: Header=BB4_3403 Depth=2
	s_or_b32 exec_lo, exec_lo, s29
.LBB4_3810:                             ;   in Loop: Header=BB4_3403 Depth=2
	s_delay_alu instid0(SALU_CYCLE_1)
	s_or_b32 exec_lo, exec_lo, s11
.LBB4_3811:                             ;   in Loop: Header=BB4_3403 Depth=2
	s_delay_alu instid0(SALU_CYCLE_1) | instskip(SKIP_3) | instid1(VALU_DEP_1)
	s_or_b32 exec_lo, exec_lo, s10
	v_lshrrev_b16 v14, 8, v10
	s_mov_b32 s11, 0
	s_mov_b32 s10, exec_lo
	v_cmpx_lt_i16_e32 0x7f, v14
	s_xor_b32 s10, exec_lo, s10
	s_cbranch_execz .LBB4_3818
; %bb.3812:                             ;   in Loop: Header=BB4_3403 Depth=2
	s_mov_b32 s11, -1
	s_mov_b32 s29, exec_lo
	v_cmpx_eq_u16_e32 0x80, v14
; %bb.3813:                             ;   in Loop: Header=BB4_3403 Depth=2
	s_xor_b32 s11, exec_lo, -1
; %bb.3814:                             ;   in Loop: Header=BB4_3403 Depth=2
	s_or_b32 exec_lo, exec_lo, s29
	s_delay_alu instid0(SALU_CYCLE_1)
	s_and_b32 s11, s11, exec_lo
	s_or_saveexec_b32 s10, s10
	v_bfrev_b32_e32 v15, 1
	s_xor_b32 exec_lo, exec_lo, s10
	s_cbranch_execnz .LBB4_3819
.LBB4_3815:                             ;   in Loop: Header=BB4_3403 Depth=2
	s_or_b32 exec_lo, exec_lo, s10
	s_and_saveexec_b32 s10, s11
	s_cbranch_execnz .LBB4_3820
	s_branch .LBB4_3823
.LBB4_3816:                             ;   in Loop: Header=BB4_3403 Depth=2
	s_or_saveexec_b32 s11, s11
	v_bfrev_b32_e32 v15, 1
	s_xor_b32 exec_lo, exec_lo, s11
	s_cbranch_execz .LBB4_3785
.LBB4_3817:                             ;   in Loop: Header=BB4_3403 Depth=2
	v_cmp_ne_u16_e64 s7, 0, v11
	v_mov_b32_e32 v15, 0
	s_and_not1_b32 s10, s10, exec_lo
	s_and_b32 s7, s7, exec_lo
	s_delay_alu instid0(SALU_CYCLE_1)
	s_or_b32 s10, s10, s7
	s_or_b32 exec_lo, exec_lo, s11
	v_mov_b32_e32 v11, v55
	s_and_saveexec_b32 s11, s10
	s_cbranch_execnz .LBB4_3786
	s_branch .LBB4_3787
.LBB4_3818:                             ;   in Loop: Header=BB4_3403 Depth=2
	s_or_saveexec_b32 s10, s10
	v_bfrev_b32_e32 v15, 1
	s_xor_b32 exec_lo, exec_lo, s10
	s_cbranch_execz .LBB4_3815
.LBB4_3819:                             ;   in Loop: Header=BB4_3403 Depth=2
	v_cmp_ne_u16_e64 s7, 0, v14
	v_mov_b32_e32 v15, 0
	s_and_not1_b32 s11, s11, exec_lo
	s_and_b32 s7, s7, exec_lo
	s_delay_alu instid0(SALU_CYCLE_1)
	s_or_b32 s11, s11, s7
	s_or_b32 exec_lo, exec_lo, s10
	s_and_saveexec_b32 s10, s11
	s_cbranch_execz .LBB4_3823
.LBB4_3820:                             ;   in Loop: Header=BB4_3403 Depth=2
	v_and_b32_e32 v10, 0xffff, v14
	v_mov_b32_e32 v15, 0x7f800001
	s_mov_b32 s11, exec_lo
	s_delay_alu instid0(VALU_DEP_2) | instskip(NEXT) | instid1(VALU_DEP_1)
	v_and_b32_e32 v25, 0x7f, v10
	v_cmpx_ne_u32_e32 0x7f, v25
	s_cbranch_execz .LBB4_3822
; %bb.3821:                             ;   in Loop: Header=BB4_3403 Depth=2
	v_and_b32_e32 v15, 7, v10
	v_cmp_gt_u32_e64 s7, 8, v25
	v_lshlrev_b32_e32 v14, 24, v14
	s_delay_alu instid0(VALU_DEP_3) | instskip(NEXT) | instid1(VALU_DEP_2)
	v_clz_i32_u32_e32 v54, v15
	v_and_b32_e32 v14, 0x80000000, v14
	s_delay_alu instid0(VALU_DEP_2) | instskip(NEXT) | instid1(VALU_DEP_1)
	v_min_u32_e32 v54, 32, v54
	v_subrev_nc_u32_e32 v46, 28, v54
	s_delay_alu instid0(VALU_DEP_1) | instskip(NEXT) | instid1(VALU_DEP_1)
	v_lshlrev_b64_e32 v[46:47], v46, v[10:11]
	v_dual_lshrrev_b32 v10, 3, v25 :: v_dual_bitop2_b32 v25, 7, v46 bitop3:0x40
	s_delay_alu instid0(VALU_DEP_1) | instskip(NEXT) | instid1(VALU_DEP_1)
	v_dual_sub_nc_u32 v54, 29, v54 :: v_dual_cndmask_b32 v15, v15, v25, s7
	v_dual_cndmask_b32 v10, v10, v54, s7 :: v_dual_lshlrev_b32 v15, 20, v15
	s_delay_alu instid0(VALU_DEP_1) | instskip(NEXT) | instid1(VALU_DEP_1)
	v_lshl_add_u32 v10, v10, 23, 0x3c000000
	v_or3_b32 v15, v15, v14, v10
.LBB4_3822:                             ;   in Loop: Header=BB4_3403 Depth=2
	s_or_b32 exec_lo, exec_lo, s11
.LBB4_3823:                             ;   in Loop: Header=BB4_3403 Depth=2
	s_delay_alu instid0(SALU_CYCLE_1) | instskip(NEXT) | instid1(VALU_DEP_1)
	s_or_b32 exec_lo, exec_lo, s10
	v_mul_f32_e32 v10, v11, v15
                                        ; implicit-def: $vgpr25
	s_mov_b32 s10, exec_lo
	s_delay_alu instid0(VALU_DEP_1) | instskip(SKIP_1) | instid1(VALU_DEP_2)
	v_and_b32_e32 v54, 0x7f800000, v10
	v_lshrrev_b32_e32 v11, 24, v10
	v_cmpx_ne_u64_e32 0x7f800000, v[54:55]
	s_xor_b32 s11, exec_lo, s10
	s_cbranch_execz .LBB4_3837
; %bb.3824:                             ;   in Loop: Header=BB4_3403 Depth=2
	v_and_b32_e32 v54, 0x7fffffff, v10
	v_and_b32_e32 v46, 0x80, v11
                                        ; implicit-def: $vgpr25
	s_mov_b32 s10, exec_lo
	s_delay_alu instid0(VALU_DEP_2)
	v_cmpx_gt_u64_e32 0x43e00001, v[54:55]
	s_xor_b32 s29, exec_lo, s10
	s_cbranch_execz .LBB4_3834
; %bb.3825:                             ;   in Loop: Header=BB4_3403 Depth=2
	v_mov_b32_e32 v25, 0
	s_mov_b32 s40, exec_lo
	v_cmpx_ne_u32_e32 0, v10
	s_cbranch_execz .LBB4_3833
; %bb.3826:                             ;   in Loop: Header=BB4_3403 Depth=2
	v_bfe_u32 v25, v10, 23, 8
	v_and_b32_e32 v14, 0x7fffff, v10
	s_delay_alu instid0(VALU_DEP_2) | instskip(SKIP_1) | instid1(VALU_DEP_3)
	v_sub_nc_u32_e32 v11, 0x79, v25
	v_cmp_gt_u32_e64 s7, 0x7a, v25
	v_or_b32_e32 v15, 0x800000, v14
	s_delay_alu instid0(VALU_DEP_2) | instskip(SKIP_1) | instid1(VALU_DEP_1)
	v_cndmask_b32_e64 v11, 0, v11, s7
	v_cmp_eq_u32_e64 s7, 0, v25
	v_cndmask_b32_e64 v54, v15, v14, s7
	s_delay_alu instid0(VALU_DEP_3) | instskip(NEXT) | instid1(VALU_DEP_1)
	v_cndmask_b32_e64 v47, v11, 0x78, s7
	v_dual_add_nc_u32 v10, 20, v47 :: v_dual_add_nc_u32 v56, 19, v47
	s_delay_alu instid0(VALU_DEP_1) | instskip(NEXT) | instid1(VALU_DEP_2)
	v_lshlrev_b64_e64 v[10:11], v10, -1
	v_lshlrev_b64_e64 v[14:15], v56, 1
	s_delay_alu instid0(VALU_DEP_2) | instskip(NEXT) | instid1(VALU_DEP_3)
	v_bfi_b32 v57, v11, 0, 0
	v_bfi_b32 v56, v10, 0, v54
	v_lshrrev_b64 v[10:11], v47, v[54:55]
	s_delay_alu instid0(VALU_DEP_2) | instskip(NEXT) | instid1(VALU_DEP_2)
	v_cmp_eq_u64_e64 s10, v[56:57], v[14:15]
	v_mov_b64_e32 v[14:15], v[10:11]
	s_and_saveexec_b32 s41, s10
; %bb.3827:                             ;   in Loop: Header=BB4_3403 Depth=2
	v_bfe_u32 v54, v10, 20, 1
	s_delay_alu instid0(VALU_DEP_1) | instskip(NEXT) | instid1(VALU_DEP_1)
	v_add_nc_u64_e32 v[14:15], v[10:11], v[54:55]
	v_add_nc_u64_e32 v[14:15], -1, v[14:15]
; %bb.3828:                             ;   in Loop: Header=BB4_3403 Depth=2
	s_or_b32 exec_lo, exec_lo, s41
	v_add_nc_u32_e32 v11, 0xffffff81, v25
	v_lshrrev_b32_e32 v15, 23, v10
	s_mov_b32 s10, exec_lo
	s_delay_alu instid0(VALU_DEP_2) | instskip(NEXT) | instid1(VALU_DEP_1)
	v_cndmask_b32_e64 v11, v11, 0xffffff82, s7
	v_add3_u32 v15, v47, v11, v15
	v_and_b32_e32 v11, 0xfffff, v14
                                        ; implicit-def: $vgpr14
	s_delay_alu instid0(VALU_DEP_1) | instskip(NEXT) | instid1(VALU_DEP_1)
	v_dual_add_nc_u32 v25, 6, v15 :: v_dual_add_nc_u32 v54, v11, v10
                                        ; implicit-def: $vgpr10_vgpr11
	v_cmpx_ne_u32_e32 0, v25
	s_xor_b32 s10, exec_lo, s10
; %bb.3829:                             ;   in Loop: Header=BB4_3403 Depth=2
	s_delay_alu instid0(VALU_DEP_2) | instskip(SKIP_1) | instid1(VALU_DEP_1)
	v_cmp_lt_u64_e64 s7, 0xffffff, v[54:55]
	v_add_nc_u32_e32 v10, 7, v15
	v_cndmask_b32_e64 v14, v25, v10, s7
	v_cndmask_b32_e64 v10, 0, 1, s7
	s_delay_alu instid0(VALU_DEP_1)
	v_lshrrev_b64 v[10:11], v10, v[54:55]
; %bb.3830:                             ;   in Loop: Header=BB4_3403 Depth=2
	s_and_not1_saveexec_b32 s7, s10
; %bb.3831:                             ;   in Loop: Header=BB4_3403 Depth=2
	v_mov_b64_e32 v[10:11], v[54:55]
	v_bfe_u32 v14, v54, 23, 1
; %bb.3832:                             ;   in Loop: Header=BB4_3403 Depth=2
	s_or_b32 exec_lo, exec_lo, s7
	s_delay_alu instid0(VALU_DEP_2) | instskip(NEXT) | instid1(VALU_DEP_2)
	v_lshrrev_b64 v[10:11], 20, v[10:11]
	v_cmp_gt_i32_e64 s7, 16, v14
	v_min_i32_e32 v15, 15, v14
	v_cmp_eq_u32_e64 s10, 0, v14
	s_delay_alu instid0(VALU_DEP_3) | instskip(NEXT) | instid1(VALU_DEP_3)
	v_cndmask_b32_e64 v11, 0, v11, s7
	v_dual_lshlrev_b32 v15, 3, v15 :: v_dual_cndmask_b32 v10, 7, v10, s7
	s_delay_alu instid0(VALU_DEP_1) | instskip(NEXT) | instid1(VALU_DEP_2)
	v_and_b32_e32 v15, 0xf8, v15
	v_cmp_eq_u64_e64 s7, 0, v[10:11]
	s_delay_alu instid0(VALU_DEP_2)
	v_and_or_b32 v10, v10, 7, v15
	s_and_b32 s7, s10, s7
	s_delay_alu instid0(VALU_DEP_1) | instid1(SALU_CYCLE_1)
	v_cndmask_b32_e64 v10, v10, 0, s7
	s_delay_alu instid0(VALU_DEP_1)
	v_or_b32_e32 v25, v10, v46
.LBB4_3833:                             ;   in Loop: Header=BB4_3403 Depth=2
	s_or_b32 exec_lo, exec_lo, s40
                                        ; implicit-def: $vgpr46
.LBB4_3834:                             ;   in Loop: Header=BB4_3403 Depth=2
	s_and_not1_saveexec_b32 s7, s29
; %bb.3835:                             ;   in Loop: Header=BB4_3403 Depth=2
	v_or_b32_e32 v25, 0x7e, v46
; %bb.3836:                             ;   in Loop: Header=BB4_3403 Depth=2
	s_or_b32 exec_lo, exec_lo, s7
                                        ; implicit-def: $vgpr11
.LBB4_3837:                             ;   in Loop: Header=BB4_3403 Depth=2
	s_and_not1_saveexec_b32 s7, s11
; %bb.3838:                             ;   in Loop: Header=BB4_3403 Depth=2
	v_or_b32_e32 v25, 0x7f, v11
; %bb.3839:                             ;   in Loop: Header=BB4_3403 Depth=2
	s_or_b32 exec_lo, exec_lo, s7
	v_dual_mov_b32 v11, 0 :: v_dual_lshrrev_b32 v10, 16, v17
	s_mov_b32 s10, exec_lo
	s_delay_alu instid0(VALU_DEP_1) | instskip(NEXT) | instid1(VALU_DEP_1)
	v_and_b32_e32 v14, 0xff, v10
	v_cmpx_ne_u16_e32 0, v14
	s_cbranch_execz .LBB4_3847
; %bb.3840:                             ;   in Loop: Header=BB4_3403 Depth=2
	v_bfrev_b32_e32 v11, 1
	s_mov_b32 s11, exec_lo
	v_cmpx_ne_u16_e32 0x80, v14
	s_cbranch_execz .LBB4_3846
; %bb.3841:                             ;   in Loop: Header=BB4_3403 Depth=2
	v_bfe_u32 v14, v17, 16, 7
	v_mov_b32_e32 v11, 0x7f800001
	s_mov_b32 s29, exec_lo
	s_delay_alu instid0(VALU_DEP_2)
	v_cmpx_ne_u32_e32 0x7f, v14
	s_cbranch_execz .LBB4_3845
; %bb.3842:                             ;   in Loop: Header=BB4_3403 Depth=2
	v_and_b32_e32 v54, 7, v10
	v_lshrrev_b32_e32 v11, 3, v14
	s_mov_b32 s40, exec_lo
	v_cmpx_gt_u32_e32 8, v14
; %bb.3843:                             ;   in Loop: Header=BB4_3403 Depth=2
	s_delay_alu instid0(VALU_DEP_3) | instskip(NEXT) | instid1(VALU_DEP_1)
	v_clz_i32_u32_e32 v11, v54
	v_min_u32_e32 v11, 32, v11
	s_delay_alu instid0(VALU_DEP_1) | instskip(NEXT) | instid1(VALU_DEP_1)
	v_subrev_nc_u32_e32 v14, 28, v11
	v_lshlrev_b64_e32 v[14:15], v14, v[54:55]
	s_delay_alu instid0(VALU_DEP_1)
	v_dual_sub_nc_u32 v11, 29, v11 :: v_dual_bitop2_b32 v54, 7, v14 bitop3:0x40
; %bb.3844:                             ;   in Loop: Header=BB4_3403 Depth=2
	s_or_b32 exec_lo, exec_lo, s40
	v_lshlrev_b32_e32 v10, 24, v10
	s_delay_alu instid0(VALU_DEP_2) | instskip(NEXT) | instid1(VALU_DEP_3)
	v_lshlrev_b32_e32 v14, 20, v54
	v_lshl_add_u32 v11, v11, 23, 0x3c000000
	s_delay_alu instid0(VALU_DEP_3) | instskip(NEXT) | instid1(VALU_DEP_1)
	v_and_b32_e32 v10, 0x80000000, v10
	v_or3_b32 v11, v14, v10, v11
.LBB4_3845:                             ;   in Loop: Header=BB4_3403 Depth=2
	s_or_b32 exec_lo, exec_lo, s29
.LBB4_3846:                             ;   in Loop: Header=BB4_3403 Depth=2
	s_delay_alu instid0(SALU_CYCLE_1)
	s_or_b32 exec_lo, exec_lo, s11
.LBB4_3847:                             ;   in Loop: Header=BB4_3403 Depth=2
	s_delay_alu instid0(SALU_CYCLE_1) | instskip(SKIP_3) | instid1(VALU_DEP_1)
	s_or_b32 exec_lo, exec_lo, s10
	v_lshrrev_b32_e32 v10, 16, v13
	s_mov_b32 s11, 0
	s_mov_b32 s10, exec_lo
	v_and_b32_e32 v15, 0xff, v10
	s_delay_alu instid0(VALU_DEP_1)
	v_cmpx_lt_i16_e32 0x7f, v15
	s_xor_b32 s10, exec_lo, s10
	s_cbranch_execz .LBB4_3852
; %bb.3848:                             ;   in Loop: Header=BB4_3403 Depth=2
	s_mov_b32 s11, -1
	s_mov_b32 s29, exec_lo
	v_cmpx_eq_u16_e32 0x80, v15
; %bb.3849:                             ;   in Loop: Header=BB4_3403 Depth=2
	s_xor_b32 s11, exec_lo, -1
; %bb.3850:                             ;   in Loop: Header=BB4_3403 Depth=2
	s_or_b32 exec_lo, exec_lo, s29
	s_delay_alu instid0(SALU_CYCLE_1)
	s_and_b32 s11, s11, exec_lo
                                        ; implicit-def: $vgpr15
	s_or_saveexec_b32 s10, s10
	v_bfrev_b32_e32 v14, 1
	s_xor_b32 exec_lo, exec_lo, s10
	s_cbranch_execnz .LBB4_3853
.LBB4_3851:                             ;   in Loop: Header=BB4_3403 Depth=2
	s_or_b32 exec_lo, exec_lo, s10
	s_and_saveexec_b32 s10, s11
	s_cbranch_execnz .LBB4_3854
	s_branch .LBB4_3857
.LBB4_3852:                             ;   in Loop: Header=BB4_3403 Depth=2
	s_or_saveexec_b32 s10, s10
	v_bfrev_b32_e32 v14, 1
	s_xor_b32 exec_lo, exec_lo, s10
	s_cbranch_execz .LBB4_3851
.LBB4_3853:                             ;   in Loop: Header=BB4_3403 Depth=2
	v_cmp_ne_u16_e64 s7, 0, v15
	v_mov_b32_e32 v14, 0
	s_and_not1_b32 s11, s11, exec_lo
	s_and_b32 s7, s7, exec_lo
	s_delay_alu instid0(SALU_CYCLE_1)
	s_or_b32 s11, s11, s7
	s_or_b32 exec_lo, exec_lo, s10
	s_and_saveexec_b32 s10, s11
	s_cbranch_execz .LBB4_3857
.LBB4_3854:                             ;   in Loop: Header=BB4_3403 Depth=2
	v_and_b32_e32 v15, 0x7f, v10
	v_mov_b32_e32 v14, 0x7f800001
	s_mov_b32 s11, exec_lo
	s_delay_alu instid0(VALU_DEP_2)
	v_cmpx_ne_u32_e32 0x7f, v15
	s_cbranch_execz .LBB4_3856
; %bb.3855:                             ;   in Loop: Header=BB4_3403 Depth=2
	v_and_b32_e32 v14, 7, v10
	v_cmp_gt_u32_e64 s7, 8, v15
	s_delay_alu instid0(VALU_DEP_2) | instskip(NEXT) | instid1(VALU_DEP_1)
	v_clz_i32_u32_e32 v54, v14
	v_min_u32_e32 v54, 32, v54
	s_delay_alu instid0(VALU_DEP_1) | instskip(NEXT) | instid1(VALU_DEP_1)
	v_subrev_nc_u32_e32 v46, 28, v54
	v_lshlrev_b64_e32 v[46:47], v46, v[10:11]
	v_dual_lshrrev_b32 v47, 3, v15 :: v_dual_lshlrev_b32 v10, 24, v10
	s_delay_alu instid0(VALU_DEP_1) | instskip(NEXT) | instid1(VALU_DEP_3)
	v_and_b32_e32 v10, 0x80000000, v10
	v_and_b32_e32 v15, 7, v46
	s_delay_alu instid0(VALU_DEP_1) | instskip(NEXT) | instid1(VALU_DEP_1)
	v_dual_sub_nc_u32 v54, 29, v54 :: v_dual_cndmask_b32 v14, v14, v15, s7
	v_cndmask_b32_e64 v54, v47, v54, s7
	s_delay_alu instid0(VALU_DEP_2) | instskip(NEXT) | instid1(VALU_DEP_2)
	v_lshlrev_b32_e32 v14, 20, v14
	v_lshl_add_u32 v15, v54, 23, 0x3c000000
	s_delay_alu instid0(VALU_DEP_1)
	v_or3_b32 v14, v14, v10, v15
.LBB4_3856:                             ;   in Loop: Header=BB4_3403 Depth=2
	s_or_b32 exec_lo, exec_lo, s11
.LBB4_3857:                             ;   in Loop: Header=BB4_3403 Depth=2
	s_delay_alu instid0(SALU_CYCLE_1) | instskip(NEXT) | instid1(VALU_DEP_1)
	s_or_b32 exec_lo, exec_lo, s10
	v_mul_f32_e32 v10, v11, v14
                                        ; implicit-def: $vgpr14
	s_mov_b32 s10, exec_lo
	s_delay_alu instid0(VALU_DEP_1) | instskip(SKIP_1) | instid1(VALU_DEP_2)
	v_and_b32_e32 v54, 0x7f800000, v10
	v_lshrrev_b32_e32 v11, 24, v10
	v_cmpx_ne_u64_e32 0x7f800000, v[54:55]
	s_xor_b32 s11, exec_lo, s10
	s_cbranch_execz .LBB4_3871
; %bb.3858:                             ;   in Loop: Header=BB4_3403 Depth=2
	v_and_b32_e32 v54, 0x7fffffff, v10
	v_and_b32_e32 v46, 0x80, v11
                                        ; implicit-def: $vgpr14
	s_mov_b32 s10, exec_lo
	s_delay_alu instid0(VALU_DEP_2)
	v_cmpx_gt_u64_e32 0x43e00001, v[54:55]
	s_xor_b32 s29, exec_lo, s10
	s_cbranch_execz .LBB4_3868
; %bb.3859:                             ;   in Loop: Header=BB4_3403 Depth=2
	v_mov_b32_e32 v14, 0
	s_mov_b32 s40, exec_lo
	v_cmpx_ne_u32_e32 0, v10
	s_cbranch_execz .LBB4_3867
; %bb.3860:                             ;   in Loop: Header=BB4_3403 Depth=2
	v_bfe_u32 v47, v10, 23, 8
	v_and_b32_e32 v14, 0x7fffff, v10
	s_delay_alu instid0(VALU_DEP_2) | instskip(SKIP_1) | instid1(VALU_DEP_3)
	v_sub_nc_u32_e32 v11, 0x79, v47
	v_cmp_gt_u32_e64 s7, 0x7a, v47
	v_or_b32_e32 v15, 0x800000, v14
	s_delay_alu instid0(VALU_DEP_2) | instskip(SKIP_1) | instid1(VALU_DEP_1)
	v_cndmask_b32_e64 v11, 0, v11, s7
	v_cmp_eq_u32_e64 s7, 0, v47
	v_cndmask_b32_e64 v56, v11, 0x78, s7
	s_delay_alu instid0(VALU_DEP_1) | instskip(SKIP_1) | instid1(VALU_DEP_2)
	v_dual_cndmask_b32 v54, v15, v14, s7 :: v_dual_add_nc_u32 v57, 19, v56
	v_add_nc_u32_e32 v10, 20, v56
	v_lshlrev_b64_e64 v[14:15], v57, 1
	s_delay_alu instid0(VALU_DEP_2) | instskip(NEXT) | instid1(VALU_DEP_1)
	v_lshlrev_b64_e64 v[10:11], v10, -1
	v_bfi_b32 v59, v11, 0, 0
	s_delay_alu instid0(VALU_DEP_2) | instskip(SKIP_1) | instid1(VALU_DEP_2)
	v_bfi_b32 v58, v10, 0, v54
	v_lshrrev_b64 v[10:11], v56, v[54:55]
	v_cmp_eq_u64_e64 s10, v[58:59], v[14:15]
	s_delay_alu instid0(VALU_DEP_2)
	v_mov_b64_e32 v[14:15], v[10:11]
	s_and_saveexec_b32 s41, s10
; %bb.3861:                             ;   in Loop: Header=BB4_3403 Depth=2
	v_bfe_u32 v54, v10, 20, 1
	s_delay_alu instid0(VALU_DEP_1) | instskip(NEXT) | instid1(VALU_DEP_1)
	v_add_nc_u64_e32 v[14:15], v[10:11], v[54:55]
	v_add_nc_u64_e32 v[14:15], -1, v[14:15]
; %bb.3862:                             ;   in Loop: Header=BB4_3403 Depth=2
	s_or_b32 exec_lo, exec_lo, s41
	v_add_nc_u32_e32 v11, 0xffffff81, v47
	v_lshrrev_b32_e32 v15, 23, v10
	s_mov_b32 s10, exec_lo
	s_delay_alu instid0(VALU_DEP_2) | instskip(NEXT) | instid1(VALU_DEP_1)
	v_cndmask_b32_e64 v11, v11, 0xffffff82, s7
	v_add3_u32 v15, v56, v11, v15
	v_and_b32_e32 v11, 0xfffff, v14
                                        ; implicit-def: $vgpr14
	s_delay_alu instid0(VALU_DEP_1) | instskip(NEXT) | instid1(VALU_DEP_1)
	v_dual_add_nc_u32 v47, 6, v15 :: v_dual_add_nc_u32 v54, v11, v10
                                        ; implicit-def: $vgpr10_vgpr11
	v_cmpx_ne_u32_e32 0, v47
	s_xor_b32 s10, exec_lo, s10
; %bb.3863:                             ;   in Loop: Header=BB4_3403 Depth=2
	s_delay_alu instid0(VALU_DEP_2) | instskip(SKIP_1) | instid1(VALU_DEP_1)
	v_cmp_lt_u64_e64 s7, 0xffffff, v[54:55]
	v_add_nc_u32_e32 v10, 7, v15
	v_cndmask_b32_e64 v14, v47, v10, s7
	v_cndmask_b32_e64 v10, 0, 1, s7
	s_delay_alu instid0(VALU_DEP_1)
	v_lshrrev_b64 v[10:11], v10, v[54:55]
; %bb.3864:                             ;   in Loop: Header=BB4_3403 Depth=2
	s_and_not1_saveexec_b32 s7, s10
; %bb.3865:                             ;   in Loop: Header=BB4_3403 Depth=2
	v_mov_b64_e32 v[10:11], v[54:55]
	v_bfe_u32 v14, v54, 23, 1
; %bb.3866:                             ;   in Loop: Header=BB4_3403 Depth=2
	s_or_b32 exec_lo, exec_lo, s7
	s_delay_alu instid0(VALU_DEP_2) | instskip(NEXT) | instid1(VALU_DEP_2)
	v_lshrrev_b64 v[10:11], 20, v[10:11]
	v_cmp_gt_i32_e64 s7, 16, v14
	v_min_i32_e32 v15, 15, v14
	v_cmp_eq_u32_e64 s10, 0, v14
	s_delay_alu instid0(VALU_DEP_3) | instskip(NEXT) | instid1(VALU_DEP_3)
	v_cndmask_b32_e64 v11, 0, v11, s7
	v_dual_lshlrev_b32 v15, 3, v15 :: v_dual_cndmask_b32 v10, 7, v10, s7
	s_delay_alu instid0(VALU_DEP_1) | instskip(NEXT) | instid1(VALU_DEP_2)
	v_and_b32_e32 v15, 0xf8, v15
	v_cmp_eq_u64_e64 s7, 0, v[10:11]
	s_delay_alu instid0(VALU_DEP_2)
	v_and_or_b32 v10, v10, 7, v15
	s_and_b32 s7, s10, s7
	s_delay_alu instid0(VALU_DEP_1) | instid1(SALU_CYCLE_1)
	v_cndmask_b32_e64 v10, v10, 0, s7
	s_delay_alu instid0(VALU_DEP_1)
	v_or_b32_e32 v14, v10, v46
.LBB4_3867:                             ;   in Loop: Header=BB4_3403 Depth=2
	s_or_b32 exec_lo, exec_lo, s40
                                        ; implicit-def: $vgpr46
.LBB4_3868:                             ;   in Loop: Header=BB4_3403 Depth=2
	s_and_not1_saveexec_b32 s7, s29
; %bb.3869:                             ;   in Loop: Header=BB4_3403 Depth=2
	v_or_b32_e32 v14, 0x7e, v46
; %bb.3870:                             ;   in Loop: Header=BB4_3403 Depth=2
	s_or_b32 exec_lo, exec_lo, s7
                                        ; implicit-def: $vgpr11
.LBB4_3871:                             ;   in Loop: Header=BB4_3403 Depth=2
	s_and_not1_saveexec_b32 s7, s11
; %bb.3872:                             ;   in Loop: Header=BB4_3403 Depth=2
	v_or_b32_e32 v14, 0x7f, v11
; %bb.3873:                             ;   in Loop: Header=BB4_3403 Depth=2
	s_or_b32 exec_lo, exec_lo, s7
	v_mov_b32_e32 v11, 0
	s_mov_b32 s10, exec_lo
	v_cmpx_lt_u64_e64 s[12:13], v[16:17]
	s_cbranch_execz .LBB4_3881
; %bb.3874:                             ;   in Loop: Header=BB4_3403 Depth=2
	v_lshrrev_b32_e32 v10, 24, v17
	v_bfrev_b32_e32 v11, 1
	s_mov_b32 s11, exec_lo
	s_delay_alu instid0(VALU_DEP_2)
	v_cmpx_ne_u32_e32 0x80, v10
	s_cbranch_execz .LBB4_3880
; %bb.3875:                             ;   in Loop: Header=BB4_3403 Depth=2
	v_bfe_u32 v15, v17, 24, 7
	v_mov_b32_e32 v11, 0x7f800001
	s_mov_b32 s29, exec_lo
	s_delay_alu instid0(VALU_DEP_2)
	v_cmpx_ne_u32_e32 0x7f, v15
	s_cbranch_execz .LBB4_3879
; %bb.3876:                             ;   in Loop: Header=BB4_3403 Depth=2
	v_dual_lshrrev_b32 v11, 3, v15 :: v_dual_bitop2_b32 v54, 7, v10 bitop3:0x40
	s_mov_b32 s40, exec_lo
	v_cmpx_gt_u32_e32 8, v15
; %bb.3877:                             ;   in Loop: Header=BB4_3403 Depth=2
	s_delay_alu instid0(VALU_DEP_2) | instskip(NEXT) | instid1(VALU_DEP_1)
	v_clz_i32_u32_e32 v11, v54
	v_min_u32_e32 v11, 32, v11
	s_delay_alu instid0(VALU_DEP_1) | instskip(NEXT) | instid1(VALU_DEP_1)
	v_subrev_nc_u32_e32 v15, 28, v11
	v_lshlrev_b64_e32 v[16:17], v15, v[54:55]
	s_delay_alu instid0(VALU_DEP_1)
	v_dual_sub_nc_u32 v11, 29, v11 :: v_dual_bitop2_b32 v54, 7, v16 bitop3:0x40
; %bb.3878:                             ;   in Loop: Header=BB4_3403 Depth=2
	s_or_b32 exec_lo, exec_lo, s40
	v_lshlrev_b32_e32 v10, 24, v10
	s_delay_alu instid0(VALU_DEP_2) | instskip(NEXT) | instid1(VALU_DEP_3)
	v_lshlrev_b32_e32 v15, 20, v54
	v_lshl_add_u32 v11, v11, 23, 0x3c000000
	s_delay_alu instid0(VALU_DEP_3) | instskip(NEXT) | instid1(VALU_DEP_1)
	v_and_b32_e32 v10, 0x80000000, v10
	v_or3_b32 v11, v15, v10, v11
.LBB4_3879:                             ;   in Loop: Header=BB4_3403 Depth=2
	s_or_b32 exec_lo, exec_lo, s29
.LBB4_3880:                             ;   in Loop: Header=BB4_3403 Depth=2
	s_delay_alu instid0(SALU_CYCLE_1)
	s_or_b32 exec_lo, exec_lo, s11
.LBB4_3881:                             ;   in Loop: Header=BB4_3403 Depth=2
	s_delay_alu instid0(SALU_CYCLE_1) | instskip(SKIP_3) | instid1(VALU_DEP_3)
	s_or_b32 exec_lo, exec_lo, s10
	v_lshrrev_b32_e32 v10, 24, v13
	v_bfe_u32 v15, v13, 24, 7
	v_cmp_gt_u64_e64 s11, s[14:15], v[12:13]
	v_cmp_eq_u32_e64 s10, 0x80, v10
	s_delay_alu instid0(VALU_DEP_3) | instskip(NEXT) | instid1(VALU_DEP_2)
	v_cmp_eq_u32_e64 s7, 0x7f, v15
	v_cndmask_b32_e64 v16, 0x7f800001, v117, s10
	s_or_b32 s7, s10, s7
	s_delay_alu instid0(SALU_CYCLE_1) | instskip(NEXT) | instid1(VALU_DEP_1)
	s_nor_b32 s7, s11, s7
	v_cndmask_b32_e64 v12, v16, 0, s11
	s_and_saveexec_b32 s10, s7
	s_cbranch_execz .LBB4_3883
; %bb.3882:                             ;   in Loop: Header=BB4_3403 Depth=2
	v_and_b32_e32 v16, 7, v10
	v_cmp_gt_u32_e64 s7, 8, v15
	s_delay_alu instid0(VALU_DEP_2) | instskip(NEXT) | instid1(VALU_DEP_1)
	v_clz_i32_u32_e32 v12, v16
	v_min_u32_e32 v17, 32, v12
	s_delay_alu instid0(VALU_DEP_1) | instskip(NEXT) | instid1(VALU_DEP_1)
	v_subrev_nc_u32_e32 v12, 28, v17
	v_lshlrev_b64_e32 v[12:13], v12, v[10:11]
	v_dual_lshrrev_b32 v13, 3, v15 :: v_dual_sub_nc_u32 v17, 29, v17
	s_delay_alu instid0(VALU_DEP_2) | instskip(NEXT) | instid1(VALU_DEP_1)
	v_dual_lshlrev_b32 v10, 24, v10 :: v_dual_bitop2_b32 v12, 7, v12 bitop3:0x40
	v_dual_cndmask_b32 v13, v13, v17, s7 :: v_dual_cndmask_b32 v12, v16, v12, s7
	s_delay_alu instid0(VALU_DEP_2) | instskip(NEXT) | instid1(VALU_DEP_2)
	v_and_b32_e32 v10, 0x80000000, v10
	v_lshl_add_u32 v13, v13, 23, 0x3c000000
	s_delay_alu instid0(VALU_DEP_3) | instskip(NEXT) | instid1(VALU_DEP_1)
	v_lshlrev_b32_e32 v12, 20, v12
	v_or3_b32 v12, v12, v10, v13
.LBB4_3883:                             ;   in Loop: Header=BB4_3403 Depth=2
	s_or_b32 exec_lo, exec_lo, s10
	s_delay_alu instid0(VALU_DEP_1) | instskip(SKIP_1) | instid1(VALU_DEP_1)
	v_mul_f32_e32 v11, v11, v12
                                        ; implicit-def: $vgpr10
	s_mov_b32 s10, exec_lo
	v_and_b32_e32 v54, 0x7f800000, v11
	v_lshrrev_b32_e32 v12, 24, v11
	s_delay_alu instid0(VALU_DEP_2)
	v_cmpx_ne_u64_e32 0x7f800000, v[54:55]
	s_xor_b32 s11, exec_lo, s10
	s_cbranch_execz .LBB4_3897
; %bb.3884:                             ;   in Loop: Header=BB4_3403 Depth=2
	v_and_b32_e32 v54, 0x7fffffff, v11
	v_and_b32_e32 v15, 0x80, v12
                                        ; implicit-def: $vgpr10
	s_mov_b32 s10, exec_lo
	s_delay_alu instid0(VALU_DEP_2)
	v_cmpx_gt_u64_e32 0x43e00001, v[54:55]
	s_xor_b32 s29, exec_lo, s10
	s_cbranch_execz .LBB4_3894
; %bb.3885:                             ;   in Loop: Header=BB4_3403 Depth=2
	v_mov_b32_e32 v10, 0
	s_mov_b32 s40, exec_lo
	v_cmpx_ne_u32_e32 0, v11
	s_cbranch_execz .LBB4_3893
; %bb.3886:                             ;   in Loop: Header=BB4_3403 Depth=2
	v_bfe_u32 v16, v11, 23, 8
	v_and_b32_e32 v12, 0x7fffff, v11
	s_delay_alu instid0(VALU_DEP_2) | instskip(SKIP_1) | instid1(VALU_DEP_3)
	v_sub_nc_u32_e32 v10, 0x79, v16
	v_cmp_gt_u32_e64 s7, 0x7a, v16
	v_or_b32_e32 v13, 0x800000, v12
	s_delay_alu instid0(VALU_DEP_2) | instskip(SKIP_1) | instid1(VALU_DEP_1)
	v_cndmask_b32_e64 v10, 0, v10, s7
	v_cmp_eq_u32_e64 s7, 0, v16
	v_cndmask_b32_e64 v17, v10, 0x78, s7
	s_delay_alu instid0(VALU_DEP_1) | instskip(SKIP_1) | instid1(VALU_DEP_2)
	v_dual_cndmask_b32 v54, v13, v12, s7 :: v_dual_add_nc_u32 v10, 20, v17
	v_add_nc_u32_e32 v46, 19, v17
	v_lshlrev_b64_e64 v[10:11], v10, -1
	s_delay_alu instid0(VALU_DEP_2) | instskip(NEXT) | instid1(VALU_DEP_2)
	v_lshlrev_b64_e64 v[12:13], v46, 1
	v_bfi_b32 v47, v11, 0, 0
	s_delay_alu instid0(VALU_DEP_3) | instskip(SKIP_1) | instid1(VALU_DEP_2)
	v_bfi_b32 v46, v10, 0, v54
	v_lshrrev_b64 v[10:11], v17, v[54:55]
	v_cmp_eq_u64_e64 s10, v[46:47], v[12:13]
	s_delay_alu instid0(VALU_DEP_2)
	v_mov_b64_e32 v[12:13], v[10:11]
	s_and_saveexec_b32 s41, s10
; %bb.3887:                             ;   in Loop: Header=BB4_3403 Depth=2
	v_bfe_u32 v54, v10, 20, 1
	s_delay_alu instid0(VALU_DEP_1) | instskip(NEXT) | instid1(VALU_DEP_1)
	v_add_nc_u64_e32 v[12:13], v[10:11], v[54:55]
	v_add_nc_u64_e32 v[12:13], -1, v[12:13]
; %bb.3888:                             ;   in Loop: Header=BB4_3403 Depth=2
	s_or_b32 exec_lo, exec_lo, s41
	v_add_nc_u32_e32 v11, 0xffffff81, v16
	v_lshrrev_b32_e32 v13, 23, v10
	s_mov_b32 s10, exec_lo
	s_delay_alu instid0(VALU_DEP_2) | instskip(NEXT) | instid1(VALU_DEP_1)
	v_cndmask_b32_e64 v11, v11, 0xffffff82, s7
	v_add3_u32 v13, v17, v11, v13
	v_and_b32_e32 v11, 0xfffff, v12
                                        ; implicit-def: $vgpr12
	s_delay_alu instid0(VALU_DEP_1) | instskip(NEXT) | instid1(VALU_DEP_1)
	v_dual_add_nc_u32 v16, 6, v13 :: v_dual_add_nc_u32 v54, v11, v10
                                        ; implicit-def: $vgpr10_vgpr11
	v_cmpx_ne_u32_e32 0, v16
	s_xor_b32 s10, exec_lo, s10
; %bb.3889:                             ;   in Loop: Header=BB4_3403 Depth=2
	s_delay_alu instid0(VALU_DEP_2) | instskip(SKIP_1) | instid1(VALU_DEP_1)
	v_cmp_lt_u64_e64 s7, 0xffffff, v[54:55]
	v_add_nc_u32_e32 v10, 7, v13
	v_cndmask_b32_e64 v12, v16, v10, s7
	v_cndmask_b32_e64 v10, 0, 1, s7
	s_delay_alu instid0(VALU_DEP_1)
	v_lshrrev_b64 v[10:11], v10, v[54:55]
; %bb.3890:                             ;   in Loop: Header=BB4_3403 Depth=2
	s_and_not1_saveexec_b32 s7, s10
; %bb.3891:                             ;   in Loop: Header=BB4_3403 Depth=2
	v_mov_b64_e32 v[10:11], v[54:55]
	v_bfe_u32 v12, v54, 23, 1
; %bb.3892:                             ;   in Loop: Header=BB4_3403 Depth=2
	s_or_b32 exec_lo, exec_lo, s7
	s_delay_alu instid0(VALU_DEP_2) | instskip(NEXT) | instid1(VALU_DEP_2)
	v_lshrrev_b64 v[10:11], 20, v[10:11]
	v_cmp_gt_i32_e64 s7, 16, v12
	v_min_i32_e32 v13, 15, v12
	v_cmp_eq_u32_e64 s10, 0, v12
	s_delay_alu instid0(VALU_DEP_2) | instskip(SKIP_1) | instid1(VALU_DEP_2)
	v_dual_cndmask_b32 v11, 0, v11, s7 :: v_dual_lshlrev_b32 v13, 3, v13
	v_cndmask_b32_e64 v10, 7, v10, s7
	v_and_b32_e32 v13, 0xf8, v13
	s_delay_alu instid0(VALU_DEP_2) | instskip(NEXT) | instid1(VALU_DEP_2)
	v_cmp_eq_u64_e64 s7, 0, v[10:11]
	v_and_or_b32 v10, v10, 7, v13
	s_and_b32 s7, s10, s7
	s_delay_alu instid0(VALU_DEP_1) | instid1(SALU_CYCLE_1)
	v_cndmask_b32_e64 v10, v10, 0, s7
	s_delay_alu instid0(VALU_DEP_1)
	v_or_b32_e32 v10, v10, v15
.LBB4_3893:                             ;   in Loop: Header=BB4_3403 Depth=2
	s_or_b32 exec_lo, exec_lo, s40
                                        ; implicit-def: $vgpr15
.LBB4_3894:                             ;   in Loop: Header=BB4_3403 Depth=2
	s_and_not1_saveexec_b32 s7, s29
; %bb.3895:                             ;   in Loop: Header=BB4_3403 Depth=2
	v_or_b32_e32 v10, 0x7e, v15
; %bb.3896:                             ;   in Loop: Header=BB4_3403 Depth=2
	s_or_b32 exec_lo, exec_lo, s7
                                        ; implicit-def: $vgpr12
.LBB4_3897:                             ;   in Loop: Header=BB4_3403 Depth=2
	s_and_not1_saveexec_b32 s7, s11
	s_cbranch_execz .LBB4_3402
; %bb.3898:                             ;   in Loop: Header=BB4_3403 Depth=2
	v_or_b32_e32 v10, 0x7f, v12
	s_branch .LBB4_3402
.LBB4_3899:                             ;   in Loop: Header=BB4_2331 Depth=1
	s_or_b32 exec_lo, exec_lo, s28
.LBB4_3900:                             ;   in Loop: Header=BB4_2331 Depth=1
	s_delay_alu instid0(SALU_CYCLE_1) | instskip(SKIP_3) | instid1(VALU_DEP_1)
	s_or_b32 exec_lo, exec_lo, s27
	v_dual_mov_b32 v20, 0 :: v_dual_bitop2_b32 v10, 15, v118 bitop3:0x40
	s_mov_b32 s10, 0
	s_mov_b32 s11, exec_lo
                                        ; implicit-def: $vgpr22
	v_cndmask_b32_e32 v21, v102, v10, vcc_lo
                                        ; implicit-def: $vgpr10
	s_delay_alu instid0(VALU_DEP_1)
	v_cmpx_ne_u32_e32 0, v21
	s_cbranch_execz .LBB4_3902
; %bb.3901:                             ;   in Loop: Header=BB4_2331 Depth=1
	v_cmp_lt_i32_e64 s7, 0, v101
	v_and_b32_e32 v11, 0x1f0, v118
	s_mov_b32 s10, exec_lo
	s_delay_alu instid0(VALU_DEP_1) | instskip(NEXT) | instid1(VALU_DEP_1)
	v_dual_cndmask_b32 v10, 0, v52, s7 :: v_dual_cndmask_b32 v11, 0, v11, vcc_lo
	v_sub_nc_u32_e32 v10, v10, v101
	s_delay_alu instid0(VALU_DEP_2) | instskip(NEXT) | instid1(VALU_DEP_2)
	v_and_or_b32 v20, 0x3ffffe00, v118, v11
	v_lshl_add_u32 v22, v10, 5, v100
	s_delay_alu instid0(VALU_DEP_1) | instskip(NEXT) | instid1(VALU_DEP_1)
	v_ashrrev_i32_e32 v10, 31, v22
	v_lshrrev_b32_e32 v10, 27, v10
	s_delay_alu instid0(VALU_DEP_1) | instskip(NEXT) | instid1(VALU_DEP_1)
	v_add_nc_u32_e32 v10, v22, v10
	v_ashrrev_i32_e32 v10, 5, v10
.LBB4_3902:                             ;   in Loop: Header=BB4_2331 Depth=1
	s_or_b32 exec_lo, exec_lo, s11
	s_delay_alu instid0(SALU_CYCLE_1)
	s_and_b32 s7, s10, exec_lo
.LBB4_3903:                             ;   in Loop: Header=BB4_2331 Depth=1
	s_or_b32 exec_lo, exec_lo, s26
	s_and_saveexec_b32 s10, s7
	s_cbranch_execz .LBB4_4524
.LBB4_3904:                             ;   in Loop: Header=BB4_2331 Depth=1
	v_lshrrev_b32_e32 v11, 9, v21
	s_mov_b32 s11, exec_lo
	s_delay_alu instid0(VALU_DEP_1) | instskip(SKIP_1) | instid1(VALU_DEP_1)
	v_sub_nc_u32_e32 v23, v11, v10
	v_ashrrev_i32_e32 v11, 31, v22
	v_lshrrev_b32_e32 v24, 27, v11
	s_delay_alu instid0(VALU_DEP_3)
	v_cmpx_lt_i32_e32 0, v23
	s_cbranch_execz .LBB4_4484
; %bb.3905:                             ;   in Loop: Header=BB4_2331 Depth=1
	s_delay_alu instid0(VALU_DEP_2)
	v_dual_add_nc_u32 v11, v22, v24 :: v_dual_lshlrev_b32 v10, 9, v10
	s_trap 2
	ds_load_b64 v[12:13], v0
	v_add_nc_u64_e32 v[16:17], 0x1e0, v[86:87]
	v_and_b32_e32 v11, 0xffffffe0, v11
	s_mov_b32 s26, 0
	s_delay_alu instid0(VALU_DEP_1) | instskip(NEXT) | instid1(VALU_DEP_1)
	v_sub_nc_u32_e32 v11, v22, v11
	v_add3_u32 v14, v20, v11, v10
	s_delay_alu instid0(VALU_DEP_1) | instskip(NEXT) | instid1(VALU_DEP_1)
	v_ashrrev_i32_e32 v15, 31, v14
	v_add_nc_u64_e32 v[10:11], v[14:15], v[84:85]
	s_wait_dscnt 0x0
	v_add_nc_u64_e32 v[12:13], v[12:13], v[14:15]
	v_add_nc_u64_e32 v[14:15], v[16:17], v[14:15]
	s_branch .LBB4_3907
.LBB4_3906:                             ;   in Loop: Header=BB4_3907 Depth=2
	s_or_b32 exec_lo, exec_lo, s7
	v_sub_nc_u32_e32 v23, v23, v52
	s_clause 0xf
	flat_store_b8 v[14:15], v84 offset:-480 th:TH_STORE_NT
	flat_store_b8 v[14:15], v87 offset:-448 th:TH_STORE_NT
	;; [unrolled: 1-line block ×15, first 2 shown]
	flat_store_b8 v[14:15], v17 th:TH_STORE_NT
	v_add_nc_u64_e32 v[10:11], v[10:11], v[70:71]
	v_add_nc_u64_e32 v[12:13], v[12:13], v[70:71]
	v_cmp_gt_i32_e32 vcc_lo, 1, v23
	s_wait_xcnt 0x0
	v_add_nc_u64_e32 v[14:15], v[14:15], v[70:71]
	s_or_b32 s26, vcc_lo, s26
	s_delay_alu instid0(SALU_CYCLE_1)
	s_and_not1_b32 exec_lo, exec_lo, s26
	s_cbranch_execz .LBB4_4483
.LBB4_3907:                             ;   Parent Loop BB4_2331 Depth=1
                                        ; =>  This Inner Loop Header: Depth=2
	s_clause 0xf
	flat_load_u8 v19, v[10:11] th:TH_LOAD_NT
	flat_load_u8 v63, v[10:11] offset:32 th:TH_LOAD_NT
	flat_load_u8 v62, v[10:11] offset:64 th:TH_LOAD_NT
	;; [unrolled: 1-line block ×15, first 2 shown]
	s_clause 0xf
	flat_load_u8 v16, v[12:13] th:TH_LOAD_NT
	flat_load_u8 v87, v[12:13] offset:32 th:TH_LOAD_NT
	flat_load_u8 v98, v[12:13] offset:64 th:TH_LOAD_NT
	;; [unrolled: 1-line block ×15, first 2 shown]
	v_dual_mov_b32 v17, 0 :: v_dual_mov_b32 v18, 0
	s_mov_b32 s7, exec_lo
	s_wait_loadcnt_dscnt 0x1f1f
	s_wait_xcnt 0x0
	v_cmpx_ne_u16_e32 0, v19
	s_cbranch_execz .LBB4_3915
; %bb.3908:                             ;   in Loop: Header=BB4_3907 Depth=2
	v_bfrev_b32_e32 v18, 1
	s_mov_b32 s27, exec_lo
	v_cmpx_ne_u16_e32 0x80, v19
	s_cbranch_execz .LBB4_3914
; %bb.3909:                             ;   in Loop: Header=BB4_3907 Depth=2
	v_and_b32_e32 v54, 0xffff, v19
	v_mov_b32_e32 v18, 0x7f800001
	s_mov_b32 s28, exec_lo
	s_delay_alu instid0(VALU_DEP_2) | instskip(NEXT) | instid1(VALU_DEP_1)
	v_and_b32_e32 v84, 0x7f, v54
	v_cmpx_ne_u32_e32 0x7f, v84
	s_cbranch_execz .LBB4_3913
; %bb.3910:                             ;   in Loop: Header=BB4_3907 Depth=2
	v_dual_lshrrev_b32 v18, 3, v84 :: v_dual_bitop2_b32 v54, 7, v54 bitop3:0x40
	s_mov_b32 s29, exec_lo
	v_cmpx_gt_u32_e32 8, v84
; %bb.3911:                             ;   in Loop: Header=BB4_3907 Depth=2
	s_delay_alu instid0(VALU_DEP_2) | instskip(NEXT) | instid1(VALU_DEP_1)
	v_clz_i32_u32_e32 v18, v54
	v_min_u32_e32 v18, 32, v18
	s_delay_alu instid0(VALU_DEP_1) | instskip(NEXT) | instid1(VALU_DEP_1)
	v_subrev_nc_u32_e32 v84, 28, v18
	v_lshlrev_b64_e32 v[72:73], v84, v[54:55]
	s_delay_alu instid0(VALU_DEP_1)
	v_dual_sub_nc_u32 v18, 29, v18 :: v_dual_bitop2_b32 v54, 7, v72 bitop3:0x40
; %bb.3912:                             ;   in Loop: Header=BB4_3907 Depth=2
	s_or_b32 exec_lo, exec_lo, s29
	s_delay_alu instid0(VALU_DEP_1) | instskip(NEXT) | instid1(VALU_DEP_2)
	v_dual_lshlrev_b32 v19, 24, v19 :: v_dual_lshlrev_b32 v54, 20, v54
	v_lshl_add_u32 v18, v18, 23, 0x3c000000
	s_delay_alu instid0(VALU_DEP_2) | instskip(NEXT) | instid1(VALU_DEP_1)
	v_and_b32_e32 v19, 0x80000000, v19
	v_or3_b32 v18, v54, v19, v18
.LBB4_3913:                             ;   in Loop: Header=BB4_3907 Depth=2
	s_or_b32 exec_lo, exec_lo, s28
.LBB4_3914:                             ;   in Loop: Header=BB4_3907 Depth=2
	s_delay_alu instid0(SALU_CYCLE_1)
	s_or_b32 exec_lo, exec_lo, s27
.LBB4_3915:                             ;   in Loop: Header=BB4_3907 Depth=2
	s_delay_alu instid0(SALU_CYCLE_1) | instskip(SKIP_3) | instid1(VALU_DEP_1)
	s_or_b32 exec_lo, exec_lo, s7
	s_wait_loadcnt_dscnt 0xf0f
	v_and_b32_e32 v19, 0xff, v16
	s_mov_b32 s7, exec_lo
	v_cmpx_ne_u16_e32 0, v19
	s_cbranch_execz .LBB4_3923
; %bb.3916:                             ;   in Loop: Header=BB4_3907 Depth=2
	v_bfrev_b32_e32 v17, 1
	s_mov_b32 s27, exec_lo
	v_cmpx_ne_u16_e32 0x80, v19
	s_cbranch_execz .LBB4_3922
; %bb.3917:                             ;   in Loop: Header=BB4_3907 Depth=2
	v_and_b32_e32 v84, 0x7f, v16
	v_mov_b32_e32 v17, 0x7f800001
	s_mov_b32 s28, exec_lo
	s_delay_alu instid0(VALU_DEP_2)
	v_cmpx_ne_u32_e32 0x7f, v84
	s_cbranch_execz .LBB4_3921
; %bb.3918:                             ;   in Loop: Header=BB4_3907 Depth=2
	v_dual_lshrrev_b32 v17, 3, v84 :: v_dual_bitop2_b32 v54, 7, v19 bitop3:0x40
	s_mov_b32 s29, exec_lo
	v_cmpx_gt_u32_e32 8, v84
; %bb.3919:                             ;   in Loop: Header=BB4_3907 Depth=2
	s_delay_alu instid0(VALU_DEP_2) | instskip(NEXT) | instid1(VALU_DEP_1)
	v_clz_i32_u32_e32 v17, v54
	v_min_u32_e32 v17, 32, v17
	s_delay_alu instid0(VALU_DEP_1) | instskip(NEXT) | instid1(VALU_DEP_1)
	v_subrev_nc_u32_e32 v19, 28, v17
	v_lshlrev_b64_e32 v[72:73], v19, v[54:55]
	s_delay_alu instid0(VALU_DEP_1)
	v_dual_sub_nc_u32 v17, 29, v17 :: v_dual_bitop2_b32 v54, 7, v72 bitop3:0x40
; %bb.3920:                             ;   in Loop: Header=BB4_3907 Depth=2
	s_or_b32 exec_lo, exec_lo, s29
	s_delay_alu instid0(VALU_DEP_1) | instskip(NEXT) | instid1(VALU_DEP_2)
	v_dual_lshlrev_b32 v16, 24, v16 :: v_dual_lshlrev_b32 v19, 20, v54
	v_lshl_add_u32 v17, v17, 23, 0x3c000000
	s_delay_alu instid0(VALU_DEP_2) | instskip(NEXT) | instid1(VALU_DEP_1)
	v_and_b32_e32 v16, 0x80000000, v16
	v_or3_b32 v17, v19, v16, v17
.LBB4_3921:                             ;   in Loop: Header=BB4_3907 Depth=2
	s_or_b32 exec_lo, exec_lo, s28
.LBB4_3922:                             ;   in Loop: Header=BB4_3907 Depth=2
	s_delay_alu instid0(SALU_CYCLE_1)
	s_or_b32 exec_lo, exec_lo, s27
.LBB4_3923:                             ;   in Loop: Header=BB4_3907 Depth=2
	s_delay_alu instid0(SALU_CYCLE_1) | instskip(NEXT) | instid1(VALU_DEP_1)
	s_or_b32 exec_lo, exec_lo, s7
	v_mul_f32_e32 v16, v18, v17
                                        ; implicit-def: $vgpr84
	s_mov_b32 s7, exec_lo
	s_delay_alu instid0(VALU_DEP_1) | instskip(SKIP_1) | instid1(VALU_DEP_2)
	v_and_b32_e32 v54, 0x7f800000, v16
	v_lshrrev_b32_e32 v17, 24, v16
	v_cmpx_ne_u64_e32 0x7f800000, v[54:55]
	s_xor_b32 s27, exec_lo, s7
	s_cbranch_execz .LBB4_3941
; %bb.3924:                             ;   in Loop: Header=BB4_3907 Depth=2
	v_and_b32_e32 v54, 0x7fffffff, v16
	v_and_b32_e32 v72, 0x80, v17
                                        ; implicit-def: $vgpr84
	s_mov_b32 s7, exec_lo
	s_delay_alu instid0(VALU_DEP_2)
	v_cmpx_gt_u64_e32 0x43e00001, v[54:55]
	s_xor_b32 s28, exec_lo, s7
	s_cbranch_execz .LBB4_3938
; %bb.3925:                             ;   in Loop: Header=BB4_3907 Depth=2
	v_mov_b32_e32 v84, 0
	s_mov_b32 s29, exec_lo
	v_cmpx_ne_u32_e32 0, v16
	s_cbranch_execz .LBB4_3937
; %bb.3926:                             ;   in Loop: Header=BB4_3907 Depth=2
	v_bfe_u32 v84, v16, 23, 8
	v_and_b32_e32 v18, 0x7fffff, v16
	s_delay_alu instid0(VALU_DEP_2) | instskip(NEXT) | instid1(VALU_DEP_2)
	v_cmp_gt_u32_e32 vcc_lo, 0x7a, v84
	v_or_b32_e32 v19, 0x800000, v18
	v_sub_nc_u32_e32 v17, 0x79, v84
	s_delay_alu instid0(VALU_DEP_1) | instskip(SKIP_1) | instid1(VALU_DEP_2)
	v_cndmask_b32_e32 v17, 0, v17, vcc_lo
	v_cmp_eq_u32_e32 vcc_lo, 0, v84
	v_cndmask_b32_e64 v73, v17, 0x78, vcc_lo
	s_delay_alu instid0(VALU_DEP_1) | instskip(SKIP_1) | instid1(VALU_DEP_2)
	v_dual_cndmask_b32 v54, v19, v18, vcc_lo :: v_dual_add_nc_u32 v16, 20, v73
	v_add_nc_u32_e32 v74, 19, v73
	v_lshlrev_b64_e64 v[16:17], v16, -1
	s_delay_alu instid0(VALU_DEP_2) | instskip(NEXT) | instid1(VALU_DEP_2)
	v_lshlrev_b64_e64 v[18:19], v74, 1
	v_bfi_b32 v75, v17, 0, 0
	s_delay_alu instid0(VALU_DEP_3) | instskip(SKIP_1) | instid1(VALU_DEP_2)
	v_bfi_b32 v74, v16, 0, v54
	v_lshrrev_b64 v[16:17], v73, v[54:55]
	v_cmp_eq_u64_e64 s7, v[74:75], v[18:19]
	s_delay_alu instid0(VALU_DEP_2)
	v_mov_b64_e32 v[18:19], v[16:17]
	s_and_saveexec_b32 s40, s7
; %bb.3927:                             ;   in Loop: Header=BB4_3907 Depth=2
	v_bfe_u32 v54, v16, 20, 1
	s_delay_alu instid0(VALU_DEP_1) | instskip(NEXT) | instid1(VALU_DEP_1)
	v_add_nc_u64_e32 v[18:19], v[16:17], v[54:55]
	v_add_nc_u64_e32 v[18:19], -1, v[18:19]
; %bb.3928:                             ;   in Loop: Header=BB4_3907 Depth=2
	s_or_b32 exec_lo, exec_lo, s40
	v_add_nc_u32_e32 v17, 0xffffff81, v84
	v_lshrrev_b32_e32 v19, 23, v16
	s_mov_b32 s7, exec_lo
	s_delay_alu instid0(VALU_DEP_2) | instskip(NEXT) | instid1(VALU_DEP_1)
	v_cndmask_b32_e64 v17, v17, 0xffffff82, vcc_lo
	v_add3_u32 v19, v73, v17, v19
	v_and_b32_e32 v17, 0xfffff, v18
                                        ; implicit-def: $vgpr18
	s_delay_alu instid0(VALU_DEP_1) | instskip(NEXT) | instid1(VALU_DEP_1)
	v_dual_add_nc_u32 v84, 6, v19 :: v_dual_add_nc_u32 v54, v17, v16
                                        ; implicit-def: $vgpr16_vgpr17
	v_cmpx_ne_u32_e32 0, v84
	s_xor_b32 s7, exec_lo, s7
; %bb.3929:                             ;   in Loop: Header=BB4_3907 Depth=2
	s_delay_alu instid0(VALU_DEP_2) | instskip(SKIP_1) | instid1(VALU_DEP_1)
	v_cmp_lt_u64_e32 vcc_lo, 0xffffff, v[54:55]
	v_add_nc_u32_e32 v16, 7, v19
	v_cndmask_b32_e32 v18, v84, v16, vcc_lo
	v_cndmask_b32_e64 v16, 0, 1, vcc_lo
	s_delay_alu instid0(VALU_DEP_1)
	v_lshrrev_b64 v[16:17], v16, v[54:55]
; %bb.3930:                             ;   in Loop: Header=BB4_3907 Depth=2
	s_and_not1_saveexec_b32 s7, s7
; %bb.3931:                             ;   in Loop: Header=BB4_3907 Depth=2
	v_mov_b64_e32 v[16:17], v[54:55]
	v_bfe_u32 v18, v54, 23, 1
; %bb.3932:                             ;   in Loop: Header=BB4_3907 Depth=2
	s_or_b32 exec_lo, exec_lo, s7
	s_delay_alu instid0(VALU_DEP_2) | instskip(NEXT) | instid1(VALU_DEP_2)
	v_lshrrev_b64 v[16:17], 20, v[16:17]
	v_cmp_gt_i32_e32 vcc_lo, 16, v18
	v_cmp_ne_u32_e64 s7, 0, v18
                                        ; implicit-def: $vgpr84
	s_delay_alu instid0(VALU_DEP_3) | instskip(NEXT) | instid1(VALU_DEP_1)
	v_dual_cndmask_b32 v17, 0, v17 :: v_dual_cndmask_b32 v16, 7, v16
	v_cmp_ne_u64_e32 vcc_lo, 0, v[16:17]
	s_or_b32 s7, s7, vcc_lo
	s_delay_alu instid0(SALU_CYCLE_1) | instskip(NEXT) | instid1(SALU_CYCLE_1)
	s_and_saveexec_b32 s40, s7
	s_xor_b32 s7, exec_lo, s40
; %bb.3933:                             ;   in Loop: Header=BB4_3907 Depth=2
	v_min_i32_e32 v17, 15, v18
	s_delay_alu instid0(VALU_DEP_1) | instskip(NEXT) | instid1(VALU_DEP_1)
	v_lshl_or_b32 v17, v17, 3, v72
                                        ; implicit-def: $vgpr72
	v_and_or_b32 v84, v16, 7, v17
; %bb.3934:                             ;   in Loop: Header=BB4_3907 Depth=2
	s_and_not1_saveexec_b32 s7, s7
; %bb.3935:                             ;   in Loop: Header=BB4_3907 Depth=2
	v_mov_b32_e32 v84, v72
; %bb.3936:                             ;   in Loop: Header=BB4_3907 Depth=2
	s_or_b32 exec_lo, exec_lo, s7
.LBB4_3937:                             ;   in Loop: Header=BB4_3907 Depth=2
	s_delay_alu instid0(SALU_CYCLE_1)
	s_or_b32 exec_lo, exec_lo, s29
                                        ; implicit-def: $vgpr72
.LBB4_3938:                             ;   in Loop: Header=BB4_3907 Depth=2
	s_and_not1_saveexec_b32 s7, s28
; %bb.3939:                             ;   in Loop: Header=BB4_3907 Depth=2
	v_or_b32_e32 v84, 0x7e, v72
; %bb.3940:                             ;   in Loop: Header=BB4_3907 Depth=2
	s_or_b32 exec_lo, exec_lo, s7
                                        ; implicit-def: $vgpr17
.LBB4_3941:                             ;   in Loop: Header=BB4_3907 Depth=2
	s_and_not1_saveexec_b32 s7, s27
; %bb.3942:                             ;   in Loop: Header=BB4_3907 Depth=2
	v_or_b32_e32 v84, 0x7f, v17
; %bb.3943:                             ;   in Loop: Header=BB4_3907 Depth=2
	s_or_b32 exec_lo, exec_lo, s7
	v_and_b32_e32 v18, 0xff, v63
	v_dual_mov_b32 v16, 0 :: v_dual_mov_b32 v17, 0
	s_mov_b32 s7, exec_lo
	s_delay_alu instid0(VALU_DEP_2)
	v_cmpx_ne_u16_e32 0, v18
	s_cbranch_execz .LBB4_3951
; %bb.3944:                             ;   in Loop: Header=BB4_3907 Depth=2
	v_bfrev_b32_e32 v17, 1
	s_mov_b32 s27, exec_lo
	v_cmpx_ne_u16_e32 0x80, v18
	s_cbranch_execz .LBB4_3950
; %bb.3945:                             ;   in Loop: Header=BB4_3907 Depth=2
	v_and_b32_e32 v19, 0x7f, v63
	v_mov_b32_e32 v17, 0x7f800001
	s_mov_b32 s28, exec_lo
	s_delay_alu instid0(VALU_DEP_2)
	v_cmpx_ne_u32_e32 0x7f, v19
	s_cbranch_execz .LBB4_3949
; %bb.3946:                             ;   in Loop: Header=BB4_3907 Depth=2
	v_dual_lshrrev_b32 v17, 3, v19 :: v_dual_bitop2_b32 v54, 7, v18 bitop3:0x40
	s_mov_b32 s29, exec_lo
	v_cmpx_gt_u32_e32 8, v19
; %bb.3947:                             ;   in Loop: Header=BB4_3907 Depth=2
	s_delay_alu instid0(VALU_DEP_2) | instskip(NEXT) | instid1(VALU_DEP_1)
	v_clz_i32_u32_e32 v17, v54
	v_min_u32_e32 v17, 32, v17
	s_delay_alu instid0(VALU_DEP_1) | instskip(NEXT) | instid1(VALU_DEP_1)
	v_subrev_nc_u32_e32 v18, 28, v17
	v_lshlrev_b64_e32 v[18:19], v18, v[54:55]
	s_delay_alu instid0(VALU_DEP_1)
	v_dual_sub_nc_u32 v17, 29, v17 :: v_dual_bitop2_b32 v54, 7, v18 bitop3:0x40
; %bb.3948:                             ;   in Loop: Header=BB4_3907 Depth=2
	s_or_b32 exec_lo, exec_lo, s29
	s_delay_alu instid0(VALU_DEP_1) | instskip(NEXT) | instid1(VALU_DEP_2)
	v_dual_lshlrev_b32 v18, 24, v63 :: v_dual_lshlrev_b32 v19, 20, v54
	v_lshl_add_u32 v17, v17, 23, 0x3c000000
	s_delay_alu instid0(VALU_DEP_2) | instskip(NEXT) | instid1(VALU_DEP_1)
	v_and_b32_e32 v18, 0x80000000, v18
	v_or3_b32 v17, v19, v18, v17
.LBB4_3949:                             ;   in Loop: Header=BB4_3907 Depth=2
	s_or_b32 exec_lo, exec_lo, s28
.LBB4_3950:                             ;   in Loop: Header=BB4_3907 Depth=2
	s_delay_alu instid0(SALU_CYCLE_1)
	s_or_b32 exec_lo, exec_lo, s27
.LBB4_3951:                             ;   in Loop: Header=BB4_3907 Depth=2
	s_delay_alu instid0(SALU_CYCLE_1) | instskip(SKIP_3) | instid1(VALU_DEP_1)
	s_or_b32 exec_lo, exec_lo, s7
	s_wait_loadcnt_dscnt 0xe0e
	v_and_b32_e32 v18, 0xff, v87
	s_mov_b32 s7, exec_lo
	v_cmpx_ne_u16_e32 0, v18
	s_cbranch_execz .LBB4_3959
; %bb.3952:                             ;   in Loop: Header=BB4_3907 Depth=2
	v_bfrev_b32_e32 v16, 1
	s_mov_b32 s27, exec_lo
	v_cmpx_ne_u16_e32 0x80, v18
	s_cbranch_execz .LBB4_3958
; %bb.3953:                             ;   in Loop: Header=BB4_3907 Depth=2
	v_and_b32_e32 v19, 0x7f, v87
	v_mov_b32_e32 v16, 0x7f800001
	s_mov_b32 s28, exec_lo
	s_delay_alu instid0(VALU_DEP_2)
	v_cmpx_ne_u32_e32 0x7f, v19
	s_cbranch_execz .LBB4_3957
; %bb.3954:                             ;   in Loop: Header=BB4_3907 Depth=2
	v_dual_lshrrev_b32 v16, 3, v19 :: v_dual_bitop2_b32 v54, 7, v18 bitop3:0x40
	s_mov_b32 s29, exec_lo
	v_cmpx_gt_u32_e32 8, v19
; %bb.3955:                             ;   in Loop: Header=BB4_3907 Depth=2
	s_delay_alu instid0(VALU_DEP_2) | instskip(NEXT) | instid1(VALU_DEP_1)
	v_clz_i32_u32_e32 v16, v54
	v_min_u32_e32 v16, 32, v16
	s_delay_alu instid0(VALU_DEP_1) | instskip(NEXT) | instid1(VALU_DEP_1)
	v_subrev_nc_u32_e32 v18, 28, v16
	v_lshlrev_b64_e32 v[18:19], v18, v[54:55]
	s_delay_alu instid0(VALU_DEP_1)
	v_dual_sub_nc_u32 v16, 29, v16 :: v_dual_bitop2_b32 v54, 7, v18 bitop3:0x40
; %bb.3956:                             ;   in Loop: Header=BB4_3907 Depth=2
	s_or_b32 exec_lo, exec_lo, s29
	s_delay_alu instid0(VALU_DEP_1) | instskip(NEXT) | instid1(VALU_DEP_2)
	v_dual_lshlrev_b32 v18, 24, v87 :: v_dual_lshlrev_b32 v19, 20, v54
	v_lshl_add_u32 v16, v16, 23, 0x3c000000
	s_delay_alu instid0(VALU_DEP_2) | instskip(NEXT) | instid1(VALU_DEP_1)
	v_and_b32_e32 v18, 0x80000000, v18
	v_or3_b32 v16, v19, v18, v16
.LBB4_3957:                             ;   in Loop: Header=BB4_3907 Depth=2
	s_or_b32 exec_lo, exec_lo, s28
.LBB4_3958:                             ;   in Loop: Header=BB4_3907 Depth=2
	s_delay_alu instid0(SALU_CYCLE_1)
	s_or_b32 exec_lo, exec_lo, s27
.LBB4_3959:                             ;   in Loop: Header=BB4_3907 Depth=2
	s_delay_alu instid0(SALU_CYCLE_1) | instskip(NEXT) | instid1(VALU_DEP_1)
	s_or_b32 exec_lo, exec_lo, s7
	v_mul_f32_e32 v16, v17, v16
                                        ; implicit-def: $vgpr87
	s_mov_b32 s7, exec_lo
	s_delay_alu instid0(VALU_DEP_1) | instskip(SKIP_1) | instid1(VALU_DEP_2)
	v_and_b32_e32 v54, 0x7f800000, v16
	v_lshrrev_b32_e32 v17, 24, v16
	v_cmpx_ne_u64_e32 0x7f800000, v[54:55]
	s_xor_b32 s27, exec_lo, s7
	s_cbranch_execz .LBB4_3977
; %bb.3960:                             ;   in Loop: Header=BB4_3907 Depth=2
	v_and_b32_e32 v54, 0x7fffffff, v16
	v_and_b32_e32 v63, 0x80, v17
                                        ; implicit-def: $vgpr87
	s_mov_b32 s7, exec_lo
	s_delay_alu instid0(VALU_DEP_2)
	v_cmpx_gt_u64_e32 0x43e00001, v[54:55]
	s_xor_b32 s28, exec_lo, s7
	s_cbranch_execz .LBB4_3974
; %bb.3961:                             ;   in Loop: Header=BB4_3907 Depth=2
	v_mov_b32_e32 v87, 0
	s_mov_b32 s29, exec_lo
	v_cmpx_ne_u32_e32 0, v16
	s_cbranch_execz .LBB4_3973
; %bb.3962:                             ;   in Loop: Header=BB4_3907 Depth=2
	v_bfe_u32 v87, v16, 23, 8
	v_and_b32_e32 v18, 0x7fffff, v16
	s_delay_alu instid0(VALU_DEP_2) | instskip(NEXT) | instid1(VALU_DEP_2)
	v_cmp_gt_u32_e32 vcc_lo, 0x7a, v87
	v_or_b32_e32 v19, 0x800000, v18
	v_sub_nc_u32_e32 v17, 0x79, v87
	s_delay_alu instid0(VALU_DEP_1) | instskip(SKIP_1) | instid1(VALU_DEP_2)
	v_cndmask_b32_e32 v17, 0, v17, vcc_lo
	v_cmp_eq_u32_e32 vcc_lo, 0, v87
	v_cndmask_b32_e64 v72, v17, 0x78, vcc_lo
	s_delay_alu instid0(VALU_DEP_1) | instskip(SKIP_1) | instid1(VALU_DEP_2)
	v_dual_cndmask_b32 v54, v19, v18, vcc_lo :: v_dual_add_nc_u32 v16, 20, v72
	v_add_nc_u32_e32 v73, 19, v72
	v_lshlrev_b64_e64 v[16:17], v16, -1
	s_delay_alu instid0(VALU_DEP_2) | instskip(NEXT) | instid1(VALU_DEP_2)
	v_lshlrev_b64_e64 v[18:19], v73, 1
	v_bfi_b32 v75, v17, 0, 0
	s_delay_alu instid0(VALU_DEP_3) | instskip(SKIP_1) | instid1(VALU_DEP_2)
	v_bfi_b32 v74, v16, 0, v54
	v_lshrrev_b64 v[16:17], v72, v[54:55]
	v_cmp_eq_u64_e64 s7, v[74:75], v[18:19]
	s_delay_alu instid0(VALU_DEP_2)
	v_mov_b64_e32 v[18:19], v[16:17]
	s_and_saveexec_b32 s40, s7
; %bb.3963:                             ;   in Loop: Header=BB4_3907 Depth=2
	v_bfe_u32 v54, v16, 20, 1
	s_delay_alu instid0(VALU_DEP_1) | instskip(NEXT) | instid1(VALU_DEP_1)
	v_add_nc_u64_e32 v[18:19], v[16:17], v[54:55]
	v_add_nc_u64_e32 v[18:19], -1, v[18:19]
; %bb.3964:                             ;   in Loop: Header=BB4_3907 Depth=2
	s_or_b32 exec_lo, exec_lo, s40
	v_add_nc_u32_e32 v17, 0xffffff81, v87
	v_lshrrev_b32_e32 v19, 23, v16
	s_mov_b32 s7, exec_lo
	s_delay_alu instid0(VALU_DEP_2) | instskip(NEXT) | instid1(VALU_DEP_1)
	v_cndmask_b32_e64 v17, v17, 0xffffff82, vcc_lo
	v_add3_u32 v19, v72, v17, v19
	v_and_b32_e32 v17, 0xfffff, v18
                                        ; implicit-def: $vgpr18
	s_delay_alu instid0(VALU_DEP_1) | instskip(NEXT) | instid1(VALU_DEP_1)
	v_dual_add_nc_u32 v87, 6, v19 :: v_dual_add_nc_u32 v54, v17, v16
                                        ; implicit-def: $vgpr16_vgpr17
	v_cmpx_ne_u32_e32 0, v87
	s_xor_b32 s7, exec_lo, s7
; %bb.3965:                             ;   in Loop: Header=BB4_3907 Depth=2
	s_delay_alu instid0(VALU_DEP_2) | instskip(SKIP_1) | instid1(VALU_DEP_1)
	v_cmp_lt_u64_e32 vcc_lo, 0xffffff, v[54:55]
	v_add_nc_u32_e32 v16, 7, v19
	v_cndmask_b32_e32 v18, v87, v16, vcc_lo
	v_cndmask_b32_e64 v16, 0, 1, vcc_lo
	s_delay_alu instid0(VALU_DEP_1)
	v_lshrrev_b64 v[16:17], v16, v[54:55]
; %bb.3966:                             ;   in Loop: Header=BB4_3907 Depth=2
	s_and_not1_saveexec_b32 s7, s7
; %bb.3967:                             ;   in Loop: Header=BB4_3907 Depth=2
	v_mov_b64_e32 v[16:17], v[54:55]
	v_bfe_u32 v18, v54, 23, 1
; %bb.3968:                             ;   in Loop: Header=BB4_3907 Depth=2
	s_or_b32 exec_lo, exec_lo, s7
	s_delay_alu instid0(VALU_DEP_2) | instskip(NEXT) | instid1(VALU_DEP_2)
	v_lshrrev_b64 v[16:17], 20, v[16:17]
	v_cmp_gt_i32_e32 vcc_lo, 16, v18
	v_cmp_ne_u32_e64 s7, 0, v18
                                        ; implicit-def: $vgpr87
	s_delay_alu instid0(VALU_DEP_3) | instskip(NEXT) | instid1(VALU_DEP_1)
	v_dual_cndmask_b32 v17, 0, v17 :: v_dual_cndmask_b32 v16, 7, v16
	v_cmp_ne_u64_e32 vcc_lo, 0, v[16:17]
	s_or_b32 s7, s7, vcc_lo
	s_delay_alu instid0(SALU_CYCLE_1) | instskip(NEXT) | instid1(SALU_CYCLE_1)
	s_and_saveexec_b32 s40, s7
	s_xor_b32 s7, exec_lo, s40
; %bb.3969:                             ;   in Loop: Header=BB4_3907 Depth=2
	v_min_i32_e32 v17, 15, v18
	s_delay_alu instid0(VALU_DEP_1) | instskip(NEXT) | instid1(VALU_DEP_1)
	v_lshl_or_b32 v17, v17, 3, v63
                                        ; implicit-def: $vgpr63
	v_and_or_b32 v87, v16, 7, v17
; %bb.3970:                             ;   in Loop: Header=BB4_3907 Depth=2
	s_and_not1_saveexec_b32 s7, s7
; %bb.3971:                             ;   in Loop: Header=BB4_3907 Depth=2
	v_mov_b32_e32 v87, v63
; %bb.3972:                             ;   in Loop: Header=BB4_3907 Depth=2
	s_or_b32 exec_lo, exec_lo, s7
.LBB4_3973:                             ;   in Loop: Header=BB4_3907 Depth=2
	s_delay_alu instid0(SALU_CYCLE_1)
	s_or_b32 exec_lo, exec_lo, s29
                                        ; implicit-def: $vgpr63
.LBB4_3974:                             ;   in Loop: Header=BB4_3907 Depth=2
	s_and_not1_saveexec_b32 s7, s28
; %bb.3975:                             ;   in Loop: Header=BB4_3907 Depth=2
	v_or_b32_e32 v87, 0x7e, v63
; %bb.3976:                             ;   in Loop: Header=BB4_3907 Depth=2
	s_or_b32 exec_lo, exec_lo, s7
                                        ; implicit-def: $vgpr17
.LBB4_3977:                             ;   in Loop: Header=BB4_3907 Depth=2
	s_and_not1_saveexec_b32 s7, s27
; %bb.3978:                             ;   in Loop: Header=BB4_3907 Depth=2
	v_or_b32_e32 v87, 0x7f, v17
; %bb.3979:                             ;   in Loop: Header=BB4_3907 Depth=2
	s_or_b32 exec_lo, exec_lo, s7
	v_and_b32_e32 v18, 0xff, v62
	v_dual_mov_b32 v16, 0 :: v_dual_mov_b32 v17, 0
	s_mov_b32 s7, exec_lo
	s_delay_alu instid0(VALU_DEP_2)
	v_cmpx_ne_u16_e32 0, v18
	s_cbranch_execz .LBB4_3987
; %bb.3980:                             ;   in Loop: Header=BB4_3907 Depth=2
	v_bfrev_b32_e32 v17, 1
	s_mov_b32 s27, exec_lo
	v_cmpx_ne_u16_e32 0x80, v18
	s_cbranch_execz .LBB4_3986
; %bb.3981:                             ;   in Loop: Header=BB4_3907 Depth=2
	v_and_b32_e32 v19, 0x7f, v62
	v_mov_b32_e32 v17, 0x7f800001
	s_mov_b32 s28, exec_lo
	s_delay_alu instid0(VALU_DEP_2)
	v_cmpx_ne_u32_e32 0x7f, v19
	s_cbranch_execz .LBB4_3985
; %bb.3982:                             ;   in Loop: Header=BB4_3907 Depth=2
	v_dual_lshrrev_b32 v17, 3, v19 :: v_dual_bitop2_b32 v54, 7, v18 bitop3:0x40
	s_mov_b32 s29, exec_lo
	v_cmpx_gt_u32_e32 8, v19
; %bb.3983:                             ;   in Loop: Header=BB4_3907 Depth=2
	s_delay_alu instid0(VALU_DEP_2) | instskip(NEXT) | instid1(VALU_DEP_1)
	v_clz_i32_u32_e32 v17, v54
	v_min_u32_e32 v17, 32, v17
	s_delay_alu instid0(VALU_DEP_1) | instskip(NEXT) | instid1(VALU_DEP_1)
	v_subrev_nc_u32_e32 v18, 28, v17
	v_lshlrev_b64_e32 v[18:19], v18, v[54:55]
	s_delay_alu instid0(VALU_DEP_1)
	v_dual_sub_nc_u32 v17, 29, v17 :: v_dual_bitop2_b32 v54, 7, v18 bitop3:0x40
; %bb.3984:                             ;   in Loop: Header=BB4_3907 Depth=2
	s_or_b32 exec_lo, exec_lo, s29
	v_lshlrev_b32_e32 v18, 24, v62
	s_delay_alu instid0(VALU_DEP_2) | instskip(NEXT) | instid1(VALU_DEP_3)
	v_lshlrev_b32_e32 v19, 20, v54
	v_lshl_add_u32 v17, v17, 23, 0x3c000000
	s_delay_alu instid0(VALU_DEP_3) | instskip(NEXT) | instid1(VALU_DEP_1)
	v_and_b32_e32 v18, 0x80000000, v18
	v_or3_b32 v17, v19, v18, v17
.LBB4_3985:                             ;   in Loop: Header=BB4_3907 Depth=2
	s_or_b32 exec_lo, exec_lo, s28
.LBB4_3986:                             ;   in Loop: Header=BB4_3907 Depth=2
	s_delay_alu instid0(SALU_CYCLE_1)
	s_or_b32 exec_lo, exec_lo, s27
.LBB4_3987:                             ;   in Loop: Header=BB4_3907 Depth=2
	s_delay_alu instid0(SALU_CYCLE_1) | instskip(SKIP_3) | instid1(VALU_DEP_1)
	s_or_b32 exec_lo, exec_lo, s7
	s_wait_loadcnt_dscnt 0xd0d
	v_and_b32_e32 v18, 0xff, v98
	s_mov_b32 s7, exec_lo
	v_cmpx_ne_u16_e32 0, v18
	s_cbranch_execz .LBB4_3995
; %bb.3988:                             ;   in Loop: Header=BB4_3907 Depth=2
	v_bfrev_b32_e32 v16, 1
	s_mov_b32 s27, exec_lo
	v_cmpx_ne_u16_e32 0x80, v18
	s_cbranch_execz .LBB4_3994
; %bb.3989:                             ;   in Loop: Header=BB4_3907 Depth=2
	v_and_b32_e32 v19, 0x7f, v98
	v_mov_b32_e32 v16, 0x7f800001
	s_mov_b32 s28, exec_lo
	s_delay_alu instid0(VALU_DEP_2)
	v_cmpx_ne_u32_e32 0x7f, v19
	s_cbranch_execz .LBB4_3993
; %bb.3990:                             ;   in Loop: Header=BB4_3907 Depth=2
	v_dual_lshrrev_b32 v16, 3, v19 :: v_dual_bitop2_b32 v54, 7, v18 bitop3:0x40
	s_mov_b32 s29, exec_lo
	v_cmpx_gt_u32_e32 8, v19
; %bb.3991:                             ;   in Loop: Header=BB4_3907 Depth=2
	s_delay_alu instid0(VALU_DEP_2) | instskip(NEXT) | instid1(VALU_DEP_1)
	v_clz_i32_u32_e32 v16, v54
	v_min_u32_e32 v16, 32, v16
	s_delay_alu instid0(VALU_DEP_1) | instskip(NEXT) | instid1(VALU_DEP_1)
	v_subrev_nc_u32_e32 v18, 28, v16
	v_lshlrev_b64_e32 v[18:19], v18, v[54:55]
	s_delay_alu instid0(VALU_DEP_1)
	v_dual_sub_nc_u32 v16, 29, v16 :: v_dual_bitop2_b32 v54, 7, v18 bitop3:0x40
; %bb.3992:                             ;   in Loop: Header=BB4_3907 Depth=2
	s_or_b32 exec_lo, exec_lo, s29
	v_lshlrev_b32_e32 v18, 24, v98
	s_delay_alu instid0(VALU_DEP_2) | instskip(NEXT) | instid1(VALU_DEP_3)
	v_lshlrev_b32_e32 v19, 20, v54
	v_lshl_add_u32 v16, v16, 23, 0x3c000000
	s_delay_alu instid0(VALU_DEP_3) | instskip(NEXT) | instid1(VALU_DEP_1)
	v_and_b32_e32 v18, 0x80000000, v18
	v_or3_b32 v16, v19, v18, v16
.LBB4_3993:                             ;   in Loop: Header=BB4_3907 Depth=2
	s_or_b32 exec_lo, exec_lo, s28
.LBB4_3994:                             ;   in Loop: Header=BB4_3907 Depth=2
	s_delay_alu instid0(SALU_CYCLE_1)
	s_or_b32 exec_lo, exec_lo, s27
.LBB4_3995:                             ;   in Loop: Header=BB4_3907 Depth=2
	s_delay_alu instid0(SALU_CYCLE_1) | instskip(NEXT) | instid1(VALU_DEP_1)
	s_or_b32 exec_lo, exec_lo, s7
	v_mul_f32_e32 v16, v17, v16
                                        ; implicit-def: $vgpr98
	s_mov_b32 s7, exec_lo
	s_delay_alu instid0(VALU_DEP_1) | instskip(SKIP_1) | instid1(VALU_DEP_2)
	v_and_b32_e32 v54, 0x7f800000, v16
	v_lshrrev_b32_e32 v17, 24, v16
	v_cmpx_ne_u64_e32 0x7f800000, v[54:55]
	s_xor_b32 s27, exec_lo, s7
	s_cbranch_execz .LBB4_4013
; %bb.3996:                             ;   in Loop: Header=BB4_3907 Depth=2
	v_and_b32_e32 v54, 0x7fffffff, v16
	v_and_b32_e32 v62, 0x80, v17
                                        ; implicit-def: $vgpr98
	s_mov_b32 s7, exec_lo
	s_delay_alu instid0(VALU_DEP_2)
	v_cmpx_gt_u64_e32 0x43e00001, v[54:55]
	s_xor_b32 s28, exec_lo, s7
	s_cbranch_execz .LBB4_4010
; %bb.3997:                             ;   in Loop: Header=BB4_3907 Depth=2
	v_mov_b32_e32 v98, 0
	s_mov_b32 s29, exec_lo
	v_cmpx_ne_u32_e32 0, v16
	s_cbranch_execz .LBB4_4009
; %bb.3998:                             ;   in Loop: Header=BB4_3907 Depth=2
	v_bfe_u32 v98, v16, 23, 8
	v_and_b32_e32 v18, 0x7fffff, v16
	s_delay_alu instid0(VALU_DEP_2) | instskip(SKIP_1) | instid1(VALU_DEP_3)
	v_sub_nc_u32_e32 v17, 0x79, v98
	v_cmp_gt_u32_e32 vcc_lo, 0x7a, v98
	v_or_b32_e32 v19, 0x800000, v18
	s_delay_alu instid0(VALU_DEP_3) | instskip(SKIP_1) | instid1(VALU_DEP_2)
	v_cndmask_b32_e32 v17, 0, v17, vcc_lo
	v_cmp_eq_u32_e32 vcc_lo, 0, v98
	v_cndmask_b32_e64 v63, v17, 0x78, vcc_lo
	s_delay_alu instid0(VALU_DEP_1) | instskip(SKIP_1) | instid1(VALU_DEP_2)
	v_dual_cndmask_b32 v54, v19, v18, vcc_lo :: v_dual_add_nc_u32 v72, 19, v63
	v_add_nc_u32_e32 v16, 20, v63
	v_lshlrev_b64_e64 v[18:19], v72, 1
	s_delay_alu instid0(VALU_DEP_2) | instskip(NEXT) | instid1(VALU_DEP_1)
	v_lshlrev_b64_e64 v[16:17], v16, -1
	v_bfi_b32 v73, v17, 0, 0
	s_delay_alu instid0(VALU_DEP_2) | instskip(SKIP_1) | instid1(VALU_DEP_2)
	v_bfi_b32 v72, v16, 0, v54
	v_lshrrev_b64 v[16:17], v63, v[54:55]
	v_cmp_eq_u64_e64 s7, v[72:73], v[18:19]
	s_delay_alu instid0(VALU_DEP_2)
	v_mov_b64_e32 v[18:19], v[16:17]
	s_and_saveexec_b32 s40, s7
; %bb.3999:                             ;   in Loop: Header=BB4_3907 Depth=2
	v_bfe_u32 v54, v16, 20, 1
	s_delay_alu instid0(VALU_DEP_1) | instskip(NEXT) | instid1(VALU_DEP_1)
	v_add_nc_u64_e32 v[18:19], v[16:17], v[54:55]
	v_add_nc_u64_e32 v[18:19], -1, v[18:19]
; %bb.4000:                             ;   in Loop: Header=BB4_3907 Depth=2
	s_or_b32 exec_lo, exec_lo, s40
	v_add_nc_u32_e32 v17, 0xffffff81, v98
	v_lshrrev_b32_e32 v19, 23, v16
	s_mov_b32 s7, exec_lo
	s_delay_alu instid0(VALU_DEP_2) | instskip(NEXT) | instid1(VALU_DEP_1)
	v_cndmask_b32_e64 v17, v17, 0xffffff82, vcc_lo
	v_add3_u32 v19, v63, v17, v19
	v_and_b32_e32 v17, 0xfffff, v18
                                        ; implicit-def: $vgpr18
	s_delay_alu instid0(VALU_DEP_1) | instskip(NEXT) | instid1(VALU_DEP_1)
	v_dual_add_nc_u32 v98, 6, v19 :: v_dual_add_nc_u32 v54, v17, v16
                                        ; implicit-def: $vgpr16_vgpr17
	v_cmpx_ne_u32_e32 0, v98
	s_xor_b32 s7, exec_lo, s7
; %bb.4001:                             ;   in Loop: Header=BB4_3907 Depth=2
	s_delay_alu instid0(VALU_DEP_2) | instskip(SKIP_1) | instid1(VALU_DEP_1)
	v_cmp_lt_u64_e32 vcc_lo, 0xffffff, v[54:55]
	v_add_nc_u32_e32 v16, 7, v19
	v_cndmask_b32_e32 v18, v98, v16, vcc_lo
	v_cndmask_b32_e64 v16, 0, 1, vcc_lo
	s_delay_alu instid0(VALU_DEP_1)
	v_lshrrev_b64 v[16:17], v16, v[54:55]
; %bb.4002:                             ;   in Loop: Header=BB4_3907 Depth=2
	s_and_not1_saveexec_b32 s7, s7
; %bb.4003:                             ;   in Loop: Header=BB4_3907 Depth=2
	v_mov_b64_e32 v[16:17], v[54:55]
	v_bfe_u32 v18, v54, 23, 1
; %bb.4004:                             ;   in Loop: Header=BB4_3907 Depth=2
	s_or_b32 exec_lo, exec_lo, s7
	s_delay_alu instid0(VALU_DEP_2) | instskip(NEXT) | instid1(VALU_DEP_2)
	v_lshrrev_b64 v[16:17], 20, v[16:17]
	v_cmp_gt_i32_e32 vcc_lo, 16, v18
	v_cmp_ne_u32_e64 s7, 0, v18
                                        ; implicit-def: $vgpr98
	s_delay_alu instid0(VALU_DEP_3) | instskip(NEXT) | instid1(VALU_DEP_1)
	v_dual_cndmask_b32 v17, 0, v17 :: v_dual_cndmask_b32 v16, 7, v16
	v_cmp_ne_u64_e32 vcc_lo, 0, v[16:17]
	s_or_b32 s7, s7, vcc_lo
	s_delay_alu instid0(SALU_CYCLE_1) | instskip(NEXT) | instid1(SALU_CYCLE_1)
	s_and_saveexec_b32 s40, s7
	s_xor_b32 s7, exec_lo, s40
; %bb.4005:                             ;   in Loop: Header=BB4_3907 Depth=2
	v_min_i32_e32 v17, 15, v18
	s_delay_alu instid0(VALU_DEP_1) | instskip(NEXT) | instid1(VALU_DEP_1)
	v_lshl_or_b32 v17, v17, 3, v62
                                        ; implicit-def: $vgpr62
	v_and_or_b32 v98, v16, 7, v17
; %bb.4006:                             ;   in Loop: Header=BB4_3907 Depth=2
	s_and_not1_saveexec_b32 s7, s7
; %bb.4007:                             ;   in Loop: Header=BB4_3907 Depth=2
	v_mov_b32_e32 v98, v62
; %bb.4008:                             ;   in Loop: Header=BB4_3907 Depth=2
	s_or_b32 exec_lo, exec_lo, s7
.LBB4_4009:                             ;   in Loop: Header=BB4_3907 Depth=2
	s_delay_alu instid0(SALU_CYCLE_1)
	s_or_b32 exec_lo, exec_lo, s29
                                        ; implicit-def: $vgpr62
.LBB4_4010:                             ;   in Loop: Header=BB4_3907 Depth=2
	s_and_not1_saveexec_b32 s7, s28
; %bb.4011:                             ;   in Loop: Header=BB4_3907 Depth=2
	v_or_b32_e32 v98, 0x7e, v62
; %bb.4012:                             ;   in Loop: Header=BB4_3907 Depth=2
	s_or_b32 exec_lo, exec_lo, s7
                                        ; implicit-def: $vgpr17
.LBB4_4013:                             ;   in Loop: Header=BB4_3907 Depth=2
	s_and_not1_saveexec_b32 s7, s27
; %bb.4014:                             ;   in Loop: Header=BB4_3907 Depth=2
	v_or_b32_e32 v98, 0x7f, v17
; %bb.4015:                             ;   in Loop: Header=BB4_3907 Depth=2
	s_or_b32 exec_lo, exec_lo, s7
	v_and_b32_e32 v18, 0xff, v61
	v_dual_mov_b32 v16, 0 :: v_dual_mov_b32 v17, 0
	s_mov_b32 s7, exec_lo
	s_delay_alu instid0(VALU_DEP_2)
	v_cmpx_ne_u16_e32 0, v18
	s_cbranch_execz .LBB4_4023
; %bb.4016:                             ;   in Loop: Header=BB4_3907 Depth=2
	v_bfrev_b32_e32 v17, 1
	s_mov_b32 s27, exec_lo
	v_cmpx_ne_u16_e32 0x80, v18
	s_cbranch_execz .LBB4_4022
; %bb.4017:                             ;   in Loop: Header=BB4_3907 Depth=2
	v_and_b32_e32 v19, 0x7f, v61
	v_mov_b32_e32 v17, 0x7f800001
	s_mov_b32 s28, exec_lo
	s_delay_alu instid0(VALU_DEP_2)
	v_cmpx_ne_u32_e32 0x7f, v19
	s_cbranch_execz .LBB4_4021
; %bb.4018:                             ;   in Loop: Header=BB4_3907 Depth=2
	v_dual_lshrrev_b32 v17, 3, v19 :: v_dual_bitop2_b32 v54, 7, v18 bitop3:0x40
	s_mov_b32 s29, exec_lo
	v_cmpx_gt_u32_e32 8, v19
; %bb.4019:                             ;   in Loop: Header=BB4_3907 Depth=2
	s_delay_alu instid0(VALU_DEP_2) | instskip(NEXT) | instid1(VALU_DEP_1)
	v_clz_i32_u32_e32 v17, v54
	v_min_u32_e32 v17, 32, v17
	s_delay_alu instid0(VALU_DEP_1) | instskip(NEXT) | instid1(VALU_DEP_1)
	v_subrev_nc_u32_e32 v18, 28, v17
	v_lshlrev_b64_e32 v[18:19], v18, v[54:55]
	s_delay_alu instid0(VALU_DEP_1)
	v_dual_sub_nc_u32 v17, 29, v17 :: v_dual_bitop2_b32 v54, 7, v18 bitop3:0x40
; %bb.4020:                             ;   in Loop: Header=BB4_3907 Depth=2
	s_or_b32 exec_lo, exec_lo, s29
	s_delay_alu instid0(VALU_DEP_1) | instskip(NEXT) | instid1(VALU_DEP_2)
	v_dual_lshlrev_b32 v18, 24, v61 :: v_dual_lshlrev_b32 v19, 20, v54
	v_lshl_add_u32 v17, v17, 23, 0x3c000000
	s_delay_alu instid0(VALU_DEP_2) | instskip(NEXT) | instid1(VALU_DEP_1)
	v_and_b32_e32 v18, 0x80000000, v18
	v_or3_b32 v17, v19, v18, v17
.LBB4_4021:                             ;   in Loop: Header=BB4_3907 Depth=2
	s_or_b32 exec_lo, exec_lo, s28
.LBB4_4022:                             ;   in Loop: Header=BB4_3907 Depth=2
	s_delay_alu instid0(SALU_CYCLE_1)
	s_or_b32 exec_lo, exec_lo, s27
.LBB4_4023:                             ;   in Loop: Header=BB4_3907 Depth=2
	s_delay_alu instid0(SALU_CYCLE_1) | instskip(SKIP_3) | instid1(VALU_DEP_1)
	s_or_b32 exec_lo, exec_lo, s7
	s_wait_loadcnt_dscnt 0xc0c
	v_and_b32_e32 v18, 0xff, v101
	s_mov_b32 s7, exec_lo
	v_cmpx_ne_u16_e32 0, v18
	s_cbranch_execz .LBB4_4031
; %bb.4024:                             ;   in Loop: Header=BB4_3907 Depth=2
	v_bfrev_b32_e32 v16, 1
	s_mov_b32 s27, exec_lo
	v_cmpx_ne_u16_e32 0x80, v18
	s_cbranch_execz .LBB4_4030
; %bb.4025:                             ;   in Loop: Header=BB4_3907 Depth=2
	v_and_b32_e32 v19, 0x7f, v101
	v_mov_b32_e32 v16, 0x7f800001
	s_mov_b32 s28, exec_lo
	s_delay_alu instid0(VALU_DEP_2)
	v_cmpx_ne_u32_e32 0x7f, v19
	s_cbranch_execz .LBB4_4029
; %bb.4026:                             ;   in Loop: Header=BB4_3907 Depth=2
	v_dual_lshrrev_b32 v16, 3, v19 :: v_dual_bitop2_b32 v54, 7, v18 bitop3:0x40
	s_mov_b32 s29, exec_lo
	v_cmpx_gt_u32_e32 8, v19
; %bb.4027:                             ;   in Loop: Header=BB4_3907 Depth=2
	s_delay_alu instid0(VALU_DEP_2) | instskip(NEXT) | instid1(VALU_DEP_1)
	v_clz_i32_u32_e32 v16, v54
	v_min_u32_e32 v16, 32, v16
	s_delay_alu instid0(VALU_DEP_1) | instskip(NEXT) | instid1(VALU_DEP_1)
	v_subrev_nc_u32_e32 v18, 28, v16
	v_lshlrev_b64_e32 v[18:19], v18, v[54:55]
	s_delay_alu instid0(VALU_DEP_1)
	v_dual_sub_nc_u32 v16, 29, v16 :: v_dual_bitop2_b32 v54, 7, v18 bitop3:0x40
; %bb.4028:                             ;   in Loop: Header=BB4_3907 Depth=2
	s_or_b32 exec_lo, exec_lo, s29
	s_delay_alu instid0(VALU_DEP_1) | instskip(NEXT) | instid1(VALU_DEP_2)
	v_dual_lshlrev_b32 v18, 24, v101 :: v_dual_lshlrev_b32 v19, 20, v54
	v_lshl_add_u32 v16, v16, 23, 0x3c000000
	s_delay_alu instid0(VALU_DEP_2) | instskip(NEXT) | instid1(VALU_DEP_1)
	v_and_b32_e32 v18, 0x80000000, v18
	v_or3_b32 v16, v19, v18, v16
.LBB4_4029:                             ;   in Loop: Header=BB4_3907 Depth=2
	s_or_b32 exec_lo, exec_lo, s28
.LBB4_4030:                             ;   in Loop: Header=BB4_3907 Depth=2
	s_delay_alu instid0(SALU_CYCLE_1)
	s_or_b32 exec_lo, exec_lo, s27
.LBB4_4031:                             ;   in Loop: Header=BB4_3907 Depth=2
	s_delay_alu instid0(SALU_CYCLE_1) | instskip(NEXT) | instid1(VALU_DEP_1)
	s_or_b32 exec_lo, exec_lo, s7
	v_mul_f32_e32 v16, v17, v16
                                        ; implicit-def: $vgpr101
	s_mov_b32 s7, exec_lo
	s_delay_alu instid0(VALU_DEP_1) | instskip(SKIP_1) | instid1(VALU_DEP_2)
	v_and_b32_e32 v54, 0x7f800000, v16
	v_lshrrev_b32_e32 v17, 24, v16
	v_cmpx_ne_u64_e32 0x7f800000, v[54:55]
	s_xor_b32 s27, exec_lo, s7
	s_cbranch_execz .LBB4_4049
; %bb.4032:                             ;   in Loop: Header=BB4_3907 Depth=2
	v_and_b32_e32 v54, 0x7fffffff, v16
	v_and_b32_e32 v61, 0x80, v17
                                        ; implicit-def: $vgpr101
	s_mov_b32 s7, exec_lo
	s_delay_alu instid0(VALU_DEP_2)
	v_cmpx_gt_u64_e32 0x43e00001, v[54:55]
	s_xor_b32 s28, exec_lo, s7
	s_cbranch_execz .LBB4_4046
; %bb.4033:                             ;   in Loop: Header=BB4_3907 Depth=2
	v_mov_b32_e32 v101, 0
	s_mov_b32 s29, exec_lo
	v_cmpx_ne_u32_e32 0, v16
	s_cbranch_execz .LBB4_4045
; %bb.4034:                             ;   in Loop: Header=BB4_3907 Depth=2
	v_bfe_u32 v101, v16, 23, 8
	v_and_b32_e32 v18, 0x7fffff, v16
	s_delay_alu instid0(VALU_DEP_2) | instskip(NEXT) | instid1(VALU_DEP_2)
	v_cmp_gt_u32_e32 vcc_lo, 0x7a, v101
	v_or_b32_e32 v19, 0x800000, v18
	v_sub_nc_u32_e32 v17, 0x79, v101
	s_delay_alu instid0(VALU_DEP_1) | instskip(SKIP_1) | instid1(VALU_DEP_2)
	v_cndmask_b32_e32 v17, 0, v17, vcc_lo
	v_cmp_eq_u32_e32 vcc_lo, 0, v101
	v_cndmask_b32_e64 v62, v17, 0x78, vcc_lo
	v_cndmask_b32_e32 v54, v19, v18, vcc_lo
	s_delay_alu instid0(VALU_DEP_2) | instskip(NEXT) | instid1(VALU_DEP_1)
	v_dual_add_nc_u32 v16, 20, v62 :: v_dual_add_nc_u32 v63, 19, v62
	v_lshlrev_b64_e64 v[16:17], v16, -1
	s_delay_alu instid0(VALU_DEP_2) | instskip(NEXT) | instid1(VALU_DEP_2)
	v_lshlrev_b64_e64 v[18:19], v63, 1
	v_bfi_b32 v73, v17, 0, 0
	s_delay_alu instid0(VALU_DEP_3) | instskip(SKIP_1) | instid1(VALU_DEP_2)
	v_bfi_b32 v72, v16, 0, v54
	v_lshrrev_b64 v[16:17], v62, v[54:55]
	v_cmp_eq_u64_e64 s7, v[72:73], v[18:19]
	s_delay_alu instid0(VALU_DEP_2)
	v_mov_b64_e32 v[18:19], v[16:17]
	s_and_saveexec_b32 s40, s7
; %bb.4035:                             ;   in Loop: Header=BB4_3907 Depth=2
	v_bfe_u32 v54, v16, 20, 1
	s_delay_alu instid0(VALU_DEP_1) | instskip(NEXT) | instid1(VALU_DEP_1)
	v_add_nc_u64_e32 v[18:19], v[16:17], v[54:55]
	v_add_nc_u64_e32 v[18:19], -1, v[18:19]
; %bb.4036:                             ;   in Loop: Header=BB4_3907 Depth=2
	s_or_b32 exec_lo, exec_lo, s40
	v_add_nc_u32_e32 v17, 0xffffff81, v101
	v_lshrrev_b32_e32 v19, 23, v16
	s_mov_b32 s7, exec_lo
	s_delay_alu instid0(VALU_DEP_2) | instskip(NEXT) | instid1(VALU_DEP_1)
	v_cndmask_b32_e64 v17, v17, 0xffffff82, vcc_lo
	v_add3_u32 v19, v62, v17, v19
	v_and_b32_e32 v17, 0xfffff, v18
                                        ; implicit-def: $vgpr18
	s_delay_alu instid0(VALU_DEP_1) | instskip(NEXT) | instid1(VALU_DEP_1)
	v_dual_add_nc_u32 v101, 6, v19 :: v_dual_add_nc_u32 v54, v17, v16
                                        ; implicit-def: $vgpr16_vgpr17
	v_cmpx_ne_u32_e32 0, v101
	s_xor_b32 s7, exec_lo, s7
; %bb.4037:                             ;   in Loop: Header=BB4_3907 Depth=2
	s_delay_alu instid0(VALU_DEP_2) | instskip(SKIP_1) | instid1(VALU_DEP_1)
	v_cmp_lt_u64_e32 vcc_lo, 0xffffff, v[54:55]
	v_add_nc_u32_e32 v16, 7, v19
	v_cndmask_b32_e32 v18, v101, v16, vcc_lo
	v_cndmask_b32_e64 v16, 0, 1, vcc_lo
	s_delay_alu instid0(VALU_DEP_1)
	v_lshrrev_b64 v[16:17], v16, v[54:55]
; %bb.4038:                             ;   in Loop: Header=BB4_3907 Depth=2
	s_and_not1_saveexec_b32 s7, s7
; %bb.4039:                             ;   in Loop: Header=BB4_3907 Depth=2
	v_mov_b64_e32 v[16:17], v[54:55]
	v_bfe_u32 v18, v54, 23, 1
; %bb.4040:                             ;   in Loop: Header=BB4_3907 Depth=2
	s_or_b32 exec_lo, exec_lo, s7
	s_delay_alu instid0(VALU_DEP_2) | instskip(NEXT) | instid1(VALU_DEP_2)
	v_lshrrev_b64 v[16:17], 20, v[16:17]
	v_cmp_gt_i32_e32 vcc_lo, 16, v18
	v_cmp_ne_u32_e64 s7, 0, v18
                                        ; implicit-def: $vgpr101
	s_delay_alu instid0(VALU_DEP_3) | instskip(NEXT) | instid1(VALU_DEP_1)
	v_dual_cndmask_b32 v17, 0, v17 :: v_dual_cndmask_b32 v16, 7, v16
	v_cmp_ne_u64_e32 vcc_lo, 0, v[16:17]
	s_or_b32 s7, s7, vcc_lo
	s_delay_alu instid0(SALU_CYCLE_1) | instskip(NEXT) | instid1(SALU_CYCLE_1)
	s_and_saveexec_b32 s40, s7
	s_xor_b32 s7, exec_lo, s40
; %bb.4041:                             ;   in Loop: Header=BB4_3907 Depth=2
	v_min_i32_e32 v17, 15, v18
	s_delay_alu instid0(VALU_DEP_1) | instskip(NEXT) | instid1(VALU_DEP_1)
	v_lshl_or_b32 v17, v17, 3, v61
                                        ; implicit-def: $vgpr61
	v_and_or_b32 v101, v16, 7, v17
; %bb.4042:                             ;   in Loop: Header=BB4_3907 Depth=2
	s_and_not1_saveexec_b32 s7, s7
; %bb.4043:                             ;   in Loop: Header=BB4_3907 Depth=2
	v_mov_b32_e32 v101, v61
; %bb.4044:                             ;   in Loop: Header=BB4_3907 Depth=2
	s_or_b32 exec_lo, exec_lo, s7
.LBB4_4045:                             ;   in Loop: Header=BB4_3907 Depth=2
	s_delay_alu instid0(SALU_CYCLE_1)
	s_or_b32 exec_lo, exec_lo, s29
                                        ; implicit-def: $vgpr61
.LBB4_4046:                             ;   in Loop: Header=BB4_3907 Depth=2
	s_and_not1_saveexec_b32 s7, s28
; %bb.4047:                             ;   in Loop: Header=BB4_3907 Depth=2
	v_or_b32_e32 v101, 0x7e, v61
; %bb.4048:                             ;   in Loop: Header=BB4_3907 Depth=2
	s_or_b32 exec_lo, exec_lo, s7
                                        ; implicit-def: $vgpr17
.LBB4_4049:                             ;   in Loop: Header=BB4_3907 Depth=2
	s_and_not1_saveexec_b32 s7, s27
; %bb.4050:                             ;   in Loop: Header=BB4_3907 Depth=2
	v_or_b32_e32 v101, 0x7f, v17
; %bb.4051:                             ;   in Loop: Header=BB4_3907 Depth=2
	s_or_b32 exec_lo, exec_lo, s7
	v_and_b32_e32 v18, 0xff, v60
	v_dual_mov_b32 v16, 0 :: v_dual_mov_b32 v17, 0
	s_mov_b32 s7, exec_lo
	s_delay_alu instid0(VALU_DEP_2)
	v_cmpx_ne_u16_e32 0, v18
	s_cbranch_execz .LBB4_4059
; %bb.4052:                             ;   in Loop: Header=BB4_3907 Depth=2
	v_bfrev_b32_e32 v17, 1
	s_mov_b32 s27, exec_lo
	v_cmpx_ne_u16_e32 0x80, v18
	s_cbranch_execz .LBB4_4058
; %bb.4053:                             ;   in Loop: Header=BB4_3907 Depth=2
	v_and_b32_e32 v19, 0x7f, v60
	v_mov_b32_e32 v17, 0x7f800001
	s_mov_b32 s28, exec_lo
	s_delay_alu instid0(VALU_DEP_2)
	v_cmpx_ne_u32_e32 0x7f, v19
	s_cbranch_execz .LBB4_4057
; %bb.4054:                             ;   in Loop: Header=BB4_3907 Depth=2
	v_dual_lshrrev_b32 v17, 3, v19 :: v_dual_bitop2_b32 v54, 7, v18 bitop3:0x40
	s_mov_b32 s29, exec_lo
	v_cmpx_gt_u32_e32 8, v19
; %bb.4055:                             ;   in Loop: Header=BB4_3907 Depth=2
	s_delay_alu instid0(VALU_DEP_2) | instskip(NEXT) | instid1(VALU_DEP_1)
	v_clz_i32_u32_e32 v17, v54
	v_min_u32_e32 v17, 32, v17
	s_delay_alu instid0(VALU_DEP_1) | instskip(NEXT) | instid1(VALU_DEP_1)
	v_subrev_nc_u32_e32 v18, 28, v17
	v_lshlrev_b64_e32 v[18:19], v18, v[54:55]
	s_delay_alu instid0(VALU_DEP_1)
	v_dual_sub_nc_u32 v17, 29, v17 :: v_dual_bitop2_b32 v54, 7, v18 bitop3:0x40
; %bb.4056:                             ;   in Loop: Header=BB4_3907 Depth=2
	s_or_b32 exec_lo, exec_lo, s29
	s_delay_alu instid0(VALU_DEP_1) | instskip(NEXT) | instid1(VALU_DEP_2)
	v_dual_lshlrev_b32 v18, 24, v60 :: v_dual_lshlrev_b32 v19, 20, v54
	v_lshl_add_u32 v17, v17, 23, 0x3c000000
	s_delay_alu instid0(VALU_DEP_2) | instskip(NEXT) | instid1(VALU_DEP_1)
	v_and_b32_e32 v18, 0x80000000, v18
	v_or3_b32 v17, v19, v18, v17
.LBB4_4057:                             ;   in Loop: Header=BB4_3907 Depth=2
	s_or_b32 exec_lo, exec_lo, s28
.LBB4_4058:                             ;   in Loop: Header=BB4_3907 Depth=2
	s_delay_alu instid0(SALU_CYCLE_1)
	s_or_b32 exec_lo, exec_lo, s27
.LBB4_4059:                             ;   in Loop: Header=BB4_3907 Depth=2
	s_delay_alu instid0(SALU_CYCLE_1) | instskip(SKIP_3) | instid1(VALU_DEP_1)
	s_or_b32 exec_lo, exec_lo, s7
	s_wait_loadcnt_dscnt 0xb0b
	v_and_b32_e32 v18, 0xff, v112
	s_mov_b32 s7, exec_lo
	v_cmpx_ne_u16_e32 0, v18
	s_cbranch_execz .LBB4_4067
; %bb.4060:                             ;   in Loop: Header=BB4_3907 Depth=2
	v_bfrev_b32_e32 v16, 1
	s_mov_b32 s27, exec_lo
	v_cmpx_ne_u16_e32 0x80, v18
	s_cbranch_execz .LBB4_4066
; %bb.4061:                             ;   in Loop: Header=BB4_3907 Depth=2
	v_and_b32_e32 v19, 0x7f, v112
	v_mov_b32_e32 v16, 0x7f800001
	s_mov_b32 s28, exec_lo
	s_delay_alu instid0(VALU_DEP_2)
	v_cmpx_ne_u32_e32 0x7f, v19
	s_cbranch_execz .LBB4_4065
; %bb.4062:                             ;   in Loop: Header=BB4_3907 Depth=2
	v_dual_lshrrev_b32 v16, 3, v19 :: v_dual_bitop2_b32 v54, 7, v18 bitop3:0x40
	s_mov_b32 s29, exec_lo
	v_cmpx_gt_u32_e32 8, v19
; %bb.4063:                             ;   in Loop: Header=BB4_3907 Depth=2
	s_delay_alu instid0(VALU_DEP_2) | instskip(NEXT) | instid1(VALU_DEP_1)
	v_clz_i32_u32_e32 v16, v54
	v_min_u32_e32 v16, 32, v16
	s_delay_alu instid0(VALU_DEP_1) | instskip(NEXT) | instid1(VALU_DEP_1)
	v_subrev_nc_u32_e32 v18, 28, v16
	v_lshlrev_b64_e32 v[18:19], v18, v[54:55]
	s_delay_alu instid0(VALU_DEP_1)
	v_dual_sub_nc_u32 v16, 29, v16 :: v_dual_bitop2_b32 v54, 7, v18 bitop3:0x40
; %bb.4064:                             ;   in Loop: Header=BB4_3907 Depth=2
	s_or_b32 exec_lo, exec_lo, s29
	s_delay_alu instid0(VALU_DEP_1) | instskip(NEXT) | instid1(VALU_DEP_2)
	v_dual_lshlrev_b32 v18, 24, v112 :: v_dual_lshlrev_b32 v19, 20, v54
	v_lshl_add_u32 v16, v16, 23, 0x3c000000
	s_delay_alu instid0(VALU_DEP_2) | instskip(NEXT) | instid1(VALU_DEP_1)
	v_and_b32_e32 v18, 0x80000000, v18
	v_or3_b32 v16, v19, v18, v16
.LBB4_4065:                             ;   in Loop: Header=BB4_3907 Depth=2
	s_or_b32 exec_lo, exec_lo, s28
.LBB4_4066:                             ;   in Loop: Header=BB4_3907 Depth=2
	s_delay_alu instid0(SALU_CYCLE_1)
	s_or_b32 exec_lo, exec_lo, s27
.LBB4_4067:                             ;   in Loop: Header=BB4_3907 Depth=2
	s_delay_alu instid0(SALU_CYCLE_1) | instskip(NEXT) | instid1(VALU_DEP_1)
	s_or_b32 exec_lo, exec_lo, s7
	v_mul_f32_e32 v16, v17, v16
                                        ; implicit-def: $vgpr112
	s_mov_b32 s7, exec_lo
	s_delay_alu instid0(VALU_DEP_1) | instskip(SKIP_1) | instid1(VALU_DEP_2)
	v_and_b32_e32 v54, 0x7f800000, v16
	v_lshrrev_b32_e32 v17, 24, v16
	v_cmpx_ne_u64_e32 0x7f800000, v[54:55]
	s_xor_b32 s27, exec_lo, s7
	s_cbranch_execz .LBB4_4085
; %bb.4068:                             ;   in Loop: Header=BB4_3907 Depth=2
	v_and_b32_e32 v54, 0x7fffffff, v16
	v_and_b32_e32 v60, 0x80, v17
                                        ; implicit-def: $vgpr112
	s_mov_b32 s7, exec_lo
	s_delay_alu instid0(VALU_DEP_2)
	v_cmpx_gt_u64_e32 0x43e00001, v[54:55]
	s_xor_b32 s28, exec_lo, s7
	s_cbranch_execz .LBB4_4082
; %bb.4069:                             ;   in Loop: Header=BB4_3907 Depth=2
	v_mov_b32_e32 v112, 0
	s_mov_b32 s29, exec_lo
	v_cmpx_ne_u32_e32 0, v16
	s_cbranch_execz .LBB4_4081
; %bb.4070:                             ;   in Loop: Header=BB4_3907 Depth=2
	v_bfe_u32 v112, v16, 23, 8
	v_and_b32_e32 v18, 0x7fffff, v16
	s_delay_alu instid0(VALU_DEP_2) | instskip(NEXT) | instid1(VALU_DEP_2)
	v_cmp_gt_u32_e32 vcc_lo, 0x7a, v112
	v_or_b32_e32 v19, 0x800000, v18
	v_sub_nc_u32_e32 v17, 0x79, v112
	s_delay_alu instid0(VALU_DEP_1) | instskip(SKIP_1) | instid1(VALU_DEP_2)
	v_cndmask_b32_e32 v17, 0, v17, vcc_lo
	v_cmp_eq_u32_e32 vcc_lo, 0, v112
	v_cndmask_b32_e64 v61, v17, 0x78, vcc_lo
	s_delay_alu instid0(VALU_DEP_1) | instskip(SKIP_1) | instid1(VALU_DEP_2)
	v_dual_cndmask_b32 v54, v19, v18, vcc_lo :: v_dual_add_nc_u32 v16, 20, v61
	v_add_nc_u32_e32 v62, 19, v61
	v_lshlrev_b64_e64 v[16:17], v16, -1
	s_delay_alu instid0(VALU_DEP_2) | instskip(NEXT) | instid1(VALU_DEP_2)
	v_lshlrev_b64_e64 v[18:19], v62, 1
	v_bfi_b32 v63, v17, 0, 0
	s_delay_alu instid0(VALU_DEP_3) | instskip(SKIP_1) | instid1(VALU_DEP_2)
	v_bfi_b32 v62, v16, 0, v54
	v_lshrrev_b64 v[16:17], v61, v[54:55]
	v_cmp_eq_u64_e64 s7, v[62:63], v[18:19]
	s_delay_alu instid0(VALU_DEP_2)
	v_mov_b64_e32 v[18:19], v[16:17]
	s_and_saveexec_b32 s40, s7
; %bb.4071:                             ;   in Loop: Header=BB4_3907 Depth=2
	v_bfe_u32 v54, v16, 20, 1
	s_delay_alu instid0(VALU_DEP_1) | instskip(NEXT) | instid1(VALU_DEP_1)
	v_add_nc_u64_e32 v[18:19], v[16:17], v[54:55]
	v_add_nc_u64_e32 v[18:19], -1, v[18:19]
; %bb.4072:                             ;   in Loop: Header=BB4_3907 Depth=2
	s_or_b32 exec_lo, exec_lo, s40
	v_add_nc_u32_e32 v17, 0xffffff81, v112
	v_lshrrev_b32_e32 v19, 23, v16
	s_mov_b32 s7, exec_lo
	s_delay_alu instid0(VALU_DEP_2) | instskip(NEXT) | instid1(VALU_DEP_1)
	v_cndmask_b32_e64 v17, v17, 0xffffff82, vcc_lo
	v_add3_u32 v19, v61, v17, v19
	v_and_b32_e32 v17, 0xfffff, v18
                                        ; implicit-def: $vgpr18
	s_delay_alu instid0(VALU_DEP_1) | instskip(NEXT) | instid1(VALU_DEP_1)
	v_dual_add_nc_u32 v112, 6, v19 :: v_dual_add_nc_u32 v54, v17, v16
                                        ; implicit-def: $vgpr16_vgpr17
	v_cmpx_ne_u32_e32 0, v112
	s_xor_b32 s7, exec_lo, s7
; %bb.4073:                             ;   in Loop: Header=BB4_3907 Depth=2
	s_delay_alu instid0(VALU_DEP_2) | instskip(SKIP_1) | instid1(VALU_DEP_1)
	v_cmp_lt_u64_e32 vcc_lo, 0xffffff, v[54:55]
	v_add_nc_u32_e32 v16, 7, v19
	v_cndmask_b32_e32 v18, v112, v16, vcc_lo
	v_cndmask_b32_e64 v16, 0, 1, vcc_lo
	s_delay_alu instid0(VALU_DEP_1)
	v_lshrrev_b64 v[16:17], v16, v[54:55]
; %bb.4074:                             ;   in Loop: Header=BB4_3907 Depth=2
	s_and_not1_saveexec_b32 s7, s7
; %bb.4075:                             ;   in Loop: Header=BB4_3907 Depth=2
	v_mov_b64_e32 v[16:17], v[54:55]
	v_bfe_u32 v18, v54, 23, 1
; %bb.4076:                             ;   in Loop: Header=BB4_3907 Depth=2
	s_or_b32 exec_lo, exec_lo, s7
	s_delay_alu instid0(VALU_DEP_2) | instskip(NEXT) | instid1(VALU_DEP_2)
	v_lshrrev_b64 v[16:17], 20, v[16:17]
	v_cmp_gt_i32_e32 vcc_lo, 16, v18
	v_cmp_ne_u32_e64 s7, 0, v18
                                        ; implicit-def: $vgpr112
	s_delay_alu instid0(VALU_DEP_3) | instskip(NEXT) | instid1(VALU_DEP_1)
	v_dual_cndmask_b32 v17, 0, v17 :: v_dual_cndmask_b32 v16, 7, v16
	v_cmp_ne_u64_e32 vcc_lo, 0, v[16:17]
	s_or_b32 s7, s7, vcc_lo
	s_delay_alu instid0(SALU_CYCLE_1) | instskip(NEXT) | instid1(SALU_CYCLE_1)
	s_and_saveexec_b32 s40, s7
	s_xor_b32 s7, exec_lo, s40
; %bb.4077:                             ;   in Loop: Header=BB4_3907 Depth=2
	v_min_i32_e32 v17, 15, v18
	s_delay_alu instid0(VALU_DEP_1) | instskip(NEXT) | instid1(VALU_DEP_1)
	v_lshl_or_b32 v17, v17, 3, v60
                                        ; implicit-def: $vgpr60
	v_and_or_b32 v112, v16, 7, v17
; %bb.4078:                             ;   in Loop: Header=BB4_3907 Depth=2
	s_and_not1_saveexec_b32 s7, s7
; %bb.4079:                             ;   in Loop: Header=BB4_3907 Depth=2
	v_mov_b32_e32 v112, v60
; %bb.4080:                             ;   in Loop: Header=BB4_3907 Depth=2
	s_or_b32 exec_lo, exec_lo, s7
.LBB4_4081:                             ;   in Loop: Header=BB4_3907 Depth=2
	s_delay_alu instid0(SALU_CYCLE_1)
	s_or_b32 exec_lo, exec_lo, s29
                                        ; implicit-def: $vgpr60
.LBB4_4082:                             ;   in Loop: Header=BB4_3907 Depth=2
	s_and_not1_saveexec_b32 s7, s28
; %bb.4083:                             ;   in Loop: Header=BB4_3907 Depth=2
	v_or_b32_e32 v112, 0x7e, v60
; %bb.4084:                             ;   in Loop: Header=BB4_3907 Depth=2
	s_or_b32 exec_lo, exec_lo, s7
                                        ; implicit-def: $vgpr17
.LBB4_4085:                             ;   in Loop: Header=BB4_3907 Depth=2
	s_and_not1_saveexec_b32 s7, s27
; %bb.4086:                             ;   in Loop: Header=BB4_3907 Depth=2
	v_or_b32_e32 v112, 0x7f, v17
; %bb.4087:                             ;   in Loop: Header=BB4_3907 Depth=2
	s_or_b32 exec_lo, exec_lo, s7
	v_and_b32_e32 v18, 0xff, v59
	v_dual_mov_b32 v16, 0 :: v_dual_mov_b32 v17, 0
	s_mov_b32 s7, exec_lo
	s_delay_alu instid0(VALU_DEP_2)
	v_cmpx_ne_u16_e32 0, v18
	s_cbranch_execz .LBB4_4095
; %bb.4088:                             ;   in Loop: Header=BB4_3907 Depth=2
	v_bfrev_b32_e32 v17, 1
	s_mov_b32 s27, exec_lo
	v_cmpx_ne_u16_e32 0x80, v18
	s_cbranch_execz .LBB4_4094
; %bb.4089:                             ;   in Loop: Header=BB4_3907 Depth=2
	v_and_b32_e32 v19, 0x7f, v59
	v_mov_b32_e32 v17, 0x7f800001
	s_mov_b32 s28, exec_lo
	s_delay_alu instid0(VALU_DEP_2)
	v_cmpx_ne_u32_e32 0x7f, v19
	s_cbranch_execz .LBB4_4093
; %bb.4090:                             ;   in Loop: Header=BB4_3907 Depth=2
	v_dual_lshrrev_b32 v17, 3, v19 :: v_dual_bitop2_b32 v54, 7, v18 bitop3:0x40
	s_mov_b32 s29, exec_lo
	v_cmpx_gt_u32_e32 8, v19
; %bb.4091:                             ;   in Loop: Header=BB4_3907 Depth=2
	s_delay_alu instid0(VALU_DEP_2) | instskip(NEXT) | instid1(VALU_DEP_1)
	v_clz_i32_u32_e32 v17, v54
	v_min_u32_e32 v17, 32, v17
	s_delay_alu instid0(VALU_DEP_1) | instskip(NEXT) | instid1(VALU_DEP_1)
	v_subrev_nc_u32_e32 v18, 28, v17
	v_lshlrev_b64_e32 v[18:19], v18, v[54:55]
	s_delay_alu instid0(VALU_DEP_1)
	v_dual_sub_nc_u32 v17, 29, v17 :: v_dual_bitop2_b32 v54, 7, v18 bitop3:0x40
; %bb.4092:                             ;   in Loop: Header=BB4_3907 Depth=2
	s_or_b32 exec_lo, exec_lo, s29
	s_delay_alu instid0(VALU_DEP_1) | instskip(NEXT) | instid1(VALU_DEP_2)
	v_dual_lshlrev_b32 v18, 24, v59 :: v_dual_lshlrev_b32 v19, 20, v54
	v_lshl_add_u32 v17, v17, 23, 0x3c000000
	s_delay_alu instid0(VALU_DEP_2) | instskip(NEXT) | instid1(VALU_DEP_1)
	v_and_b32_e32 v18, 0x80000000, v18
	v_or3_b32 v17, v19, v18, v17
.LBB4_4093:                             ;   in Loop: Header=BB4_3907 Depth=2
	s_or_b32 exec_lo, exec_lo, s28
.LBB4_4094:                             ;   in Loop: Header=BB4_3907 Depth=2
	s_delay_alu instid0(SALU_CYCLE_1)
	s_or_b32 exec_lo, exec_lo, s27
.LBB4_4095:                             ;   in Loop: Header=BB4_3907 Depth=2
	s_delay_alu instid0(SALU_CYCLE_1) | instskip(SKIP_3) | instid1(VALU_DEP_1)
	s_or_b32 exec_lo, exec_lo, s7
	s_wait_loadcnt_dscnt 0xa0a
	v_and_b32_e32 v18, 0xff, v41
	s_mov_b32 s7, exec_lo
	v_cmpx_ne_u16_e32 0, v18
	s_cbranch_execz .LBB4_4103
; %bb.4096:                             ;   in Loop: Header=BB4_3907 Depth=2
	v_bfrev_b32_e32 v16, 1
	s_mov_b32 s27, exec_lo
	v_cmpx_ne_u16_e32 0x80, v18
	s_cbranch_execz .LBB4_4102
; %bb.4097:                             ;   in Loop: Header=BB4_3907 Depth=2
	v_and_b32_e32 v19, 0x7f, v41
	v_mov_b32_e32 v16, 0x7f800001
	s_mov_b32 s28, exec_lo
	s_delay_alu instid0(VALU_DEP_2)
	v_cmpx_ne_u32_e32 0x7f, v19
	s_cbranch_execz .LBB4_4101
; %bb.4098:                             ;   in Loop: Header=BB4_3907 Depth=2
	v_dual_lshrrev_b32 v16, 3, v19 :: v_dual_bitop2_b32 v54, 7, v18 bitop3:0x40
	s_mov_b32 s29, exec_lo
	v_cmpx_gt_u32_e32 8, v19
; %bb.4099:                             ;   in Loop: Header=BB4_3907 Depth=2
	s_delay_alu instid0(VALU_DEP_2) | instskip(NEXT) | instid1(VALU_DEP_1)
	v_clz_i32_u32_e32 v16, v54
	v_min_u32_e32 v16, 32, v16
	s_delay_alu instid0(VALU_DEP_1) | instskip(NEXT) | instid1(VALU_DEP_1)
	v_subrev_nc_u32_e32 v18, 28, v16
	v_lshlrev_b64_e32 v[18:19], v18, v[54:55]
	s_delay_alu instid0(VALU_DEP_1)
	v_dual_sub_nc_u32 v16, 29, v16 :: v_dual_bitop2_b32 v54, 7, v18 bitop3:0x40
; %bb.4100:                             ;   in Loop: Header=BB4_3907 Depth=2
	s_or_b32 exec_lo, exec_lo, s29
	s_delay_alu instid0(VALU_DEP_1) | instskip(NEXT) | instid1(VALU_DEP_2)
	v_dual_lshlrev_b32 v18, 24, v41 :: v_dual_lshlrev_b32 v19, 20, v54
	v_lshl_add_u32 v16, v16, 23, 0x3c000000
	s_delay_alu instid0(VALU_DEP_2) | instskip(NEXT) | instid1(VALU_DEP_1)
	v_and_b32_e32 v18, 0x80000000, v18
	v_or3_b32 v16, v19, v18, v16
.LBB4_4101:                             ;   in Loop: Header=BB4_3907 Depth=2
	s_or_b32 exec_lo, exec_lo, s28
.LBB4_4102:                             ;   in Loop: Header=BB4_3907 Depth=2
	s_delay_alu instid0(SALU_CYCLE_1)
	s_or_b32 exec_lo, exec_lo, s27
.LBB4_4103:                             ;   in Loop: Header=BB4_3907 Depth=2
	s_delay_alu instid0(SALU_CYCLE_1) | instskip(NEXT) | instid1(VALU_DEP_1)
	s_or_b32 exec_lo, exec_lo, s7
	v_mul_f32_e32 v16, v17, v16
                                        ; implicit-def: $vgpr41
	s_mov_b32 s7, exec_lo
	s_delay_alu instid0(VALU_DEP_1) | instskip(SKIP_1) | instid1(VALU_DEP_2)
	v_and_b32_e32 v54, 0x7f800000, v16
	v_lshrrev_b32_e32 v17, 24, v16
	v_cmpx_ne_u64_e32 0x7f800000, v[54:55]
	s_xor_b32 s27, exec_lo, s7
	s_cbranch_execz .LBB4_4121
; %bb.4104:                             ;   in Loop: Header=BB4_3907 Depth=2
	v_and_b32_e32 v54, 0x7fffffff, v16
	v_and_b32_e32 v59, 0x80, v17
                                        ; implicit-def: $vgpr41
	s_mov_b32 s7, exec_lo
	s_delay_alu instid0(VALU_DEP_2)
	v_cmpx_gt_u64_e32 0x43e00001, v[54:55]
	s_xor_b32 s28, exec_lo, s7
	s_cbranch_execz .LBB4_4118
; %bb.4105:                             ;   in Loop: Header=BB4_3907 Depth=2
	v_mov_b32_e32 v41, 0
	s_mov_b32 s29, exec_lo
	v_cmpx_ne_u32_e32 0, v16
	s_cbranch_execz .LBB4_4117
; %bb.4106:                             ;   in Loop: Header=BB4_3907 Depth=2
	v_bfe_u32 v41, v16, 23, 8
	v_and_b32_e32 v18, 0x7fffff, v16
	s_delay_alu instid0(VALU_DEP_2) | instskip(NEXT) | instid1(VALU_DEP_2)
	v_cmp_gt_u32_e32 vcc_lo, 0x7a, v41
	v_or_b32_e32 v19, 0x800000, v18
	v_sub_nc_u32_e32 v17, 0x79, v41
	s_delay_alu instid0(VALU_DEP_1) | instskip(SKIP_1) | instid1(VALU_DEP_2)
	v_cndmask_b32_e32 v17, 0, v17, vcc_lo
	v_cmp_eq_u32_e32 vcc_lo, 0, v41
	v_cndmask_b32_e64 v60, v17, 0x78, vcc_lo
	s_delay_alu instid0(VALU_DEP_1) | instskip(SKIP_1) | instid1(VALU_DEP_2)
	v_dual_cndmask_b32 v54, v19, v18, vcc_lo :: v_dual_add_nc_u32 v16, 20, v60
	v_add_nc_u32_e32 v61, 19, v60
	v_lshlrev_b64_e64 v[16:17], v16, -1
	s_delay_alu instid0(VALU_DEP_2) | instskip(NEXT) | instid1(VALU_DEP_2)
	v_lshlrev_b64_e64 v[18:19], v61, 1
	v_bfi_b32 v63, v17, 0, 0
	s_delay_alu instid0(VALU_DEP_3) | instskip(SKIP_1) | instid1(VALU_DEP_2)
	v_bfi_b32 v62, v16, 0, v54
	v_lshrrev_b64 v[16:17], v60, v[54:55]
	v_cmp_eq_u64_e64 s7, v[62:63], v[18:19]
	s_delay_alu instid0(VALU_DEP_2)
	v_mov_b64_e32 v[18:19], v[16:17]
	s_and_saveexec_b32 s40, s7
; %bb.4107:                             ;   in Loop: Header=BB4_3907 Depth=2
	v_bfe_u32 v54, v16, 20, 1
	s_delay_alu instid0(VALU_DEP_1) | instskip(NEXT) | instid1(VALU_DEP_1)
	v_add_nc_u64_e32 v[18:19], v[16:17], v[54:55]
	v_add_nc_u64_e32 v[18:19], -1, v[18:19]
; %bb.4108:                             ;   in Loop: Header=BB4_3907 Depth=2
	s_or_b32 exec_lo, exec_lo, s40
	v_add_nc_u32_e32 v17, 0xffffff81, v41
	v_lshrrev_b32_e32 v19, 23, v16
	s_mov_b32 s7, exec_lo
	s_delay_alu instid0(VALU_DEP_2) | instskip(NEXT) | instid1(VALU_DEP_1)
	v_cndmask_b32_e64 v17, v17, 0xffffff82, vcc_lo
	v_add3_u32 v19, v60, v17, v19
	v_and_b32_e32 v17, 0xfffff, v18
                                        ; implicit-def: $vgpr18
	s_delay_alu instid0(VALU_DEP_1) | instskip(NEXT) | instid1(VALU_DEP_1)
	v_dual_add_nc_u32 v41, 6, v19 :: v_dual_add_nc_u32 v54, v17, v16
                                        ; implicit-def: $vgpr16_vgpr17
	v_cmpx_ne_u32_e32 0, v41
	s_xor_b32 s7, exec_lo, s7
; %bb.4109:                             ;   in Loop: Header=BB4_3907 Depth=2
	s_delay_alu instid0(VALU_DEP_2) | instskip(SKIP_1) | instid1(VALU_DEP_1)
	v_cmp_lt_u64_e32 vcc_lo, 0xffffff, v[54:55]
	v_add_nc_u32_e32 v16, 7, v19
	v_cndmask_b32_e32 v18, v41, v16, vcc_lo
	v_cndmask_b32_e64 v16, 0, 1, vcc_lo
	s_delay_alu instid0(VALU_DEP_1)
	v_lshrrev_b64 v[16:17], v16, v[54:55]
; %bb.4110:                             ;   in Loop: Header=BB4_3907 Depth=2
	s_and_not1_saveexec_b32 s7, s7
; %bb.4111:                             ;   in Loop: Header=BB4_3907 Depth=2
	v_mov_b64_e32 v[16:17], v[54:55]
	v_bfe_u32 v18, v54, 23, 1
; %bb.4112:                             ;   in Loop: Header=BB4_3907 Depth=2
	s_or_b32 exec_lo, exec_lo, s7
	s_delay_alu instid0(VALU_DEP_2) | instskip(NEXT) | instid1(VALU_DEP_2)
	v_lshrrev_b64 v[16:17], 20, v[16:17]
	v_cmp_gt_i32_e32 vcc_lo, 16, v18
	v_cmp_ne_u32_e64 s7, 0, v18
                                        ; implicit-def: $vgpr41
	s_delay_alu instid0(VALU_DEP_3) | instskip(NEXT) | instid1(VALU_DEP_1)
	v_dual_cndmask_b32 v17, 0, v17 :: v_dual_cndmask_b32 v16, 7, v16
	v_cmp_ne_u64_e32 vcc_lo, 0, v[16:17]
	s_or_b32 s7, s7, vcc_lo
	s_delay_alu instid0(SALU_CYCLE_1) | instskip(NEXT) | instid1(SALU_CYCLE_1)
	s_and_saveexec_b32 s40, s7
	s_xor_b32 s7, exec_lo, s40
; %bb.4113:                             ;   in Loop: Header=BB4_3907 Depth=2
	v_min_i32_e32 v17, 15, v18
	s_delay_alu instid0(VALU_DEP_1) | instskip(NEXT) | instid1(VALU_DEP_1)
	v_lshl_or_b32 v17, v17, 3, v59
                                        ; implicit-def: $vgpr59
	v_and_or_b32 v41, v16, 7, v17
; %bb.4114:                             ;   in Loop: Header=BB4_3907 Depth=2
	s_and_not1_saveexec_b32 s7, s7
; %bb.4115:                             ;   in Loop: Header=BB4_3907 Depth=2
	v_mov_b32_e32 v41, v59
; %bb.4116:                             ;   in Loop: Header=BB4_3907 Depth=2
	s_or_b32 exec_lo, exec_lo, s7
.LBB4_4117:                             ;   in Loop: Header=BB4_3907 Depth=2
	s_delay_alu instid0(SALU_CYCLE_1)
	s_or_b32 exec_lo, exec_lo, s29
                                        ; implicit-def: $vgpr59
.LBB4_4118:                             ;   in Loop: Header=BB4_3907 Depth=2
	s_and_not1_saveexec_b32 s7, s28
; %bb.4119:                             ;   in Loop: Header=BB4_3907 Depth=2
	v_or_b32_e32 v41, 0x7e, v59
; %bb.4120:                             ;   in Loop: Header=BB4_3907 Depth=2
	s_or_b32 exec_lo, exec_lo, s7
                                        ; implicit-def: $vgpr17
.LBB4_4121:                             ;   in Loop: Header=BB4_3907 Depth=2
	s_and_not1_saveexec_b32 s7, s27
; %bb.4122:                             ;   in Loop: Header=BB4_3907 Depth=2
	v_or_b32_e32 v41, 0x7f, v17
; %bb.4123:                             ;   in Loop: Header=BB4_3907 Depth=2
	s_or_b32 exec_lo, exec_lo, s7
	v_and_b32_e32 v18, 0xff, v58
	v_dual_mov_b32 v16, 0 :: v_dual_mov_b32 v17, 0
	s_mov_b32 s7, exec_lo
	s_delay_alu instid0(VALU_DEP_2)
	v_cmpx_ne_u16_e32 0, v18
	s_cbranch_execz .LBB4_4131
; %bb.4124:                             ;   in Loop: Header=BB4_3907 Depth=2
	v_bfrev_b32_e32 v17, 1
	s_mov_b32 s27, exec_lo
	v_cmpx_ne_u16_e32 0x80, v18
	s_cbranch_execz .LBB4_4130
; %bb.4125:                             ;   in Loop: Header=BB4_3907 Depth=2
	v_and_b32_e32 v19, 0x7f, v58
	v_mov_b32_e32 v17, 0x7f800001
	s_mov_b32 s28, exec_lo
	s_delay_alu instid0(VALU_DEP_2)
	v_cmpx_ne_u32_e32 0x7f, v19
	s_cbranch_execz .LBB4_4129
; %bb.4126:                             ;   in Loop: Header=BB4_3907 Depth=2
	v_dual_lshrrev_b32 v17, 3, v19 :: v_dual_bitop2_b32 v54, 7, v18 bitop3:0x40
	s_mov_b32 s29, exec_lo
	v_cmpx_gt_u32_e32 8, v19
; %bb.4127:                             ;   in Loop: Header=BB4_3907 Depth=2
	s_delay_alu instid0(VALU_DEP_2) | instskip(NEXT) | instid1(VALU_DEP_1)
	v_clz_i32_u32_e32 v17, v54
	v_min_u32_e32 v17, 32, v17
	s_delay_alu instid0(VALU_DEP_1) | instskip(NEXT) | instid1(VALU_DEP_1)
	v_subrev_nc_u32_e32 v18, 28, v17
	v_lshlrev_b64_e32 v[18:19], v18, v[54:55]
	s_delay_alu instid0(VALU_DEP_1)
	v_dual_sub_nc_u32 v17, 29, v17 :: v_dual_bitop2_b32 v54, 7, v18 bitop3:0x40
; %bb.4128:                             ;   in Loop: Header=BB4_3907 Depth=2
	s_or_b32 exec_lo, exec_lo, s29
	v_lshlrev_b32_e32 v18, 24, v58
	s_delay_alu instid0(VALU_DEP_2) | instskip(NEXT) | instid1(VALU_DEP_3)
	v_lshlrev_b32_e32 v19, 20, v54
	v_lshl_add_u32 v17, v17, 23, 0x3c000000
	s_delay_alu instid0(VALU_DEP_3) | instskip(NEXT) | instid1(VALU_DEP_1)
	v_and_b32_e32 v18, 0x80000000, v18
	v_or3_b32 v17, v19, v18, v17
.LBB4_4129:                             ;   in Loop: Header=BB4_3907 Depth=2
	s_or_b32 exec_lo, exec_lo, s28
.LBB4_4130:                             ;   in Loop: Header=BB4_3907 Depth=2
	s_delay_alu instid0(SALU_CYCLE_1)
	s_or_b32 exec_lo, exec_lo, s27
.LBB4_4131:                             ;   in Loop: Header=BB4_3907 Depth=2
	s_delay_alu instid0(SALU_CYCLE_1) | instskip(SKIP_3) | instid1(VALU_DEP_1)
	s_or_b32 exec_lo, exec_lo, s7
	s_wait_loadcnt_dscnt 0x909
	v_and_b32_e32 v18, 0xff, v44
	s_mov_b32 s7, exec_lo
	v_cmpx_ne_u16_e32 0, v18
	s_cbranch_execz .LBB4_4139
; %bb.4132:                             ;   in Loop: Header=BB4_3907 Depth=2
	v_bfrev_b32_e32 v16, 1
	s_mov_b32 s27, exec_lo
	v_cmpx_ne_u16_e32 0x80, v18
	s_cbranch_execz .LBB4_4138
; %bb.4133:                             ;   in Loop: Header=BB4_3907 Depth=2
	v_and_b32_e32 v19, 0x7f, v44
	v_mov_b32_e32 v16, 0x7f800001
	s_mov_b32 s28, exec_lo
	s_delay_alu instid0(VALU_DEP_2)
	v_cmpx_ne_u32_e32 0x7f, v19
	s_cbranch_execz .LBB4_4137
; %bb.4134:                             ;   in Loop: Header=BB4_3907 Depth=2
	v_dual_lshrrev_b32 v16, 3, v19 :: v_dual_bitop2_b32 v54, 7, v18 bitop3:0x40
	s_mov_b32 s29, exec_lo
	v_cmpx_gt_u32_e32 8, v19
; %bb.4135:                             ;   in Loop: Header=BB4_3907 Depth=2
	s_delay_alu instid0(VALU_DEP_2) | instskip(NEXT) | instid1(VALU_DEP_1)
	v_clz_i32_u32_e32 v16, v54
	v_min_u32_e32 v16, 32, v16
	s_delay_alu instid0(VALU_DEP_1) | instskip(NEXT) | instid1(VALU_DEP_1)
	v_subrev_nc_u32_e32 v18, 28, v16
	v_lshlrev_b64_e32 v[18:19], v18, v[54:55]
	s_delay_alu instid0(VALU_DEP_1)
	v_dual_sub_nc_u32 v16, 29, v16 :: v_dual_bitop2_b32 v54, 7, v18 bitop3:0x40
; %bb.4136:                             ;   in Loop: Header=BB4_3907 Depth=2
	s_or_b32 exec_lo, exec_lo, s29
	s_delay_alu instid0(VALU_DEP_1) | instskip(NEXT) | instid1(VALU_DEP_2)
	v_dual_lshlrev_b32 v18, 24, v44 :: v_dual_lshlrev_b32 v19, 20, v54
	v_lshl_add_u32 v16, v16, 23, 0x3c000000
	s_delay_alu instid0(VALU_DEP_2) | instskip(NEXT) | instid1(VALU_DEP_1)
	v_and_b32_e32 v18, 0x80000000, v18
	v_or3_b32 v16, v19, v18, v16
.LBB4_4137:                             ;   in Loop: Header=BB4_3907 Depth=2
	s_or_b32 exec_lo, exec_lo, s28
.LBB4_4138:                             ;   in Loop: Header=BB4_3907 Depth=2
	s_delay_alu instid0(SALU_CYCLE_1)
	s_or_b32 exec_lo, exec_lo, s27
.LBB4_4139:                             ;   in Loop: Header=BB4_3907 Depth=2
	s_delay_alu instid0(SALU_CYCLE_1) | instskip(NEXT) | instid1(VALU_DEP_1)
	s_or_b32 exec_lo, exec_lo, s7
	v_mul_f32_e32 v16, v17, v16
                                        ; implicit-def: $vgpr44
	s_mov_b32 s7, exec_lo
	s_delay_alu instid0(VALU_DEP_1) | instskip(SKIP_1) | instid1(VALU_DEP_2)
	v_and_b32_e32 v54, 0x7f800000, v16
	v_lshrrev_b32_e32 v17, 24, v16
	v_cmpx_ne_u64_e32 0x7f800000, v[54:55]
	s_xor_b32 s27, exec_lo, s7
	s_cbranch_execz .LBB4_4157
; %bb.4140:                             ;   in Loop: Header=BB4_3907 Depth=2
	v_and_b32_e32 v54, 0x7fffffff, v16
	v_and_b32_e32 v58, 0x80, v17
                                        ; implicit-def: $vgpr44
	s_mov_b32 s7, exec_lo
	s_delay_alu instid0(VALU_DEP_2)
	v_cmpx_gt_u64_e32 0x43e00001, v[54:55]
	s_xor_b32 s28, exec_lo, s7
	s_cbranch_execz .LBB4_4154
; %bb.4141:                             ;   in Loop: Header=BB4_3907 Depth=2
	v_mov_b32_e32 v44, 0
	s_mov_b32 s29, exec_lo
	v_cmpx_ne_u32_e32 0, v16
	s_cbranch_execz .LBB4_4153
; %bb.4142:                             ;   in Loop: Header=BB4_3907 Depth=2
	v_bfe_u32 v44, v16, 23, 8
	v_and_b32_e32 v18, 0x7fffff, v16
	s_delay_alu instid0(VALU_DEP_2) | instskip(NEXT) | instid1(VALU_DEP_2)
	v_cmp_gt_u32_e32 vcc_lo, 0x7a, v44
	v_or_b32_e32 v19, 0x800000, v18
	v_sub_nc_u32_e32 v17, 0x79, v44
	s_delay_alu instid0(VALU_DEP_1) | instskip(SKIP_1) | instid1(VALU_DEP_2)
	v_cndmask_b32_e32 v17, 0, v17, vcc_lo
	v_cmp_eq_u32_e32 vcc_lo, 0, v44
	v_cndmask_b32_e64 v59, v17, 0x78, vcc_lo
	s_delay_alu instid0(VALU_DEP_1) | instskip(SKIP_1) | instid1(VALU_DEP_2)
	v_dual_cndmask_b32 v54, v19, v18, vcc_lo :: v_dual_add_nc_u32 v16, 20, v59
	v_add_nc_u32_e32 v60, 19, v59
	v_lshlrev_b64_e64 v[16:17], v16, -1
	s_delay_alu instid0(VALU_DEP_2) | instskip(NEXT) | instid1(VALU_DEP_2)
	v_lshlrev_b64_e64 v[18:19], v60, 1
	v_bfi_b32 v61, v17, 0, 0
	s_delay_alu instid0(VALU_DEP_3) | instskip(SKIP_1) | instid1(VALU_DEP_2)
	v_bfi_b32 v60, v16, 0, v54
	v_lshrrev_b64 v[16:17], v59, v[54:55]
	v_cmp_eq_u64_e64 s7, v[60:61], v[18:19]
	s_delay_alu instid0(VALU_DEP_2)
	v_mov_b64_e32 v[18:19], v[16:17]
	s_and_saveexec_b32 s40, s7
; %bb.4143:                             ;   in Loop: Header=BB4_3907 Depth=2
	v_bfe_u32 v54, v16, 20, 1
	s_delay_alu instid0(VALU_DEP_1) | instskip(NEXT) | instid1(VALU_DEP_1)
	v_add_nc_u64_e32 v[18:19], v[16:17], v[54:55]
	v_add_nc_u64_e32 v[18:19], -1, v[18:19]
; %bb.4144:                             ;   in Loop: Header=BB4_3907 Depth=2
	s_or_b32 exec_lo, exec_lo, s40
	v_add_nc_u32_e32 v17, 0xffffff81, v44
	v_lshrrev_b32_e32 v19, 23, v16
	s_mov_b32 s7, exec_lo
	s_delay_alu instid0(VALU_DEP_2) | instskip(NEXT) | instid1(VALU_DEP_1)
	v_cndmask_b32_e64 v17, v17, 0xffffff82, vcc_lo
	v_add3_u32 v19, v59, v17, v19
	v_and_b32_e32 v17, 0xfffff, v18
                                        ; implicit-def: $vgpr18
	s_delay_alu instid0(VALU_DEP_1) | instskip(NEXT) | instid1(VALU_DEP_1)
	v_dual_add_nc_u32 v44, 6, v19 :: v_dual_add_nc_u32 v54, v17, v16
                                        ; implicit-def: $vgpr16_vgpr17
	v_cmpx_ne_u32_e32 0, v44
	s_xor_b32 s7, exec_lo, s7
; %bb.4145:                             ;   in Loop: Header=BB4_3907 Depth=2
	s_delay_alu instid0(VALU_DEP_2) | instskip(SKIP_1) | instid1(VALU_DEP_1)
	v_cmp_lt_u64_e32 vcc_lo, 0xffffff, v[54:55]
	v_add_nc_u32_e32 v16, 7, v19
	v_cndmask_b32_e32 v18, v44, v16, vcc_lo
	v_cndmask_b32_e64 v16, 0, 1, vcc_lo
	s_delay_alu instid0(VALU_DEP_1)
	v_lshrrev_b64 v[16:17], v16, v[54:55]
; %bb.4146:                             ;   in Loop: Header=BB4_3907 Depth=2
	s_and_not1_saveexec_b32 s7, s7
; %bb.4147:                             ;   in Loop: Header=BB4_3907 Depth=2
	v_mov_b64_e32 v[16:17], v[54:55]
	v_bfe_u32 v18, v54, 23, 1
; %bb.4148:                             ;   in Loop: Header=BB4_3907 Depth=2
	s_or_b32 exec_lo, exec_lo, s7
	s_delay_alu instid0(VALU_DEP_2) | instskip(NEXT) | instid1(VALU_DEP_2)
	v_lshrrev_b64 v[16:17], 20, v[16:17]
	v_cmp_gt_i32_e32 vcc_lo, 16, v18
	v_cmp_ne_u32_e64 s7, 0, v18
                                        ; implicit-def: $vgpr44
	s_delay_alu instid0(VALU_DEP_3) | instskip(NEXT) | instid1(VALU_DEP_1)
	v_dual_cndmask_b32 v17, 0, v17 :: v_dual_cndmask_b32 v16, 7, v16
	v_cmp_ne_u64_e32 vcc_lo, 0, v[16:17]
	s_or_b32 s7, s7, vcc_lo
	s_delay_alu instid0(SALU_CYCLE_1) | instskip(NEXT) | instid1(SALU_CYCLE_1)
	s_and_saveexec_b32 s40, s7
	s_xor_b32 s7, exec_lo, s40
; %bb.4149:                             ;   in Loop: Header=BB4_3907 Depth=2
	v_min_i32_e32 v17, 15, v18
	s_delay_alu instid0(VALU_DEP_1) | instskip(NEXT) | instid1(VALU_DEP_1)
	v_lshl_or_b32 v17, v17, 3, v58
                                        ; implicit-def: $vgpr58
	v_and_or_b32 v44, v16, 7, v17
; %bb.4150:                             ;   in Loop: Header=BB4_3907 Depth=2
	s_and_not1_saveexec_b32 s7, s7
; %bb.4151:                             ;   in Loop: Header=BB4_3907 Depth=2
	v_mov_b32_e32 v44, v58
; %bb.4152:                             ;   in Loop: Header=BB4_3907 Depth=2
	s_or_b32 exec_lo, exec_lo, s7
.LBB4_4153:                             ;   in Loop: Header=BB4_3907 Depth=2
	s_delay_alu instid0(SALU_CYCLE_1)
	s_or_b32 exec_lo, exec_lo, s29
                                        ; implicit-def: $vgpr58
.LBB4_4154:                             ;   in Loop: Header=BB4_3907 Depth=2
	s_and_not1_saveexec_b32 s7, s28
; %bb.4155:                             ;   in Loop: Header=BB4_3907 Depth=2
	v_or_b32_e32 v44, 0x7e, v58
; %bb.4156:                             ;   in Loop: Header=BB4_3907 Depth=2
	s_or_b32 exec_lo, exec_lo, s7
                                        ; implicit-def: $vgpr17
.LBB4_4157:                             ;   in Loop: Header=BB4_3907 Depth=2
	s_and_not1_saveexec_b32 s7, s27
; %bb.4158:                             ;   in Loop: Header=BB4_3907 Depth=2
	v_or_b32_e32 v44, 0x7f, v17
; %bb.4159:                             ;   in Loop: Header=BB4_3907 Depth=2
	s_or_b32 exec_lo, exec_lo, s7
	v_and_b32_e32 v18, 0xff, v57
	v_dual_mov_b32 v16, 0 :: v_dual_mov_b32 v17, 0
	s_mov_b32 s7, exec_lo
	s_delay_alu instid0(VALU_DEP_2)
	v_cmpx_ne_u16_e32 0, v18
	s_cbranch_execz .LBB4_4167
; %bb.4160:                             ;   in Loop: Header=BB4_3907 Depth=2
	v_bfrev_b32_e32 v17, 1
	s_mov_b32 s27, exec_lo
	v_cmpx_ne_u16_e32 0x80, v18
	s_cbranch_execz .LBB4_4166
; %bb.4161:                             ;   in Loop: Header=BB4_3907 Depth=2
	v_and_b32_e32 v19, 0x7f, v57
	v_mov_b32_e32 v17, 0x7f800001
	s_mov_b32 s28, exec_lo
	s_delay_alu instid0(VALU_DEP_2)
	v_cmpx_ne_u32_e32 0x7f, v19
	s_cbranch_execz .LBB4_4165
; %bb.4162:                             ;   in Loop: Header=BB4_3907 Depth=2
	v_dual_lshrrev_b32 v17, 3, v19 :: v_dual_bitop2_b32 v54, 7, v18 bitop3:0x40
	s_mov_b32 s29, exec_lo
	v_cmpx_gt_u32_e32 8, v19
; %bb.4163:                             ;   in Loop: Header=BB4_3907 Depth=2
	s_delay_alu instid0(VALU_DEP_2) | instskip(NEXT) | instid1(VALU_DEP_1)
	v_clz_i32_u32_e32 v17, v54
	v_min_u32_e32 v17, 32, v17
	s_delay_alu instid0(VALU_DEP_1) | instskip(NEXT) | instid1(VALU_DEP_1)
	v_subrev_nc_u32_e32 v18, 28, v17
	v_lshlrev_b64_e32 v[18:19], v18, v[54:55]
	s_delay_alu instid0(VALU_DEP_1)
	v_dual_sub_nc_u32 v17, 29, v17 :: v_dual_bitop2_b32 v54, 7, v18 bitop3:0x40
; %bb.4164:                             ;   in Loop: Header=BB4_3907 Depth=2
	s_or_b32 exec_lo, exec_lo, s29
	s_delay_alu instid0(VALU_DEP_1) | instskip(NEXT) | instid1(VALU_DEP_2)
	v_dual_lshlrev_b32 v18, 24, v57 :: v_dual_lshlrev_b32 v19, 20, v54
	v_lshl_add_u32 v17, v17, 23, 0x3c000000
	s_delay_alu instid0(VALU_DEP_2) | instskip(NEXT) | instid1(VALU_DEP_1)
	v_and_b32_e32 v18, 0x80000000, v18
	v_or3_b32 v17, v19, v18, v17
.LBB4_4165:                             ;   in Loop: Header=BB4_3907 Depth=2
	s_or_b32 exec_lo, exec_lo, s28
.LBB4_4166:                             ;   in Loop: Header=BB4_3907 Depth=2
	s_delay_alu instid0(SALU_CYCLE_1)
	s_or_b32 exec_lo, exec_lo, s27
.LBB4_4167:                             ;   in Loop: Header=BB4_3907 Depth=2
	s_delay_alu instid0(SALU_CYCLE_1) | instskip(SKIP_3) | instid1(VALU_DEP_1)
	s_or_b32 exec_lo, exec_lo, s7
	s_wait_loadcnt_dscnt 0x808
	v_and_b32_e32 v18, 0xff, v47
	s_mov_b32 s7, exec_lo
	v_cmpx_ne_u16_e32 0, v18
	s_cbranch_execz .LBB4_4175
; %bb.4168:                             ;   in Loop: Header=BB4_3907 Depth=2
	v_bfrev_b32_e32 v16, 1
	s_mov_b32 s27, exec_lo
	v_cmpx_ne_u16_e32 0x80, v18
	s_cbranch_execz .LBB4_4174
; %bb.4169:                             ;   in Loop: Header=BB4_3907 Depth=2
	v_and_b32_e32 v19, 0x7f, v47
	v_mov_b32_e32 v16, 0x7f800001
	s_mov_b32 s28, exec_lo
	s_delay_alu instid0(VALU_DEP_2)
	v_cmpx_ne_u32_e32 0x7f, v19
	s_cbranch_execz .LBB4_4173
; %bb.4170:                             ;   in Loop: Header=BB4_3907 Depth=2
	v_dual_lshrrev_b32 v16, 3, v19 :: v_dual_bitop2_b32 v54, 7, v18 bitop3:0x40
	s_mov_b32 s29, exec_lo
	v_cmpx_gt_u32_e32 8, v19
; %bb.4171:                             ;   in Loop: Header=BB4_3907 Depth=2
	s_delay_alu instid0(VALU_DEP_2) | instskip(NEXT) | instid1(VALU_DEP_1)
	v_clz_i32_u32_e32 v16, v54
	v_min_u32_e32 v16, 32, v16
	s_delay_alu instid0(VALU_DEP_1) | instskip(NEXT) | instid1(VALU_DEP_1)
	v_subrev_nc_u32_e32 v18, 28, v16
	v_lshlrev_b64_e32 v[18:19], v18, v[54:55]
	s_delay_alu instid0(VALU_DEP_1)
	v_dual_sub_nc_u32 v16, 29, v16 :: v_dual_bitop2_b32 v54, 7, v18 bitop3:0x40
; %bb.4172:                             ;   in Loop: Header=BB4_3907 Depth=2
	s_or_b32 exec_lo, exec_lo, s29
	s_delay_alu instid0(VALU_DEP_1) | instskip(NEXT) | instid1(VALU_DEP_2)
	v_dual_lshlrev_b32 v18, 24, v47 :: v_dual_lshlrev_b32 v19, 20, v54
	v_lshl_add_u32 v16, v16, 23, 0x3c000000
	s_delay_alu instid0(VALU_DEP_2) | instskip(NEXT) | instid1(VALU_DEP_1)
	v_and_b32_e32 v18, 0x80000000, v18
	v_or3_b32 v16, v19, v18, v16
.LBB4_4173:                             ;   in Loop: Header=BB4_3907 Depth=2
	s_or_b32 exec_lo, exec_lo, s28
.LBB4_4174:                             ;   in Loop: Header=BB4_3907 Depth=2
	s_delay_alu instid0(SALU_CYCLE_1)
	s_or_b32 exec_lo, exec_lo, s27
.LBB4_4175:                             ;   in Loop: Header=BB4_3907 Depth=2
	s_delay_alu instid0(SALU_CYCLE_1) | instskip(NEXT) | instid1(VALU_DEP_1)
	s_or_b32 exec_lo, exec_lo, s7
	v_mul_f32_e32 v16, v17, v16
                                        ; implicit-def: $vgpr47
	s_mov_b32 s7, exec_lo
	s_delay_alu instid0(VALU_DEP_1) | instskip(SKIP_1) | instid1(VALU_DEP_2)
	v_and_b32_e32 v54, 0x7f800000, v16
	v_lshrrev_b32_e32 v17, 24, v16
	v_cmpx_ne_u64_e32 0x7f800000, v[54:55]
	s_xor_b32 s27, exec_lo, s7
	s_cbranch_execz .LBB4_4193
; %bb.4176:                             ;   in Loop: Header=BB4_3907 Depth=2
	v_and_b32_e32 v54, 0x7fffffff, v16
	v_and_b32_e32 v57, 0x80, v17
                                        ; implicit-def: $vgpr47
	s_mov_b32 s7, exec_lo
	s_delay_alu instid0(VALU_DEP_2)
	v_cmpx_gt_u64_e32 0x43e00001, v[54:55]
	s_xor_b32 s28, exec_lo, s7
	s_cbranch_execz .LBB4_4190
; %bb.4177:                             ;   in Loop: Header=BB4_3907 Depth=2
	v_mov_b32_e32 v47, 0
	s_mov_b32 s29, exec_lo
	v_cmpx_ne_u32_e32 0, v16
	s_cbranch_execz .LBB4_4189
; %bb.4178:                             ;   in Loop: Header=BB4_3907 Depth=2
	v_bfe_u32 v47, v16, 23, 8
	v_and_b32_e32 v18, 0x7fffff, v16
	s_delay_alu instid0(VALU_DEP_2) | instskip(NEXT) | instid1(VALU_DEP_2)
	v_cmp_gt_u32_e32 vcc_lo, 0x7a, v47
	v_or_b32_e32 v19, 0x800000, v18
	v_sub_nc_u32_e32 v17, 0x79, v47
	s_delay_alu instid0(VALU_DEP_1) | instskip(SKIP_1) | instid1(VALU_DEP_2)
	v_cndmask_b32_e32 v17, 0, v17, vcc_lo
	v_cmp_eq_u32_e32 vcc_lo, 0, v47
	v_cndmask_b32_e64 v58, v17, 0x78, vcc_lo
	v_cndmask_b32_e32 v54, v19, v18, vcc_lo
	s_delay_alu instid0(VALU_DEP_2) | instskip(NEXT) | instid1(VALU_DEP_1)
	v_dual_add_nc_u32 v16, 20, v58 :: v_dual_add_nc_u32 v59, 19, v58
	v_lshlrev_b64_e64 v[16:17], v16, -1
	s_delay_alu instid0(VALU_DEP_2) | instskip(NEXT) | instid1(VALU_DEP_2)
	v_lshlrev_b64_e64 v[18:19], v59, 1
	v_bfi_b32 v61, v17, 0, 0
	s_delay_alu instid0(VALU_DEP_3) | instskip(SKIP_1) | instid1(VALU_DEP_2)
	v_bfi_b32 v60, v16, 0, v54
	v_lshrrev_b64 v[16:17], v58, v[54:55]
	v_cmp_eq_u64_e64 s7, v[60:61], v[18:19]
	s_delay_alu instid0(VALU_DEP_2)
	v_mov_b64_e32 v[18:19], v[16:17]
	s_and_saveexec_b32 s40, s7
; %bb.4179:                             ;   in Loop: Header=BB4_3907 Depth=2
	v_bfe_u32 v54, v16, 20, 1
	s_delay_alu instid0(VALU_DEP_1) | instskip(NEXT) | instid1(VALU_DEP_1)
	v_add_nc_u64_e32 v[18:19], v[16:17], v[54:55]
	v_add_nc_u64_e32 v[18:19], -1, v[18:19]
; %bb.4180:                             ;   in Loop: Header=BB4_3907 Depth=2
	s_or_b32 exec_lo, exec_lo, s40
	v_add_nc_u32_e32 v17, 0xffffff81, v47
	v_lshrrev_b32_e32 v19, 23, v16
	s_mov_b32 s7, exec_lo
	s_delay_alu instid0(VALU_DEP_2) | instskip(NEXT) | instid1(VALU_DEP_1)
	v_cndmask_b32_e64 v17, v17, 0xffffff82, vcc_lo
	v_add3_u32 v19, v58, v17, v19
	v_and_b32_e32 v17, 0xfffff, v18
                                        ; implicit-def: $vgpr18
	s_delay_alu instid0(VALU_DEP_1) | instskip(NEXT) | instid1(VALU_DEP_1)
	v_dual_add_nc_u32 v47, 6, v19 :: v_dual_add_nc_u32 v54, v17, v16
                                        ; implicit-def: $vgpr16_vgpr17
	v_cmpx_ne_u32_e32 0, v47
	s_xor_b32 s7, exec_lo, s7
; %bb.4181:                             ;   in Loop: Header=BB4_3907 Depth=2
	s_delay_alu instid0(VALU_DEP_2) | instskip(SKIP_1) | instid1(VALU_DEP_1)
	v_cmp_lt_u64_e32 vcc_lo, 0xffffff, v[54:55]
	v_add_nc_u32_e32 v16, 7, v19
	v_cndmask_b32_e32 v18, v47, v16, vcc_lo
	v_cndmask_b32_e64 v16, 0, 1, vcc_lo
	s_delay_alu instid0(VALU_DEP_1)
	v_lshrrev_b64 v[16:17], v16, v[54:55]
; %bb.4182:                             ;   in Loop: Header=BB4_3907 Depth=2
	s_and_not1_saveexec_b32 s7, s7
; %bb.4183:                             ;   in Loop: Header=BB4_3907 Depth=2
	v_mov_b64_e32 v[16:17], v[54:55]
	v_bfe_u32 v18, v54, 23, 1
; %bb.4184:                             ;   in Loop: Header=BB4_3907 Depth=2
	s_or_b32 exec_lo, exec_lo, s7
	s_delay_alu instid0(VALU_DEP_2) | instskip(NEXT) | instid1(VALU_DEP_2)
	v_lshrrev_b64 v[16:17], 20, v[16:17]
	v_cmp_gt_i32_e32 vcc_lo, 16, v18
	v_cmp_ne_u32_e64 s7, 0, v18
                                        ; implicit-def: $vgpr47
	s_delay_alu instid0(VALU_DEP_3) | instskip(NEXT) | instid1(VALU_DEP_1)
	v_dual_cndmask_b32 v17, 0, v17 :: v_dual_cndmask_b32 v16, 7, v16
	v_cmp_ne_u64_e32 vcc_lo, 0, v[16:17]
	s_or_b32 s7, s7, vcc_lo
	s_delay_alu instid0(SALU_CYCLE_1) | instskip(NEXT) | instid1(SALU_CYCLE_1)
	s_and_saveexec_b32 s40, s7
	s_xor_b32 s7, exec_lo, s40
; %bb.4185:                             ;   in Loop: Header=BB4_3907 Depth=2
	v_min_i32_e32 v17, 15, v18
	s_delay_alu instid0(VALU_DEP_1) | instskip(NEXT) | instid1(VALU_DEP_1)
	v_lshl_or_b32 v17, v17, 3, v57
                                        ; implicit-def: $vgpr57
	v_and_or_b32 v47, v16, 7, v17
; %bb.4186:                             ;   in Loop: Header=BB4_3907 Depth=2
	s_and_not1_saveexec_b32 s7, s7
; %bb.4187:                             ;   in Loop: Header=BB4_3907 Depth=2
	v_mov_b32_e32 v47, v57
; %bb.4188:                             ;   in Loop: Header=BB4_3907 Depth=2
	s_or_b32 exec_lo, exec_lo, s7
.LBB4_4189:                             ;   in Loop: Header=BB4_3907 Depth=2
	s_delay_alu instid0(SALU_CYCLE_1)
	s_or_b32 exec_lo, exec_lo, s29
                                        ; implicit-def: $vgpr57
.LBB4_4190:                             ;   in Loop: Header=BB4_3907 Depth=2
	s_and_not1_saveexec_b32 s7, s28
; %bb.4191:                             ;   in Loop: Header=BB4_3907 Depth=2
	v_or_b32_e32 v47, 0x7e, v57
; %bb.4192:                             ;   in Loop: Header=BB4_3907 Depth=2
	s_or_b32 exec_lo, exec_lo, s7
                                        ; implicit-def: $vgpr17
.LBB4_4193:                             ;   in Loop: Header=BB4_3907 Depth=2
	s_and_not1_saveexec_b32 s7, s27
; %bb.4194:                             ;   in Loop: Header=BB4_3907 Depth=2
	v_or_b32_e32 v47, 0x7f, v17
; %bb.4195:                             ;   in Loop: Header=BB4_3907 Depth=2
	s_or_b32 exec_lo, exec_lo, s7
	v_and_b32_e32 v18, 0xff, v56
	v_dual_mov_b32 v16, 0 :: v_dual_mov_b32 v17, 0
	s_mov_b32 s7, exec_lo
	s_delay_alu instid0(VALU_DEP_2)
	v_cmpx_ne_u16_e32 0, v18
	s_cbranch_execz .LBB4_4203
; %bb.4196:                             ;   in Loop: Header=BB4_3907 Depth=2
	v_bfrev_b32_e32 v17, 1
	s_mov_b32 s27, exec_lo
	v_cmpx_ne_u16_e32 0x80, v18
	s_cbranch_execz .LBB4_4202
; %bb.4197:                             ;   in Loop: Header=BB4_3907 Depth=2
	v_and_b32_e32 v19, 0x7f, v56
	v_mov_b32_e32 v17, 0x7f800001
	s_mov_b32 s28, exec_lo
	s_delay_alu instid0(VALU_DEP_2)
	v_cmpx_ne_u32_e32 0x7f, v19
	s_cbranch_execz .LBB4_4201
; %bb.4198:                             ;   in Loop: Header=BB4_3907 Depth=2
	v_dual_lshrrev_b32 v17, 3, v19 :: v_dual_bitop2_b32 v54, 7, v18 bitop3:0x40
	s_mov_b32 s29, exec_lo
	v_cmpx_gt_u32_e32 8, v19
; %bb.4199:                             ;   in Loop: Header=BB4_3907 Depth=2
	s_delay_alu instid0(VALU_DEP_2) | instskip(NEXT) | instid1(VALU_DEP_1)
	v_clz_i32_u32_e32 v17, v54
	v_min_u32_e32 v17, 32, v17
	s_delay_alu instid0(VALU_DEP_1) | instskip(NEXT) | instid1(VALU_DEP_1)
	v_subrev_nc_u32_e32 v18, 28, v17
	v_lshlrev_b64_e32 v[18:19], v18, v[54:55]
	s_delay_alu instid0(VALU_DEP_1)
	v_dual_sub_nc_u32 v17, 29, v17 :: v_dual_bitop2_b32 v54, 7, v18 bitop3:0x40
; %bb.4200:                             ;   in Loop: Header=BB4_3907 Depth=2
	s_or_b32 exec_lo, exec_lo, s29
	s_delay_alu instid0(VALU_DEP_1) | instskip(NEXT) | instid1(VALU_DEP_2)
	v_dual_lshlrev_b32 v18, 24, v56 :: v_dual_lshlrev_b32 v19, 20, v54
	v_lshl_add_u32 v17, v17, 23, 0x3c000000
	s_delay_alu instid0(VALU_DEP_2) | instskip(NEXT) | instid1(VALU_DEP_1)
	v_and_b32_e32 v18, 0x80000000, v18
	v_or3_b32 v17, v19, v18, v17
.LBB4_4201:                             ;   in Loop: Header=BB4_3907 Depth=2
	s_or_b32 exec_lo, exec_lo, s28
.LBB4_4202:                             ;   in Loop: Header=BB4_3907 Depth=2
	s_delay_alu instid0(SALU_CYCLE_1)
	s_or_b32 exec_lo, exec_lo, s27
.LBB4_4203:                             ;   in Loop: Header=BB4_3907 Depth=2
	s_delay_alu instid0(SALU_CYCLE_1) | instskip(SKIP_3) | instid1(VALU_DEP_1)
	s_or_b32 exec_lo, exec_lo, s7
	s_wait_loadcnt_dscnt 0x707
	v_and_b32_e32 v18, 0xff, v46
	s_mov_b32 s7, exec_lo
	v_cmpx_ne_u16_e32 0, v18
	s_cbranch_execz .LBB4_4211
; %bb.4204:                             ;   in Loop: Header=BB4_3907 Depth=2
	v_bfrev_b32_e32 v16, 1
	s_mov_b32 s27, exec_lo
	v_cmpx_ne_u16_e32 0x80, v18
	s_cbranch_execz .LBB4_4210
; %bb.4205:                             ;   in Loop: Header=BB4_3907 Depth=2
	v_and_b32_e32 v19, 0x7f, v46
	v_mov_b32_e32 v16, 0x7f800001
	s_mov_b32 s28, exec_lo
	s_delay_alu instid0(VALU_DEP_2)
	v_cmpx_ne_u32_e32 0x7f, v19
	s_cbranch_execz .LBB4_4209
; %bb.4206:                             ;   in Loop: Header=BB4_3907 Depth=2
	v_dual_lshrrev_b32 v16, 3, v19 :: v_dual_bitop2_b32 v54, 7, v18 bitop3:0x40
	s_mov_b32 s29, exec_lo
	v_cmpx_gt_u32_e32 8, v19
; %bb.4207:                             ;   in Loop: Header=BB4_3907 Depth=2
	s_delay_alu instid0(VALU_DEP_2) | instskip(NEXT) | instid1(VALU_DEP_1)
	v_clz_i32_u32_e32 v16, v54
	v_min_u32_e32 v16, 32, v16
	s_delay_alu instid0(VALU_DEP_1) | instskip(NEXT) | instid1(VALU_DEP_1)
	v_subrev_nc_u32_e32 v18, 28, v16
	v_lshlrev_b64_e32 v[18:19], v18, v[54:55]
	s_delay_alu instid0(VALU_DEP_1)
	v_dual_sub_nc_u32 v16, 29, v16 :: v_dual_bitop2_b32 v54, 7, v18 bitop3:0x40
; %bb.4208:                             ;   in Loop: Header=BB4_3907 Depth=2
	s_or_b32 exec_lo, exec_lo, s29
	v_lshlrev_b32_e32 v18, 24, v46
	s_delay_alu instid0(VALU_DEP_2) | instskip(NEXT) | instid1(VALU_DEP_3)
	v_lshlrev_b32_e32 v19, 20, v54
	v_lshl_add_u32 v16, v16, 23, 0x3c000000
	s_delay_alu instid0(VALU_DEP_3) | instskip(NEXT) | instid1(VALU_DEP_1)
	v_and_b32_e32 v18, 0x80000000, v18
	v_or3_b32 v16, v19, v18, v16
.LBB4_4209:                             ;   in Loop: Header=BB4_3907 Depth=2
	s_or_b32 exec_lo, exec_lo, s28
.LBB4_4210:                             ;   in Loop: Header=BB4_3907 Depth=2
	s_delay_alu instid0(SALU_CYCLE_1)
	s_or_b32 exec_lo, exec_lo, s27
.LBB4_4211:                             ;   in Loop: Header=BB4_3907 Depth=2
	s_delay_alu instid0(SALU_CYCLE_1) | instskip(NEXT) | instid1(VALU_DEP_1)
	s_or_b32 exec_lo, exec_lo, s7
	v_mul_f32_e32 v16, v17, v16
                                        ; implicit-def: $vgpr46
	s_mov_b32 s7, exec_lo
	s_delay_alu instid0(VALU_DEP_1) | instskip(SKIP_1) | instid1(VALU_DEP_2)
	v_and_b32_e32 v54, 0x7f800000, v16
	v_lshrrev_b32_e32 v17, 24, v16
	v_cmpx_ne_u64_e32 0x7f800000, v[54:55]
	s_xor_b32 s27, exec_lo, s7
	s_cbranch_execz .LBB4_4229
; %bb.4212:                             ;   in Loop: Header=BB4_3907 Depth=2
	v_and_b32_e32 v54, 0x7fffffff, v16
	v_and_b32_e32 v56, 0x80, v17
                                        ; implicit-def: $vgpr46
	s_mov_b32 s7, exec_lo
	s_delay_alu instid0(VALU_DEP_2)
	v_cmpx_gt_u64_e32 0x43e00001, v[54:55]
	s_xor_b32 s28, exec_lo, s7
	s_cbranch_execz .LBB4_4226
; %bb.4213:                             ;   in Loop: Header=BB4_3907 Depth=2
	v_mov_b32_e32 v46, 0
	s_mov_b32 s29, exec_lo
	v_cmpx_ne_u32_e32 0, v16
	s_cbranch_execz .LBB4_4225
; %bb.4214:                             ;   in Loop: Header=BB4_3907 Depth=2
	v_bfe_u32 v46, v16, 23, 8
	v_and_b32_e32 v18, 0x7fffff, v16
	s_delay_alu instid0(VALU_DEP_2) | instskip(SKIP_1) | instid1(VALU_DEP_3)
	v_sub_nc_u32_e32 v17, 0x79, v46
	v_cmp_gt_u32_e32 vcc_lo, 0x7a, v46
	v_or_b32_e32 v19, 0x800000, v18
	s_delay_alu instid0(VALU_DEP_3) | instskip(SKIP_1) | instid1(VALU_DEP_3)
	v_cndmask_b32_e32 v17, 0, v17, vcc_lo
	v_cmp_eq_u32_e32 vcc_lo, 0, v46
	v_cndmask_b32_e32 v54, v19, v18, vcc_lo
	s_delay_alu instid0(VALU_DEP_3) | instskip(NEXT) | instid1(VALU_DEP_1)
	v_cndmask_b32_e64 v57, v17, 0x78, vcc_lo
	v_dual_add_nc_u32 v16, 20, v57 :: v_dual_add_nc_u32 v58, 19, v57
	s_delay_alu instid0(VALU_DEP_1) | instskip(NEXT) | instid1(VALU_DEP_2)
	v_lshlrev_b64_e64 v[16:17], v16, -1
	v_lshlrev_b64_e64 v[18:19], v58, 1
	s_delay_alu instid0(VALU_DEP_2) | instskip(NEXT) | instid1(VALU_DEP_3)
	v_bfi_b32 v59, v17, 0, 0
	v_bfi_b32 v58, v16, 0, v54
	v_lshrrev_b64 v[16:17], v57, v[54:55]
	s_delay_alu instid0(VALU_DEP_2) | instskip(NEXT) | instid1(VALU_DEP_2)
	v_cmp_eq_u64_e64 s7, v[58:59], v[18:19]
	v_mov_b64_e32 v[18:19], v[16:17]
	s_and_saveexec_b32 s40, s7
; %bb.4215:                             ;   in Loop: Header=BB4_3907 Depth=2
	v_bfe_u32 v54, v16, 20, 1
	s_delay_alu instid0(VALU_DEP_1) | instskip(NEXT) | instid1(VALU_DEP_1)
	v_add_nc_u64_e32 v[18:19], v[16:17], v[54:55]
	v_add_nc_u64_e32 v[18:19], -1, v[18:19]
; %bb.4216:                             ;   in Loop: Header=BB4_3907 Depth=2
	s_or_b32 exec_lo, exec_lo, s40
	v_add_nc_u32_e32 v17, 0xffffff81, v46
	v_lshrrev_b32_e32 v19, 23, v16
	s_mov_b32 s7, exec_lo
	s_delay_alu instid0(VALU_DEP_2) | instskip(NEXT) | instid1(VALU_DEP_1)
	v_cndmask_b32_e64 v17, v17, 0xffffff82, vcc_lo
	v_add3_u32 v19, v57, v17, v19
	v_and_b32_e32 v17, 0xfffff, v18
                                        ; implicit-def: $vgpr18
	s_delay_alu instid0(VALU_DEP_1) | instskip(NEXT) | instid1(VALU_DEP_1)
	v_dual_add_nc_u32 v46, 6, v19 :: v_dual_add_nc_u32 v54, v17, v16
                                        ; implicit-def: $vgpr16_vgpr17
	v_cmpx_ne_u32_e32 0, v46
	s_xor_b32 s7, exec_lo, s7
; %bb.4217:                             ;   in Loop: Header=BB4_3907 Depth=2
	s_delay_alu instid0(VALU_DEP_2) | instskip(SKIP_1) | instid1(VALU_DEP_1)
	v_cmp_lt_u64_e32 vcc_lo, 0xffffff, v[54:55]
	v_add_nc_u32_e32 v16, 7, v19
	v_cndmask_b32_e32 v18, v46, v16, vcc_lo
	v_cndmask_b32_e64 v16, 0, 1, vcc_lo
	s_delay_alu instid0(VALU_DEP_1)
	v_lshrrev_b64 v[16:17], v16, v[54:55]
; %bb.4218:                             ;   in Loop: Header=BB4_3907 Depth=2
	s_and_not1_saveexec_b32 s7, s7
; %bb.4219:                             ;   in Loop: Header=BB4_3907 Depth=2
	v_mov_b64_e32 v[16:17], v[54:55]
	v_bfe_u32 v18, v54, 23, 1
; %bb.4220:                             ;   in Loop: Header=BB4_3907 Depth=2
	s_or_b32 exec_lo, exec_lo, s7
	s_delay_alu instid0(VALU_DEP_2) | instskip(NEXT) | instid1(VALU_DEP_2)
	v_lshrrev_b64 v[16:17], 20, v[16:17]
	v_cmp_gt_i32_e32 vcc_lo, 16, v18
	v_cmp_ne_u32_e64 s7, 0, v18
                                        ; implicit-def: $vgpr46
	s_delay_alu instid0(VALU_DEP_3) | instskip(NEXT) | instid1(VALU_DEP_1)
	v_dual_cndmask_b32 v17, 0, v17 :: v_dual_cndmask_b32 v16, 7, v16
	v_cmp_ne_u64_e32 vcc_lo, 0, v[16:17]
	s_or_b32 s7, s7, vcc_lo
	s_delay_alu instid0(SALU_CYCLE_1) | instskip(NEXT) | instid1(SALU_CYCLE_1)
	s_and_saveexec_b32 s40, s7
	s_xor_b32 s7, exec_lo, s40
; %bb.4221:                             ;   in Loop: Header=BB4_3907 Depth=2
	v_min_i32_e32 v17, 15, v18
	s_delay_alu instid0(VALU_DEP_1) | instskip(NEXT) | instid1(VALU_DEP_1)
	v_lshl_or_b32 v17, v17, 3, v56
                                        ; implicit-def: $vgpr56
	v_and_or_b32 v46, v16, 7, v17
; %bb.4222:                             ;   in Loop: Header=BB4_3907 Depth=2
	s_and_not1_saveexec_b32 s7, s7
; %bb.4223:                             ;   in Loop: Header=BB4_3907 Depth=2
	v_mov_b32_e32 v46, v56
; %bb.4224:                             ;   in Loop: Header=BB4_3907 Depth=2
	s_or_b32 exec_lo, exec_lo, s7
.LBB4_4225:                             ;   in Loop: Header=BB4_3907 Depth=2
	s_delay_alu instid0(SALU_CYCLE_1)
	s_or_b32 exec_lo, exec_lo, s29
                                        ; implicit-def: $vgpr56
.LBB4_4226:                             ;   in Loop: Header=BB4_3907 Depth=2
	s_and_not1_saveexec_b32 s7, s28
; %bb.4227:                             ;   in Loop: Header=BB4_3907 Depth=2
	v_or_b32_e32 v46, 0x7e, v56
; %bb.4228:                             ;   in Loop: Header=BB4_3907 Depth=2
	s_or_b32 exec_lo, exec_lo, s7
                                        ; implicit-def: $vgpr17
.LBB4_4229:                             ;   in Loop: Header=BB4_3907 Depth=2
	s_and_not1_saveexec_b32 s7, s27
; %bb.4230:                             ;   in Loop: Header=BB4_3907 Depth=2
	v_or_b32_e32 v46, 0x7f, v17
; %bb.4231:                             ;   in Loop: Header=BB4_3907 Depth=2
	s_or_b32 exec_lo, exec_lo, s7
	v_and_b32_e32 v18, 0xff, v45
	v_dual_mov_b32 v16, 0 :: v_dual_mov_b32 v17, 0
	s_mov_b32 s7, exec_lo
	s_delay_alu instid0(VALU_DEP_2)
	v_cmpx_ne_u16_e32 0, v18
	s_cbranch_execz .LBB4_4239
; %bb.4232:                             ;   in Loop: Header=BB4_3907 Depth=2
	v_bfrev_b32_e32 v17, 1
	s_mov_b32 s27, exec_lo
	v_cmpx_ne_u16_e32 0x80, v18
	s_cbranch_execz .LBB4_4238
; %bb.4233:                             ;   in Loop: Header=BB4_3907 Depth=2
	v_and_b32_e32 v19, 0x7f, v45
	v_mov_b32_e32 v17, 0x7f800001
	s_mov_b32 s28, exec_lo
	s_delay_alu instid0(VALU_DEP_2)
	v_cmpx_ne_u32_e32 0x7f, v19
	s_cbranch_execz .LBB4_4237
; %bb.4234:                             ;   in Loop: Header=BB4_3907 Depth=2
	v_dual_lshrrev_b32 v17, 3, v19 :: v_dual_bitop2_b32 v54, 7, v18 bitop3:0x40
	s_mov_b32 s29, exec_lo
	v_cmpx_gt_u32_e32 8, v19
; %bb.4235:                             ;   in Loop: Header=BB4_3907 Depth=2
	s_delay_alu instid0(VALU_DEP_2) | instskip(NEXT) | instid1(VALU_DEP_1)
	v_clz_i32_u32_e32 v17, v54
	v_min_u32_e32 v17, 32, v17
	s_delay_alu instid0(VALU_DEP_1) | instskip(NEXT) | instid1(VALU_DEP_1)
	v_subrev_nc_u32_e32 v18, 28, v17
	v_lshlrev_b64_e32 v[18:19], v18, v[54:55]
	s_delay_alu instid0(VALU_DEP_1)
	v_dual_sub_nc_u32 v17, 29, v17 :: v_dual_bitop2_b32 v54, 7, v18 bitop3:0x40
; %bb.4236:                             ;   in Loop: Header=BB4_3907 Depth=2
	s_or_b32 exec_lo, exec_lo, s29
	s_delay_alu instid0(VALU_DEP_1) | instskip(NEXT) | instid1(VALU_DEP_2)
	v_dual_lshlrev_b32 v18, 24, v45 :: v_dual_lshlrev_b32 v19, 20, v54
	v_lshl_add_u32 v17, v17, 23, 0x3c000000
	s_delay_alu instid0(VALU_DEP_2) | instskip(NEXT) | instid1(VALU_DEP_1)
	v_and_b32_e32 v18, 0x80000000, v18
	v_or3_b32 v17, v19, v18, v17
.LBB4_4237:                             ;   in Loop: Header=BB4_3907 Depth=2
	s_or_b32 exec_lo, exec_lo, s28
.LBB4_4238:                             ;   in Loop: Header=BB4_3907 Depth=2
	s_delay_alu instid0(SALU_CYCLE_1)
	s_or_b32 exec_lo, exec_lo, s27
.LBB4_4239:                             ;   in Loop: Header=BB4_3907 Depth=2
	s_delay_alu instid0(SALU_CYCLE_1) | instskip(SKIP_3) | instid1(VALU_DEP_1)
	s_or_b32 exec_lo, exec_lo, s7
	s_wait_loadcnt_dscnt 0x606
	v_and_b32_e32 v18, 0xff, v43
	s_mov_b32 s7, exec_lo
	v_cmpx_ne_u16_e32 0, v18
	s_cbranch_execz .LBB4_4247
; %bb.4240:                             ;   in Loop: Header=BB4_3907 Depth=2
	v_bfrev_b32_e32 v16, 1
	s_mov_b32 s27, exec_lo
	v_cmpx_ne_u16_e32 0x80, v18
	s_cbranch_execz .LBB4_4246
; %bb.4241:                             ;   in Loop: Header=BB4_3907 Depth=2
	v_and_b32_e32 v19, 0x7f, v43
	v_mov_b32_e32 v16, 0x7f800001
	s_mov_b32 s28, exec_lo
	s_delay_alu instid0(VALU_DEP_2)
	v_cmpx_ne_u32_e32 0x7f, v19
	s_cbranch_execz .LBB4_4245
; %bb.4242:                             ;   in Loop: Header=BB4_3907 Depth=2
	v_dual_lshrrev_b32 v16, 3, v19 :: v_dual_bitop2_b32 v54, 7, v18 bitop3:0x40
	s_mov_b32 s29, exec_lo
	v_cmpx_gt_u32_e32 8, v19
; %bb.4243:                             ;   in Loop: Header=BB4_3907 Depth=2
	s_delay_alu instid0(VALU_DEP_2) | instskip(NEXT) | instid1(VALU_DEP_1)
	v_clz_i32_u32_e32 v16, v54
	v_min_u32_e32 v16, 32, v16
	s_delay_alu instid0(VALU_DEP_1) | instskip(NEXT) | instid1(VALU_DEP_1)
	v_subrev_nc_u32_e32 v18, 28, v16
	v_lshlrev_b64_e32 v[18:19], v18, v[54:55]
	s_delay_alu instid0(VALU_DEP_1)
	v_dual_sub_nc_u32 v16, 29, v16 :: v_dual_bitop2_b32 v54, 7, v18 bitop3:0x40
; %bb.4244:                             ;   in Loop: Header=BB4_3907 Depth=2
	s_or_b32 exec_lo, exec_lo, s29
	s_delay_alu instid0(VALU_DEP_1) | instskip(NEXT) | instid1(VALU_DEP_2)
	v_dual_lshlrev_b32 v18, 24, v43 :: v_dual_lshlrev_b32 v19, 20, v54
	v_lshl_add_u32 v16, v16, 23, 0x3c000000
	s_delay_alu instid0(VALU_DEP_2) | instskip(NEXT) | instid1(VALU_DEP_1)
	v_and_b32_e32 v18, 0x80000000, v18
	v_or3_b32 v16, v19, v18, v16
.LBB4_4245:                             ;   in Loop: Header=BB4_3907 Depth=2
	s_or_b32 exec_lo, exec_lo, s28
.LBB4_4246:                             ;   in Loop: Header=BB4_3907 Depth=2
	s_delay_alu instid0(SALU_CYCLE_1)
	s_or_b32 exec_lo, exec_lo, s27
.LBB4_4247:                             ;   in Loop: Header=BB4_3907 Depth=2
	s_delay_alu instid0(SALU_CYCLE_1) | instskip(NEXT) | instid1(VALU_DEP_1)
	s_or_b32 exec_lo, exec_lo, s7
	v_mul_f32_e32 v16, v17, v16
                                        ; implicit-def: $vgpr43
	s_mov_b32 s7, exec_lo
	s_delay_alu instid0(VALU_DEP_1) | instskip(SKIP_1) | instid1(VALU_DEP_2)
	v_and_b32_e32 v54, 0x7f800000, v16
	v_lshrrev_b32_e32 v17, 24, v16
	v_cmpx_ne_u64_e32 0x7f800000, v[54:55]
	s_xor_b32 s27, exec_lo, s7
	s_cbranch_execz .LBB4_4265
; %bb.4248:                             ;   in Loop: Header=BB4_3907 Depth=2
	v_and_b32_e32 v54, 0x7fffffff, v16
	v_and_b32_e32 v45, 0x80, v17
                                        ; implicit-def: $vgpr43
	s_mov_b32 s7, exec_lo
	s_delay_alu instid0(VALU_DEP_2)
	v_cmpx_gt_u64_e32 0x43e00001, v[54:55]
	s_xor_b32 s28, exec_lo, s7
	s_cbranch_execz .LBB4_4262
; %bb.4249:                             ;   in Loop: Header=BB4_3907 Depth=2
	v_mov_b32_e32 v43, 0
	s_mov_b32 s29, exec_lo
	v_cmpx_ne_u32_e32 0, v16
	s_cbranch_execz .LBB4_4261
; %bb.4250:                             ;   in Loop: Header=BB4_3907 Depth=2
	v_bfe_u32 v43, v16, 23, 8
	v_and_b32_e32 v18, 0x7fffff, v16
	s_delay_alu instid0(VALU_DEP_2) | instskip(NEXT) | instid1(VALU_DEP_2)
	v_cmp_gt_u32_e32 vcc_lo, 0x7a, v43
	v_or_b32_e32 v19, 0x800000, v18
	v_sub_nc_u32_e32 v17, 0x79, v43
	s_delay_alu instid0(VALU_DEP_1) | instskip(SKIP_1) | instid1(VALU_DEP_2)
	v_cndmask_b32_e32 v17, 0, v17, vcc_lo
	v_cmp_eq_u32_e32 vcc_lo, 0, v43
	v_cndmask_b32_e64 v56, v17, 0x78, vcc_lo
	s_delay_alu instid0(VALU_DEP_1) | instskip(SKIP_1) | instid1(VALU_DEP_2)
	v_dual_cndmask_b32 v54, v19, v18, vcc_lo :: v_dual_add_nc_u32 v16, 20, v56
	v_add_nc_u32_e32 v57, 19, v56
	v_lshlrev_b64_e64 v[16:17], v16, -1
	s_delay_alu instid0(VALU_DEP_2) | instskip(NEXT) | instid1(VALU_DEP_2)
	v_lshlrev_b64_e64 v[18:19], v57, 1
	v_bfi_b32 v59, v17, 0, 0
	s_delay_alu instid0(VALU_DEP_3) | instskip(SKIP_1) | instid1(VALU_DEP_2)
	v_bfi_b32 v58, v16, 0, v54
	v_lshrrev_b64 v[16:17], v56, v[54:55]
	v_cmp_eq_u64_e64 s7, v[58:59], v[18:19]
	s_delay_alu instid0(VALU_DEP_2)
	v_mov_b64_e32 v[18:19], v[16:17]
	s_and_saveexec_b32 s40, s7
; %bb.4251:                             ;   in Loop: Header=BB4_3907 Depth=2
	v_bfe_u32 v54, v16, 20, 1
	s_delay_alu instid0(VALU_DEP_1) | instskip(NEXT) | instid1(VALU_DEP_1)
	v_add_nc_u64_e32 v[18:19], v[16:17], v[54:55]
	v_add_nc_u64_e32 v[18:19], -1, v[18:19]
; %bb.4252:                             ;   in Loop: Header=BB4_3907 Depth=2
	s_or_b32 exec_lo, exec_lo, s40
	v_add_nc_u32_e32 v17, 0xffffff81, v43
	v_lshrrev_b32_e32 v19, 23, v16
	s_mov_b32 s7, exec_lo
	s_delay_alu instid0(VALU_DEP_2) | instskip(NEXT) | instid1(VALU_DEP_1)
	v_cndmask_b32_e64 v17, v17, 0xffffff82, vcc_lo
	v_add3_u32 v19, v56, v17, v19
	v_and_b32_e32 v17, 0xfffff, v18
                                        ; implicit-def: $vgpr18
	s_delay_alu instid0(VALU_DEP_1) | instskip(NEXT) | instid1(VALU_DEP_1)
	v_dual_add_nc_u32 v43, 6, v19 :: v_dual_add_nc_u32 v54, v17, v16
                                        ; implicit-def: $vgpr16_vgpr17
	v_cmpx_ne_u32_e32 0, v43
	s_xor_b32 s7, exec_lo, s7
; %bb.4253:                             ;   in Loop: Header=BB4_3907 Depth=2
	s_delay_alu instid0(VALU_DEP_2) | instskip(SKIP_1) | instid1(VALU_DEP_1)
	v_cmp_lt_u64_e32 vcc_lo, 0xffffff, v[54:55]
	v_add_nc_u32_e32 v16, 7, v19
	v_cndmask_b32_e32 v18, v43, v16, vcc_lo
	v_cndmask_b32_e64 v16, 0, 1, vcc_lo
	s_delay_alu instid0(VALU_DEP_1)
	v_lshrrev_b64 v[16:17], v16, v[54:55]
; %bb.4254:                             ;   in Loop: Header=BB4_3907 Depth=2
	s_and_not1_saveexec_b32 s7, s7
; %bb.4255:                             ;   in Loop: Header=BB4_3907 Depth=2
	v_mov_b64_e32 v[16:17], v[54:55]
	v_bfe_u32 v18, v54, 23, 1
; %bb.4256:                             ;   in Loop: Header=BB4_3907 Depth=2
	s_or_b32 exec_lo, exec_lo, s7
	s_delay_alu instid0(VALU_DEP_2) | instskip(NEXT) | instid1(VALU_DEP_2)
	v_lshrrev_b64 v[16:17], 20, v[16:17]
	v_cmp_gt_i32_e32 vcc_lo, 16, v18
	v_cmp_ne_u32_e64 s7, 0, v18
                                        ; implicit-def: $vgpr43
	s_delay_alu instid0(VALU_DEP_3) | instskip(NEXT) | instid1(VALU_DEP_1)
	v_dual_cndmask_b32 v17, 0, v17 :: v_dual_cndmask_b32 v16, 7, v16
	v_cmp_ne_u64_e32 vcc_lo, 0, v[16:17]
	s_or_b32 s7, s7, vcc_lo
	s_delay_alu instid0(SALU_CYCLE_1) | instskip(NEXT) | instid1(SALU_CYCLE_1)
	s_and_saveexec_b32 s40, s7
	s_xor_b32 s7, exec_lo, s40
; %bb.4257:                             ;   in Loop: Header=BB4_3907 Depth=2
	v_min_i32_e32 v17, 15, v18
	s_delay_alu instid0(VALU_DEP_1) | instskip(NEXT) | instid1(VALU_DEP_1)
	v_lshl_or_b32 v17, v17, 3, v45
                                        ; implicit-def: $vgpr45
	v_and_or_b32 v43, v16, 7, v17
; %bb.4258:                             ;   in Loop: Header=BB4_3907 Depth=2
	s_and_not1_saveexec_b32 s7, s7
; %bb.4259:                             ;   in Loop: Header=BB4_3907 Depth=2
	v_mov_b32_e32 v43, v45
; %bb.4260:                             ;   in Loop: Header=BB4_3907 Depth=2
	s_or_b32 exec_lo, exec_lo, s7
.LBB4_4261:                             ;   in Loop: Header=BB4_3907 Depth=2
	s_delay_alu instid0(SALU_CYCLE_1)
	s_or_b32 exec_lo, exec_lo, s29
                                        ; implicit-def: $vgpr45
.LBB4_4262:                             ;   in Loop: Header=BB4_3907 Depth=2
	s_and_not1_saveexec_b32 s7, s28
; %bb.4263:                             ;   in Loop: Header=BB4_3907 Depth=2
	v_or_b32_e32 v43, 0x7e, v45
; %bb.4264:                             ;   in Loop: Header=BB4_3907 Depth=2
	s_or_b32 exec_lo, exec_lo, s7
                                        ; implicit-def: $vgpr17
.LBB4_4265:                             ;   in Loop: Header=BB4_3907 Depth=2
	s_and_not1_saveexec_b32 s7, s27
; %bb.4266:                             ;   in Loop: Header=BB4_3907 Depth=2
	v_or_b32_e32 v43, 0x7f, v17
; %bb.4267:                             ;   in Loop: Header=BB4_3907 Depth=2
	s_or_b32 exec_lo, exec_lo, s7
	v_and_b32_e32 v18, 0xff, v42
	v_dual_mov_b32 v16, 0 :: v_dual_mov_b32 v17, 0
	s_mov_b32 s7, exec_lo
	s_delay_alu instid0(VALU_DEP_2)
	v_cmpx_ne_u16_e32 0, v18
	s_cbranch_execz .LBB4_4275
; %bb.4268:                             ;   in Loop: Header=BB4_3907 Depth=2
	v_bfrev_b32_e32 v17, 1
	s_mov_b32 s27, exec_lo
	v_cmpx_ne_u16_e32 0x80, v18
	s_cbranch_execz .LBB4_4274
; %bb.4269:                             ;   in Loop: Header=BB4_3907 Depth=2
	v_and_b32_e32 v19, 0x7f, v42
	v_mov_b32_e32 v17, 0x7f800001
	s_mov_b32 s28, exec_lo
	s_delay_alu instid0(VALU_DEP_2)
	v_cmpx_ne_u32_e32 0x7f, v19
	s_cbranch_execz .LBB4_4273
; %bb.4270:                             ;   in Loop: Header=BB4_3907 Depth=2
	v_dual_lshrrev_b32 v17, 3, v19 :: v_dual_bitop2_b32 v54, 7, v18 bitop3:0x40
	s_mov_b32 s29, exec_lo
	v_cmpx_gt_u32_e32 8, v19
; %bb.4271:                             ;   in Loop: Header=BB4_3907 Depth=2
	s_delay_alu instid0(VALU_DEP_2) | instskip(NEXT) | instid1(VALU_DEP_1)
	v_clz_i32_u32_e32 v17, v54
	v_min_u32_e32 v17, 32, v17
	s_delay_alu instid0(VALU_DEP_1) | instskip(NEXT) | instid1(VALU_DEP_1)
	v_subrev_nc_u32_e32 v18, 28, v17
	v_lshlrev_b64_e32 v[18:19], v18, v[54:55]
	s_delay_alu instid0(VALU_DEP_1)
	v_dual_sub_nc_u32 v17, 29, v17 :: v_dual_bitop2_b32 v54, 7, v18 bitop3:0x40
; %bb.4272:                             ;   in Loop: Header=BB4_3907 Depth=2
	s_or_b32 exec_lo, exec_lo, s29
	v_lshlrev_b32_e32 v18, 24, v42
	s_delay_alu instid0(VALU_DEP_2) | instskip(NEXT) | instid1(VALU_DEP_3)
	v_lshlrev_b32_e32 v19, 20, v54
	v_lshl_add_u32 v17, v17, 23, 0x3c000000
	s_delay_alu instid0(VALU_DEP_3) | instskip(NEXT) | instid1(VALU_DEP_1)
	v_and_b32_e32 v18, 0x80000000, v18
	v_or3_b32 v17, v19, v18, v17
.LBB4_4273:                             ;   in Loop: Header=BB4_3907 Depth=2
	s_or_b32 exec_lo, exec_lo, s28
.LBB4_4274:                             ;   in Loop: Header=BB4_3907 Depth=2
	s_delay_alu instid0(SALU_CYCLE_1)
	s_or_b32 exec_lo, exec_lo, s27
.LBB4_4275:                             ;   in Loop: Header=BB4_3907 Depth=2
	s_delay_alu instid0(SALU_CYCLE_1) | instskip(SKIP_3) | instid1(VALU_DEP_1)
	s_or_b32 exec_lo, exec_lo, s7
	s_wait_loadcnt_dscnt 0x505
	v_and_b32_e32 v18, 0xff, v119
	s_mov_b32 s7, exec_lo
	v_cmpx_ne_u16_e32 0, v18
	s_cbranch_execz .LBB4_4283
; %bb.4276:                             ;   in Loop: Header=BB4_3907 Depth=2
	v_bfrev_b32_e32 v16, 1
	s_mov_b32 s27, exec_lo
	v_cmpx_ne_u16_e32 0x80, v18
	s_cbranch_execz .LBB4_4282
; %bb.4277:                             ;   in Loop: Header=BB4_3907 Depth=2
	v_and_b32_e32 v19, 0x7f, v119
	v_mov_b32_e32 v16, 0x7f800001
	s_mov_b32 s28, exec_lo
	s_delay_alu instid0(VALU_DEP_2)
	v_cmpx_ne_u32_e32 0x7f, v19
	s_cbranch_execz .LBB4_4281
; %bb.4278:                             ;   in Loop: Header=BB4_3907 Depth=2
	v_dual_lshrrev_b32 v16, 3, v19 :: v_dual_bitop2_b32 v54, 7, v18 bitop3:0x40
	s_mov_b32 s29, exec_lo
	v_cmpx_gt_u32_e32 8, v19
; %bb.4279:                             ;   in Loop: Header=BB4_3907 Depth=2
	s_delay_alu instid0(VALU_DEP_2) | instskip(NEXT) | instid1(VALU_DEP_1)
	v_clz_i32_u32_e32 v16, v54
	v_min_u32_e32 v16, 32, v16
	s_delay_alu instid0(VALU_DEP_1) | instskip(NEXT) | instid1(VALU_DEP_1)
	v_subrev_nc_u32_e32 v18, 28, v16
	v_lshlrev_b64_e32 v[18:19], v18, v[54:55]
	s_delay_alu instid0(VALU_DEP_1)
	v_dual_sub_nc_u32 v16, 29, v16 :: v_dual_bitop2_b32 v54, 7, v18 bitop3:0x40
; %bb.4280:                             ;   in Loop: Header=BB4_3907 Depth=2
	s_or_b32 exec_lo, exec_lo, s29
	s_delay_alu instid0(VALU_DEP_1) | instskip(NEXT) | instid1(VALU_DEP_2)
	v_dual_lshlrev_b32 v18, 24, v119 :: v_dual_lshlrev_b32 v19, 20, v54
	v_lshl_add_u32 v16, v16, 23, 0x3c000000
	s_delay_alu instid0(VALU_DEP_2) | instskip(NEXT) | instid1(VALU_DEP_1)
	v_and_b32_e32 v18, 0x80000000, v18
	v_or3_b32 v16, v19, v18, v16
.LBB4_4281:                             ;   in Loop: Header=BB4_3907 Depth=2
	s_or_b32 exec_lo, exec_lo, s28
.LBB4_4282:                             ;   in Loop: Header=BB4_3907 Depth=2
	s_delay_alu instid0(SALU_CYCLE_1)
	s_or_b32 exec_lo, exec_lo, s27
.LBB4_4283:                             ;   in Loop: Header=BB4_3907 Depth=2
	s_delay_alu instid0(SALU_CYCLE_1) | instskip(NEXT) | instid1(VALU_DEP_1)
	s_or_b32 exec_lo, exec_lo, s7
	v_mul_f32_e32 v16, v17, v16
                                        ; implicit-def: $vgpr119
	s_mov_b32 s7, exec_lo
	s_delay_alu instid0(VALU_DEP_1) | instskip(SKIP_1) | instid1(VALU_DEP_2)
	v_and_b32_e32 v54, 0x7f800000, v16
	v_lshrrev_b32_e32 v17, 24, v16
	v_cmpx_ne_u64_e32 0x7f800000, v[54:55]
	s_xor_b32 s27, exec_lo, s7
	s_cbranch_execz .LBB4_4301
; %bb.4284:                             ;   in Loop: Header=BB4_3907 Depth=2
	v_and_b32_e32 v54, 0x7fffffff, v16
	v_and_b32_e32 v42, 0x80, v17
                                        ; implicit-def: $vgpr119
	s_mov_b32 s7, exec_lo
	s_delay_alu instid0(VALU_DEP_2)
	v_cmpx_gt_u64_e32 0x43e00001, v[54:55]
	s_xor_b32 s28, exec_lo, s7
	s_cbranch_execz .LBB4_4298
; %bb.4285:                             ;   in Loop: Header=BB4_3907 Depth=2
	v_mov_b32_e32 v119, 0
	s_mov_b32 s29, exec_lo
	v_cmpx_ne_u32_e32 0, v16
	s_cbranch_execz .LBB4_4297
; %bb.4286:                             ;   in Loop: Header=BB4_3907 Depth=2
	v_bfe_u32 v119, v16, 23, 8
	v_and_b32_e32 v18, 0x7fffff, v16
	s_delay_alu instid0(VALU_DEP_2) | instskip(NEXT) | instid1(VALU_DEP_2)
	v_cmp_gt_u32_e32 vcc_lo, 0x7a, v119
	v_or_b32_e32 v19, 0x800000, v18
	v_sub_nc_u32_e32 v17, 0x79, v119
	s_delay_alu instid0(VALU_DEP_1) | instskip(SKIP_1) | instid1(VALU_DEP_2)
	v_cndmask_b32_e32 v17, 0, v17, vcc_lo
	v_cmp_eq_u32_e32 vcc_lo, 0, v119
	v_cndmask_b32_e64 v45, v17, 0x78, vcc_lo
	s_delay_alu instid0(VALU_DEP_1) | instskip(SKIP_1) | instid1(VALU_DEP_2)
	v_dual_cndmask_b32 v54, v19, v18, vcc_lo :: v_dual_add_nc_u32 v16, 20, v45
	v_add_nc_u32_e32 v56, 19, v45
	v_lshlrev_b64_e64 v[16:17], v16, -1
	s_delay_alu instid0(VALU_DEP_2) | instskip(NEXT) | instid1(VALU_DEP_2)
	v_lshlrev_b64_e64 v[18:19], v56, 1
	v_bfi_b32 v57, v17, 0, 0
	s_delay_alu instid0(VALU_DEP_3) | instskip(SKIP_1) | instid1(VALU_DEP_2)
	v_bfi_b32 v56, v16, 0, v54
	v_lshrrev_b64 v[16:17], v45, v[54:55]
	v_cmp_eq_u64_e64 s7, v[56:57], v[18:19]
	s_delay_alu instid0(VALU_DEP_2)
	v_mov_b64_e32 v[18:19], v[16:17]
	s_and_saveexec_b32 s40, s7
; %bb.4287:                             ;   in Loop: Header=BB4_3907 Depth=2
	v_bfe_u32 v54, v16, 20, 1
	s_delay_alu instid0(VALU_DEP_1) | instskip(NEXT) | instid1(VALU_DEP_1)
	v_add_nc_u64_e32 v[18:19], v[16:17], v[54:55]
	v_add_nc_u64_e32 v[18:19], -1, v[18:19]
; %bb.4288:                             ;   in Loop: Header=BB4_3907 Depth=2
	s_or_b32 exec_lo, exec_lo, s40
	v_add_nc_u32_e32 v17, 0xffffff81, v119
	v_lshrrev_b32_e32 v19, 23, v16
	s_mov_b32 s7, exec_lo
	s_delay_alu instid0(VALU_DEP_2) | instskip(NEXT) | instid1(VALU_DEP_1)
	v_cndmask_b32_e64 v17, v17, 0xffffff82, vcc_lo
	v_add3_u32 v19, v45, v17, v19
	v_and_b32_e32 v17, 0xfffff, v18
                                        ; implicit-def: $vgpr18
	s_delay_alu instid0(VALU_DEP_1) | instskip(NEXT) | instid1(VALU_DEP_1)
	v_dual_add_nc_u32 v119, 6, v19 :: v_dual_add_nc_u32 v54, v17, v16
                                        ; implicit-def: $vgpr16_vgpr17
	v_cmpx_ne_u32_e32 0, v119
	s_xor_b32 s7, exec_lo, s7
; %bb.4289:                             ;   in Loop: Header=BB4_3907 Depth=2
	s_delay_alu instid0(VALU_DEP_2) | instskip(SKIP_1) | instid1(VALU_DEP_1)
	v_cmp_lt_u64_e32 vcc_lo, 0xffffff, v[54:55]
	v_add_nc_u32_e32 v16, 7, v19
	v_cndmask_b32_e32 v18, v119, v16, vcc_lo
	v_cndmask_b32_e64 v16, 0, 1, vcc_lo
	s_delay_alu instid0(VALU_DEP_1)
	v_lshrrev_b64 v[16:17], v16, v[54:55]
; %bb.4290:                             ;   in Loop: Header=BB4_3907 Depth=2
	s_and_not1_saveexec_b32 s7, s7
; %bb.4291:                             ;   in Loop: Header=BB4_3907 Depth=2
	v_mov_b64_e32 v[16:17], v[54:55]
	v_bfe_u32 v18, v54, 23, 1
; %bb.4292:                             ;   in Loop: Header=BB4_3907 Depth=2
	s_or_b32 exec_lo, exec_lo, s7
	s_delay_alu instid0(VALU_DEP_2) | instskip(NEXT) | instid1(VALU_DEP_2)
	v_lshrrev_b64 v[16:17], 20, v[16:17]
	v_cmp_gt_i32_e32 vcc_lo, 16, v18
	v_cmp_ne_u32_e64 s7, 0, v18
                                        ; implicit-def: $vgpr119
	s_delay_alu instid0(VALU_DEP_3) | instskip(NEXT) | instid1(VALU_DEP_1)
	v_dual_cndmask_b32 v17, 0, v17 :: v_dual_cndmask_b32 v16, 7, v16
	v_cmp_ne_u64_e32 vcc_lo, 0, v[16:17]
	s_or_b32 s7, s7, vcc_lo
	s_delay_alu instid0(SALU_CYCLE_1) | instskip(NEXT) | instid1(SALU_CYCLE_1)
	s_and_saveexec_b32 s40, s7
	s_xor_b32 s7, exec_lo, s40
; %bb.4293:                             ;   in Loop: Header=BB4_3907 Depth=2
	v_min_i32_e32 v17, 15, v18
	s_delay_alu instid0(VALU_DEP_1) | instskip(NEXT) | instid1(VALU_DEP_1)
	v_lshl_or_b32 v17, v17, 3, v42
                                        ; implicit-def: $vgpr42
	v_and_or_b32 v119, v16, 7, v17
; %bb.4294:                             ;   in Loop: Header=BB4_3907 Depth=2
	s_and_not1_saveexec_b32 s7, s7
; %bb.4295:                             ;   in Loop: Header=BB4_3907 Depth=2
	v_mov_b32_e32 v119, v42
; %bb.4296:                             ;   in Loop: Header=BB4_3907 Depth=2
	s_or_b32 exec_lo, exec_lo, s7
.LBB4_4297:                             ;   in Loop: Header=BB4_3907 Depth=2
	s_delay_alu instid0(SALU_CYCLE_1)
	s_or_b32 exec_lo, exec_lo, s29
                                        ; implicit-def: $vgpr42
.LBB4_4298:                             ;   in Loop: Header=BB4_3907 Depth=2
	s_and_not1_saveexec_b32 s7, s28
; %bb.4299:                             ;   in Loop: Header=BB4_3907 Depth=2
	v_or_b32_e32 v119, 0x7e, v42
; %bb.4300:                             ;   in Loop: Header=BB4_3907 Depth=2
	s_or_b32 exec_lo, exec_lo, s7
                                        ; implicit-def: $vgpr17
.LBB4_4301:                             ;   in Loop: Header=BB4_3907 Depth=2
	s_and_not1_saveexec_b32 s7, s27
; %bb.4302:                             ;   in Loop: Header=BB4_3907 Depth=2
	v_or_b32_e32 v119, 0x7f, v17
; %bb.4303:                             ;   in Loop: Header=BB4_3907 Depth=2
	s_or_b32 exec_lo, exec_lo, s7
	v_and_b32_e32 v18, 0xff, v113
	v_dual_mov_b32 v16, 0 :: v_dual_mov_b32 v17, 0
	s_mov_b32 s7, exec_lo
	s_delay_alu instid0(VALU_DEP_2)
	v_cmpx_ne_u16_e32 0, v18
	s_cbranch_execz .LBB4_4311
; %bb.4304:                             ;   in Loop: Header=BB4_3907 Depth=2
	v_bfrev_b32_e32 v17, 1
	s_mov_b32 s27, exec_lo
	v_cmpx_ne_u16_e32 0x80, v18
	s_cbranch_execz .LBB4_4310
; %bb.4305:                             ;   in Loop: Header=BB4_3907 Depth=2
	v_and_b32_e32 v19, 0x7f, v113
	v_mov_b32_e32 v17, 0x7f800001
	s_mov_b32 s28, exec_lo
	s_delay_alu instid0(VALU_DEP_2)
	v_cmpx_ne_u32_e32 0x7f, v19
	s_cbranch_execz .LBB4_4309
; %bb.4306:                             ;   in Loop: Header=BB4_3907 Depth=2
	v_dual_lshrrev_b32 v17, 3, v19 :: v_dual_bitop2_b32 v54, 7, v18 bitop3:0x40
	s_mov_b32 s29, exec_lo
	v_cmpx_gt_u32_e32 8, v19
; %bb.4307:                             ;   in Loop: Header=BB4_3907 Depth=2
	s_delay_alu instid0(VALU_DEP_2) | instskip(NEXT) | instid1(VALU_DEP_1)
	v_clz_i32_u32_e32 v17, v54
	v_min_u32_e32 v17, 32, v17
	s_delay_alu instid0(VALU_DEP_1) | instskip(NEXT) | instid1(VALU_DEP_1)
	v_subrev_nc_u32_e32 v18, 28, v17
	v_lshlrev_b64_e32 v[18:19], v18, v[54:55]
	s_delay_alu instid0(VALU_DEP_1)
	v_dual_sub_nc_u32 v17, 29, v17 :: v_dual_bitop2_b32 v54, 7, v18 bitop3:0x40
; %bb.4308:                             ;   in Loop: Header=BB4_3907 Depth=2
	s_or_b32 exec_lo, exec_lo, s29
	s_delay_alu instid0(VALU_DEP_1) | instskip(NEXT) | instid1(VALU_DEP_2)
	v_dual_lshlrev_b32 v18, 24, v113 :: v_dual_lshlrev_b32 v19, 20, v54
	v_lshl_add_u32 v17, v17, 23, 0x3c000000
	s_delay_alu instid0(VALU_DEP_2) | instskip(NEXT) | instid1(VALU_DEP_1)
	v_and_b32_e32 v18, 0x80000000, v18
	v_or3_b32 v17, v19, v18, v17
.LBB4_4309:                             ;   in Loop: Header=BB4_3907 Depth=2
	s_or_b32 exec_lo, exec_lo, s28
.LBB4_4310:                             ;   in Loop: Header=BB4_3907 Depth=2
	s_delay_alu instid0(SALU_CYCLE_1)
	s_or_b32 exec_lo, exec_lo, s27
.LBB4_4311:                             ;   in Loop: Header=BB4_3907 Depth=2
	s_delay_alu instid0(SALU_CYCLE_1) | instskip(SKIP_3) | instid1(VALU_DEP_1)
	s_or_b32 exec_lo, exec_lo, s7
	s_wait_loadcnt_dscnt 0x404
	v_and_b32_e32 v18, 0xff, v103
	s_mov_b32 s7, exec_lo
	v_cmpx_ne_u16_e32 0, v18
	s_cbranch_execz .LBB4_4319
; %bb.4312:                             ;   in Loop: Header=BB4_3907 Depth=2
	v_bfrev_b32_e32 v16, 1
	s_mov_b32 s27, exec_lo
	v_cmpx_ne_u16_e32 0x80, v18
	s_cbranch_execz .LBB4_4318
; %bb.4313:                             ;   in Loop: Header=BB4_3907 Depth=2
	v_and_b32_e32 v19, 0x7f, v103
	v_mov_b32_e32 v16, 0x7f800001
	s_mov_b32 s28, exec_lo
	s_delay_alu instid0(VALU_DEP_2)
	v_cmpx_ne_u32_e32 0x7f, v19
	s_cbranch_execz .LBB4_4317
; %bb.4314:                             ;   in Loop: Header=BB4_3907 Depth=2
	v_dual_lshrrev_b32 v16, 3, v19 :: v_dual_bitop2_b32 v54, 7, v18 bitop3:0x40
	s_mov_b32 s29, exec_lo
	v_cmpx_gt_u32_e32 8, v19
; %bb.4315:                             ;   in Loop: Header=BB4_3907 Depth=2
	s_delay_alu instid0(VALU_DEP_2) | instskip(NEXT) | instid1(VALU_DEP_1)
	v_clz_i32_u32_e32 v16, v54
	v_min_u32_e32 v16, 32, v16
	s_delay_alu instid0(VALU_DEP_1) | instskip(NEXT) | instid1(VALU_DEP_1)
	v_subrev_nc_u32_e32 v18, 28, v16
	v_lshlrev_b64_e32 v[18:19], v18, v[54:55]
	s_delay_alu instid0(VALU_DEP_1)
	v_dual_sub_nc_u32 v16, 29, v16 :: v_dual_bitop2_b32 v54, 7, v18 bitop3:0x40
; %bb.4316:                             ;   in Loop: Header=BB4_3907 Depth=2
	s_or_b32 exec_lo, exec_lo, s29
	s_delay_alu instid0(VALU_DEP_1) | instskip(NEXT) | instid1(VALU_DEP_2)
	v_dual_lshlrev_b32 v18, 24, v103 :: v_dual_lshlrev_b32 v19, 20, v54
	v_lshl_add_u32 v16, v16, 23, 0x3c000000
	s_delay_alu instid0(VALU_DEP_2) | instskip(NEXT) | instid1(VALU_DEP_1)
	v_and_b32_e32 v18, 0x80000000, v18
	v_or3_b32 v16, v19, v18, v16
.LBB4_4317:                             ;   in Loop: Header=BB4_3907 Depth=2
	s_or_b32 exec_lo, exec_lo, s28
.LBB4_4318:                             ;   in Loop: Header=BB4_3907 Depth=2
	s_delay_alu instid0(SALU_CYCLE_1)
	s_or_b32 exec_lo, exec_lo, s27
.LBB4_4319:                             ;   in Loop: Header=BB4_3907 Depth=2
	s_delay_alu instid0(SALU_CYCLE_1) | instskip(NEXT) | instid1(VALU_DEP_1)
	s_or_b32 exec_lo, exec_lo, s7
	v_mul_f32_e32 v16, v17, v16
                                        ; implicit-def: $vgpr103
	s_mov_b32 s7, exec_lo
	s_delay_alu instid0(VALU_DEP_1) | instskip(SKIP_1) | instid1(VALU_DEP_2)
	v_and_b32_e32 v54, 0x7f800000, v16
	v_lshrrev_b32_e32 v17, 24, v16
	v_cmpx_ne_u64_e32 0x7f800000, v[54:55]
	s_xor_b32 s27, exec_lo, s7
	s_cbranch_execz .LBB4_4337
; %bb.4320:                             ;   in Loop: Header=BB4_3907 Depth=2
	v_and_b32_e32 v54, 0x7fffffff, v16
	v_and_b32_e32 v113, 0x80, v17
                                        ; implicit-def: $vgpr103
	s_mov_b32 s7, exec_lo
	s_delay_alu instid0(VALU_DEP_2)
	v_cmpx_gt_u64_e32 0x43e00001, v[54:55]
	s_xor_b32 s28, exec_lo, s7
	s_cbranch_execz .LBB4_4334
; %bb.4321:                             ;   in Loop: Header=BB4_3907 Depth=2
	v_mov_b32_e32 v103, 0
	s_mov_b32 s29, exec_lo
	v_cmpx_ne_u32_e32 0, v16
	s_cbranch_execz .LBB4_4333
; %bb.4322:                             ;   in Loop: Header=BB4_3907 Depth=2
	v_bfe_u32 v103, v16, 23, 8
	v_and_b32_e32 v18, 0x7fffff, v16
	s_delay_alu instid0(VALU_DEP_2) | instskip(NEXT) | instid1(VALU_DEP_2)
	v_cmp_gt_u32_e32 vcc_lo, 0x7a, v103
	v_or_b32_e32 v19, 0x800000, v18
	v_sub_nc_u32_e32 v17, 0x79, v103
	s_delay_alu instid0(VALU_DEP_1) | instskip(SKIP_1) | instid1(VALU_DEP_2)
	v_cndmask_b32_e32 v17, 0, v17, vcc_lo
	v_cmp_eq_u32_e32 vcc_lo, 0, v103
	v_cndmask_b32_e64 v42, v17, 0x78, vcc_lo
	v_cndmask_b32_e32 v54, v19, v18, vcc_lo
	s_delay_alu instid0(VALU_DEP_2) | instskip(NEXT) | instid1(VALU_DEP_1)
	v_dual_add_nc_u32 v16, 20, v42 :: v_dual_add_nc_u32 v45, 19, v42
	v_lshlrev_b64_e64 v[16:17], v16, -1
	s_delay_alu instid0(VALU_DEP_2) | instskip(NEXT) | instid1(VALU_DEP_2)
	v_lshlrev_b64_e64 v[18:19], v45, 1
	v_bfi_b32 v57, v17, 0, 0
	s_delay_alu instid0(VALU_DEP_3) | instskip(SKIP_1) | instid1(VALU_DEP_2)
	v_bfi_b32 v56, v16, 0, v54
	v_lshrrev_b64 v[16:17], v42, v[54:55]
	v_cmp_eq_u64_e64 s7, v[56:57], v[18:19]
	s_delay_alu instid0(VALU_DEP_2)
	v_mov_b64_e32 v[18:19], v[16:17]
	s_and_saveexec_b32 s40, s7
; %bb.4323:                             ;   in Loop: Header=BB4_3907 Depth=2
	v_bfe_u32 v54, v16, 20, 1
	s_delay_alu instid0(VALU_DEP_1) | instskip(NEXT) | instid1(VALU_DEP_1)
	v_add_nc_u64_e32 v[18:19], v[16:17], v[54:55]
	v_add_nc_u64_e32 v[18:19], -1, v[18:19]
; %bb.4324:                             ;   in Loop: Header=BB4_3907 Depth=2
	s_or_b32 exec_lo, exec_lo, s40
	v_add_nc_u32_e32 v17, 0xffffff81, v103
	v_lshrrev_b32_e32 v19, 23, v16
	s_mov_b32 s7, exec_lo
	s_delay_alu instid0(VALU_DEP_2) | instskip(NEXT) | instid1(VALU_DEP_1)
	v_cndmask_b32_e64 v17, v17, 0xffffff82, vcc_lo
	v_add3_u32 v19, v42, v17, v19
	v_and_b32_e32 v17, 0xfffff, v18
                                        ; implicit-def: $vgpr18
	s_delay_alu instid0(VALU_DEP_1) | instskip(NEXT) | instid1(VALU_DEP_1)
	v_dual_add_nc_u32 v103, 6, v19 :: v_dual_add_nc_u32 v54, v17, v16
                                        ; implicit-def: $vgpr16_vgpr17
	v_cmpx_ne_u32_e32 0, v103
	s_xor_b32 s7, exec_lo, s7
; %bb.4325:                             ;   in Loop: Header=BB4_3907 Depth=2
	s_delay_alu instid0(VALU_DEP_2) | instskip(SKIP_1) | instid1(VALU_DEP_1)
	v_cmp_lt_u64_e32 vcc_lo, 0xffffff, v[54:55]
	v_add_nc_u32_e32 v16, 7, v19
	v_cndmask_b32_e32 v18, v103, v16, vcc_lo
	v_cndmask_b32_e64 v16, 0, 1, vcc_lo
	s_delay_alu instid0(VALU_DEP_1)
	v_lshrrev_b64 v[16:17], v16, v[54:55]
; %bb.4326:                             ;   in Loop: Header=BB4_3907 Depth=2
	s_and_not1_saveexec_b32 s7, s7
; %bb.4327:                             ;   in Loop: Header=BB4_3907 Depth=2
	v_mov_b64_e32 v[16:17], v[54:55]
	v_bfe_u32 v18, v54, 23, 1
; %bb.4328:                             ;   in Loop: Header=BB4_3907 Depth=2
	s_or_b32 exec_lo, exec_lo, s7
	s_delay_alu instid0(VALU_DEP_2) | instskip(NEXT) | instid1(VALU_DEP_2)
	v_lshrrev_b64 v[16:17], 20, v[16:17]
	v_cmp_gt_i32_e32 vcc_lo, 16, v18
	v_cmp_ne_u32_e64 s7, 0, v18
                                        ; implicit-def: $vgpr103
	s_delay_alu instid0(VALU_DEP_3) | instskip(NEXT) | instid1(VALU_DEP_1)
	v_dual_cndmask_b32 v17, 0, v17 :: v_dual_cndmask_b32 v16, 7, v16
	v_cmp_ne_u64_e32 vcc_lo, 0, v[16:17]
	s_or_b32 s7, s7, vcc_lo
	s_delay_alu instid0(SALU_CYCLE_1) | instskip(NEXT) | instid1(SALU_CYCLE_1)
	s_and_saveexec_b32 s40, s7
	s_xor_b32 s7, exec_lo, s40
; %bb.4329:                             ;   in Loop: Header=BB4_3907 Depth=2
	v_min_i32_e32 v17, 15, v18
	s_delay_alu instid0(VALU_DEP_1) | instskip(NEXT) | instid1(VALU_DEP_1)
	v_lshl_or_b32 v17, v17, 3, v113
                                        ; implicit-def: $vgpr113
	v_and_or_b32 v103, v16, 7, v17
; %bb.4330:                             ;   in Loop: Header=BB4_3907 Depth=2
	s_and_not1_saveexec_b32 s7, s7
; %bb.4331:                             ;   in Loop: Header=BB4_3907 Depth=2
	v_mov_b32_e32 v103, v113
; %bb.4332:                             ;   in Loop: Header=BB4_3907 Depth=2
	s_or_b32 exec_lo, exec_lo, s7
.LBB4_4333:                             ;   in Loop: Header=BB4_3907 Depth=2
	s_delay_alu instid0(SALU_CYCLE_1)
	s_or_b32 exec_lo, exec_lo, s29
                                        ; implicit-def: $vgpr113
.LBB4_4334:                             ;   in Loop: Header=BB4_3907 Depth=2
	s_and_not1_saveexec_b32 s7, s28
; %bb.4335:                             ;   in Loop: Header=BB4_3907 Depth=2
	v_or_b32_e32 v103, 0x7e, v113
; %bb.4336:                             ;   in Loop: Header=BB4_3907 Depth=2
	s_or_b32 exec_lo, exec_lo, s7
                                        ; implicit-def: $vgpr17
.LBB4_4337:                             ;   in Loop: Header=BB4_3907 Depth=2
	s_and_not1_saveexec_b32 s7, s27
; %bb.4338:                             ;   in Loop: Header=BB4_3907 Depth=2
	v_or_b32_e32 v103, 0x7f, v17
; %bb.4339:                             ;   in Loop: Header=BB4_3907 Depth=2
	s_or_b32 exec_lo, exec_lo, s7
	v_and_b32_e32 v18, 0xff, v102
	v_dual_mov_b32 v16, 0 :: v_dual_mov_b32 v17, 0
	s_mov_b32 s7, exec_lo
	s_delay_alu instid0(VALU_DEP_2)
	v_cmpx_ne_u16_e32 0, v18
	s_cbranch_execz .LBB4_4347
; %bb.4340:                             ;   in Loop: Header=BB4_3907 Depth=2
	v_bfrev_b32_e32 v17, 1
	s_mov_b32 s27, exec_lo
	v_cmpx_ne_u16_e32 0x80, v18
	s_cbranch_execz .LBB4_4346
; %bb.4341:                             ;   in Loop: Header=BB4_3907 Depth=2
	v_and_b32_e32 v19, 0x7f, v102
	v_mov_b32_e32 v17, 0x7f800001
	s_mov_b32 s28, exec_lo
	s_delay_alu instid0(VALU_DEP_2)
	v_cmpx_ne_u32_e32 0x7f, v19
	s_cbranch_execz .LBB4_4345
; %bb.4342:                             ;   in Loop: Header=BB4_3907 Depth=2
	v_dual_lshrrev_b32 v17, 3, v19 :: v_dual_bitop2_b32 v54, 7, v18 bitop3:0x40
	s_mov_b32 s29, exec_lo
	v_cmpx_gt_u32_e32 8, v19
; %bb.4343:                             ;   in Loop: Header=BB4_3907 Depth=2
	s_delay_alu instid0(VALU_DEP_2) | instskip(NEXT) | instid1(VALU_DEP_1)
	v_clz_i32_u32_e32 v17, v54
	v_min_u32_e32 v17, 32, v17
	s_delay_alu instid0(VALU_DEP_1) | instskip(NEXT) | instid1(VALU_DEP_1)
	v_subrev_nc_u32_e32 v18, 28, v17
	v_lshlrev_b64_e32 v[18:19], v18, v[54:55]
	s_delay_alu instid0(VALU_DEP_1)
	v_dual_sub_nc_u32 v17, 29, v17 :: v_dual_bitop2_b32 v54, 7, v18 bitop3:0x40
; %bb.4344:                             ;   in Loop: Header=BB4_3907 Depth=2
	s_or_b32 exec_lo, exec_lo, s29
	v_lshlrev_b32_e32 v18, 24, v102
	s_delay_alu instid0(VALU_DEP_2) | instskip(NEXT) | instid1(VALU_DEP_3)
	v_lshlrev_b32_e32 v19, 20, v54
	v_lshl_add_u32 v17, v17, 23, 0x3c000000
	s_delay_alu instid0(VALU_DEP_3) | instskip(NEXT) | instid1(VALU_DEP_1)
	v_and_b32_e32 v18, 0x80000000, v18
	v_or3_b32 v17, v19, v18, v17
.LBB4_4345:                             ;   in Loop: Header=BB4_3907 Depth=2
	s_or_b32 exec_lo, exec_lo, s28
.LBB4_4346:                             ;   in Loop: Header=BB4_3907 Depth=2
	s_delay_alu instid0(SALU_CYCLE_1)
	s_or_b32 exec_lo, exec_lo, s27
.LBB4_4347:                             ;   in Loop: Header=BB4_3907 Depth=2
	s_delay_alu instid0(SALU_CYCLE_1) | instskip(SKIP_3) | instid1(VALU_DEP_1)
	s_or_b32 exec_lo, exec_lo, s7
	s_wait_loadcnt_dscnt 0x303
	v_and_b32_e32 v18, 0xff, v100
	s_mov_b32 s7, exec_lo
	v_cmpx_ne_u16_e32 0, v18
	s_cbranch_execz .LBB4_4355
; %bb.4348:                             ;   in Loop: Header=BB4_3907 Depth=2
	v_bfrev_b32_e32 v16, 1
	s_mov_b32 s27, exec_lo
	v_cmpx_ne_u16_e32 0x80, v18
	s_cbranch_execz .LBB4_4354
; %bb.4349:                             ;   in Loop: Header=BB4_3907 Depth=2
	v_and_b32_e32 v19, 0x7f, v100
	v_mov_b32_e32 v16, 0x7f800001
	s_mov_b32 s28, exec_lo
	s_delay_alu instid0(VALU_DEP_2)
	v_cmpx_ne_u32_e32 0x7f, v19
	s_cbranch_execz .LBB4_4353
; %bb.4350:                             ;   in Loop: Header=BB4_3907 Depth=2
	v_dual_lshrrev_b32 v16, 3, v19 :: v_dual_bitop2_b32 v54, 7, v18 bitop3:0x40
	s_mov_b32 s29, exec_lo
	v_cmpx_gt_u32_e32 8, v19
; %bb.4351:                             ;   in Loop: Header=BB4_3907 Depth=2
	s_delay_alu instid0(VALU_DEP_2) | instskip(NEXT) | instid1(VALU_DEP_1)
	v_clz_i32_u32_e32 v16, v54
	v_min_u32_e32 v16, 32, v16
	s_delay_alu instid0(VALU_DEP_1) | instskip(NEXT) | instid1(VALU_DEP_1)
	v_subrev_nc_u32_e32 v18, 28, v16
	v_lshlrev_b64_e32 v[18:19], v18, v[54:55]
	s_delay_alu instid0(VALU_DEP_1)
	v_dual_sub_nc_u32 v16, 29, v16 :: v_dual_bitop2_b32 v54, 7, v18 bitop3:0x40
; %bb.4352:                             ;   in Loop: Header=BB4_3907 Depth=2
	s_or_b32 exec_lo, exec_lo, s29
	s_delay_alu instid0(VALU_DEP_1) | instskip(NEXT) | instid1(VALU_DEP_2)
	v_dual_lshlrev_b32 v18, 24, v100 :: v_dual_lshlrev_b32 v19, 20, v54
	v_lshl_add_u32 v16, v16, 23, 0x3c000000
	s_delay_alu instid0(VALU_DEP_2) | instskip(NEXT) | instid1(VALU_DEP_1)
	v_and_b32_e32 v18, 0x80000000, v18
	v_or3_b32 v16, v19, v18, v16
.LBB4_4353:                             ;   in Loop: Header=BB4_3907 Depth=2
	s_or_b32 exec_lo, exec_lo, s28
.LBB4_4354:                             ;   in Loop: Header=BB4_3907 Depth=2
	s_delay_alu instid0(SALU_CYCLE_1)
	s_or_b32 exec_lo, exec_lo, s27
.LBB4_4355:                             ;   in Loop: Header=BB4_3907 Depth=2
	s_delay_alu instid0(SALU_CYCLE_1) | instskip(NEXT) | instid1(VALU_DEP_1)
	s_or_b32 exec_lo, exec_lo, s7
	v_mul_f32_e32 v16, v17, v16
                                        ; implicit-def: $vgpr100
	s_mov_b32 s7, exec_lo
	s_delay_alu instid0(VALU_DEP_1) | instskip(SKIP_1) | instid1(VALU_DEP_2)
	v_and_b32_e32 v54, 0x7f800000, v16
	v_lshrrev_b32_e32 v17, 24, v16
	v_cmpx_ne_u64_e32 0x7f800000, v[54:55]
	s_xor_b32 s27, exec_lo, s7
	s_cbranch_execz .LBB4_4373
; %bb.4356:                             ;   in Loop: Header=BB4_3907 Depth=2
	v_and_b32_e32 v54, 0x7fffffff, v16
	v_and_b32_e32 v102, 0x80, v17
                                        ; implicit-def: $vgpr100
	s_mov_b32 s7, exec_lo
	s_delay_alu instid0(VALU_DEP_2)
	v_cmpx_gt_u64_e32 0x43e00001, v[54:55]
	s_xor_b32 s28, exec_lo, s7
	s_cbranch_execz .LBB4_4370
; %bb.4357:                             ;   in Loop: Header=BB4_3907 Depth=2
	v_mov_b32_e32 v100, 0
	s_mov_b32 s29, exec_lo
	v_cmpx_ne_u32_e32 0, v16
	s_cbranch_execz .LBB4_4369
; %bb.4358:                             ;   in Loop: Header=BB4_3907 Depth=2
	v_bfe_u32 v100, v16, 23, 8
	v_and_b32_e32 v18, 0x7fffff, v16
	s_delay_alu instid0(VALU_DEP_2) | instskip(NEXT) | instid1(VALU_DEP_2)
	v_cmp_gt_u32_e32 vcc_lo, 0x7a, v100
	v_or_b32_e32 v19, 0x800000, v18
	v_sub_nc_u32_e32 v17, 0x79, v100
	s_delay_alu instid0(VALU_DEP_1) | instskip(SKIP_1) | instid1(VALU_DEP_2)
	v_cndmask_b32_e32 v17, 0, v17, vcc_lo
	v_cmp_eq_u32_e32 vcc_lo, 0, v100
	v_cndmask_b32_e64 v113, v17, 0x78, vcc_lo
	s_delay_alu instid0(VALU_DEP_1) | instskip(SKIP_1) | instid1(VALU_DEP_2)
	v_dual_cndmask_b32 v54, v19, v18, vcc_lo :: v_dual_add_nc_u32 v16, 20, v113
	v_add_nc_u32_e32 v42, 19, v113
	v_lshlrev_b64_e64 v[16:17], v16, -1
	s_delay_alu instid0(VALU_DEP_2) | instskip(NEXT) | instid1(VALU_DEP_2)
	v_lshlrev_b64_e64 v[18:19], v42, 1
	v_bfi_b32 v57, v17, 0, 0
	s_delay_alu instid0(VALU_DEP_3) | instskip(SKIP_1) | instid1(VALU_DEP_2)
	v_bfi_b32 v56, v16, 0, v54
	v_lshrrev_b64 v[16:17], v113, v[54:55]
	v_cmp_eq_u64_e64 s7, v[56:57], v[18:19]
	s_delay_alu instid0(VALU_DEP_2)
	v_mov_b64_e32 v[18:19], v[16:17]
	s_and_saveexec_b32 s40, s7
; %bb.4359:                             ;   in Loop: Header=BB4_3907 Depth=2
	v_bfe_u32 v54, v16, 20, 1
	s_delay_alu instid0(VALU_DEP_1) | instskip(NEXT) | instid1(VALU_DEP_1)
	v_add_nc_u64_e32 v[18:19], v[16:17], v[54:55]
	v_add_nc_u64_e32 v[18:19], -1, v[18:19]
; %bb.4360:                             ;   in Loop: Header=BB4_3907 Depth=2
	s_or_b32 exec_lo, exec_lo, s40
	v_add_nc_u32_e32 v17, 0xffffff81, v100
	v_lshrrev_b32_e32 v19, 23, v16
	s_mov_b32 s7, exec_lo
	s_delay_alu instid0(VALU_DEP_2) | instskip(NEXT) | instid1(VALU_DEP_1)
	v_cndmask_b32_e64 v17, v17, 0xffffff82, vcc_lo
	v_add3_u32 v19, v113, v17, v19
	v_and_b32_e32 v17, 0xfffff, v18
                                        ; implicit-def: $vgpr18
	s_delay_alu instid0(VALU_DEP_1) | instskip(NEXT) | instid1(VALU_DEP_1)
	v_dual_add_nc_u32 v100, 6, v19 :: v_dual_add_nc_u32 v54, v17, v16
                                        ; implicit-def: $vgpr16_vgpr17
	v_cmpx_ne_u32_e32 0, v100
	s_xor_b32 s7, exec_lo, s7
; %bb.4361:                             ;   in Loop: Header=BB4_3907 Depth=2
	s_delay_alu instid0(VALU_DEP_2) | instskip(SKIP_1) | instid1(VALU_DEP_1)
	v_cmp_lt_u64_e32 vcc_lo, 0xffffff, v[54:55]
	v_add_nc_u32_e32 v16, 7, v19
	v_cndmask_b32_e32 v18, v100, v16, vcc_lo
	v_cndmask_b32_e64 v16, 0, 1, vcc_lo
	s_delay_alu instid0(VALU_DEP_1)
	v_lshrrev_b64 v[16:17], v16, v[54:55]
; %bb.4362:                             ;   in Loop: Header=BB4_3907 Depth=2
	s_and_not1_saveexec_b32 s7, s7
; %bb.4363:                             ;   in Loop: Header=BB4_3907 Depth=2
	v_mov_b64_e32 v[16:17], v[54:55]
	v_bfe_u32 v18, v54, 23, 1
; %bb.4364:                             ;   in Loop: Header=BB4_3907 Depth=2
	s_or_b32 exec_lo, exec_lo, s7
	s_delay_alu instid0(VALU_DEP_2) | instskip(NEXT) | instid1(VALU_DEP_2)
	v_lshrrev_b64 v[16:17], 20, v[16:17]
	v_cmp_gt_i32_e32 vcc_lo, 16, v18
	v_cmp_ne_u32_e64 s7, 0, v18
                                        ; implicit-def: $vgpr100
	s_delay_alu instid0(VALU_DEP_3) | instskip(NEXT) | instid1(VALU_DEP_1)
	v_dual_cndmask_b32 v17, 0, v17 :: v_dual_cndmask_b32 v16, 7, v16
	v_cmp_ne_u64_e32 vcc_lo, 0, v[16:17]
	s_or_b32 s7, s7, vcc_lo
	s_delay_alu instid0(SALU_CYCLE_1) | instskip(NEXT) | instid1(SALU_CYCLE_1)
	s_and_saveexec_b32 s40, s7
	s_xor_b32 s7, exec_lo, s40
; %bb.4365:                             ;   in Loop: Header=BB4_3907 Depth=2
	v_min_i32_e32 v17, 15, v18
	s_delay_alu instid0(VALU_DEP_1) | instskip(NEXT) | instid1(VALU_DEP_1)
	v_lshl_or_b32 v17, v17, 3, v102
                                        ; implicit-def: $vgpr102
	v_and_or_b32 v100, v16, 7, v17
; %bb.4366:                             ;   in Loop: Header=BB4_3907 Depth=2
	s_and_not1_saveexec_b32 s7, s7
; %bb.4367:                             ;   in Loop: Header=BB4_3907 Depth=2
	v_mov_b32_e32 v100, v102
; %bb.4368:                             ;   in Loop: Header=BB4_3907 Depth=2
	s_or_b32 exec_lo, exec_lo, s7
.LBB4_4369:                             ;   in Loop: Header=BB4_3907 Depth=2
	s_delay_alu instid0(SALU_CYCLE_1)
	s_or_b32 exec_lo, exec_lo, s29
                                        ; implicit-def: $vgpr102
.LBB4_4370:                             ;   in Loop: Header=BB4_3907 Depth=2
	s_and_not1_saveexec_b32 s7, s28
; %bb.4371:                             ;   in Loop: Header=BB4_3907 Depth=2
	v_or_b32_e32 v100, 0x7e, v102
; %bb.4372:                             ;   in Loop: Header=BB4_3907 Depth=2
	s_or_b32 exec_lo, exec_lo, s7
                                        ; implicit-def: $vgpr17
.LBB4_4373:                             ;   in Loop: Header=BB4_3907 Depth=2
	s_and_not1_saveexec_b32 s7, s27
; %bb.4374:                             ;   in Loop: Header=BB4_3907 Depth=2
	v_or_b32_e32 v100, 0x7f, v17
; %bb.4375:                             ;   in Loop: Header=BB4_3907 Depth=2
	s_or_b32 exec_lo, exec_lo, s7
	v_and_b32_e32 v18, 0xff, v99
	v_dual_mov_b32 v16, 0 :: v_dual_mov_b32 v17, 0
	s_mov_b32 s7, exec_lo
	s_delay_alu instid0(VALU_DEP_2)
	v_cmpx_ne_u16_e32 0, v18
	s_cbranch_execz .LBB4_4383
; %bb.4376:                             ;   in Loop: Header=BB4_3907 Depth=2
	v_bfrev_b32_e32 v17, 1
	s_mov_b32 s27, exec_lo
	v_cmpx_ne_u16_e32 0x80, v18
	s_cbranch_execz .LBB4_4382
; %bb.4377:                             ;   in Loop: Header=BB4_3907 Depth=2
	v_and_b32_e32 v19, 0x7f, v99
	v_mov_b32_e32 v17, 0x7f800001
	s_mov_b32 s28, exec_lo
	s_delay_alu instid0(VALU_DEP_2)
	v_cmpx_ne_u32_e32 0x7f, v19
	s_cbranch_execz .LBB4_4381
; %bb.4378:                             ;   in Loop: Header=BB4_3907 Depth=2
	v_dual_lshrrev_b32 v17, 3, v19 :: v_dual_bitop2_b32 v54, 7, v18 bitop3:0x40
	s_mov_b32 s29, exec_lo
	v_cmpx_gt_u32_e32 8, v19
; %bb.4379:                             ;   in Loop: Header=BB4_3907 Depth=2
	s_delay_alu instid0(VALU_DEP_2) | instskip(NEXT) | instid1(VALU_DEP_1)
	v_clz_i32_u32_e32 v17, v54
	v_min_u32_e32 v17, 32, v17
	s_delay_alu instid0(VALU_DEP_1) | instskip(NEXT) | instid1(VALU_DEP_1)
	v_subrev_nc_u32_e32 v18, 28, v17
	v_lshlrev_b64_e32 v[18:19], v18, v[54:55]
	s_delay_alu instid0(VALU_DEP_1)
	v_dual_sub_nc_u32 v17, 29, v17 :: v_dual_bitop2_b32 v54, 7, v18 bitop3:0x40
; %bb.4380:                             ;   in Loop: Header=BB4_3907 Depth=2
	s_or_b32 exec_lo, exec_lo, s29
	s_delay_alu instid0(VALU_DEP_1) | instskip(NEXT) | instid1(VALU_DEP_2)
	v_dual_lshlrev_b32 v18, 24, v99 :: v_dual_lshlrev_b32 v19, 20, v54
	v_lshl_add_u32 v17, v17, 23, 0x3c000000
	s_delay_alu instid0(VALU_DEP_2) | instskip(NEXT) | instid1(VALU_DEP_1)
	v_and_b32_e32 v18, 0x80000000, v18
	v_or3_b32 v17, v19, v18, v17
.LBB4_4381:                             ;   in Loop: Header=BB4_3907 Depth=2
	s_or_b32 exec_lo, exec_lo, s28
.LBB4_4382:                             ;   in Loop: Header=BB4_3907 Depth=2
	s_delay_alu instid0(SALU_CYCLE_1)
	s_or_b32 exec_lo, exec_lo, s27
.LBB4_4383:                             ;   in Loop: Header=BB4_3907 Depth=2
	s_delay_alu instid0(SALU_CYCLE_1) | instskip(SKIP_3) | instid1(VALU_DEP_1)
	s_or_b32 exec_lo, exec_lo, s7
	s_wait_loadcnt_dscnt 0x202
	v_and_b32_e32 v18, 0xff, v97
	s_mov_b32 s7, exec_lo
	v_cmpx_ne_u16_e32 0, v18
	s_cbranch_execz .LBB4_4391
; %bb.4384:                             ;   in Loop: Header=BB4_3907 Depth=2
	v_bfrev_b32_e32 v16, 1
	s_mov_b32 s27, exec_lo
	v_cmpx_ne_u16_e32 0x80, v18
	s_cbranch_execz .LBB4_4390
; %bb.4385:                             ;   in Loop: Header=BB4_3907 Depth=2
	v_and_b32_e32 v19, 0x7f, v97
	v_mov_b32_e32 v16, 0x7f800001
	s_mov_b32 s28, exec_lo
	s_delay_alu instid0(VALU_DEP_2)
	v_cmpx_ne_u32_e32 0x7f, v19
	s_cbranch_execz .LBB4_4389
; %bb.4386:                             ;   in Loop: Header=BB4_3907 Depth=2
	v_dual_lshrrev_b32 v16, 3, v19 :: v_dual_bitop2_b32 v54, 7, v18 bitop3:0x40
	s_mov_b32 s29, exec_lo
	v_cmpx_gt_u32_e32 8, v19
; %bb.4387:                             ;   in Loop: Header=BB4_3907 Depth=2
	s_delay_alu instid0(VALU_DEP_2) | instskip(NEXT) | instid1(VALU_DEP_1)
	v_clz_i32_u32_e32 v16, v54
	v_min_u32_e32 v16, 32, v16
	s_delay_alu instid0(VALU_DEP_1) | instskip(NEXT) | instid1(VALU_DEP_1)
	v_subrev_nc_u32_e32 v18, 28, v16
	v_lshlrev_b64_e32 v[18:19], v18, v[54:55]
	s_delay_alu instid0(VALU_DEP_1)
	v_dual_sub_nc_u32 v16, 29, v16 :: v_dual_bitop2_b32 v54, 7, v18 bitop3:0x40
; %bb.4388:                             ;   in Loop: Header=BB4_3907 Depth=2
	s_or_b32 exec_lo, exec_lo, s29
	s_delay_alu instid0(VALU_DEP_1) | instskip(NEXT) | instid1(VALU_DEP_2)
	v_dual_lshlrev_b32 v18, 24, v97 :: v_dual_lshlrev_b32 v19, 20, v54
	v_lshl_add_u32 v16, v16, 23, 0x3c000000
	s_delay_alu instid0(VALU_DEP_2) | instskip(NEXT) | instid1(VALU_DEP_1)
	v_and_b32_e32 v18, 0x80000000, v18
	v_or3_b32 v16, v19, v18, v16
.LBB4_4389:                             ;   in Loop: Header=BB4_3907 Depth=2
	s_or_b32 exec_lo, exec_lo, s28
.LBB4_4390:                             ;   in Loop: Header=BB4_3907 Depth=2
	s_delay_alu instid0(SALU_CYCLE_1)
	s_or_b32 exec_lo, exec_lo, s27
.LBB4_4391:                             ;   in Loop: Header=BB4_3907 Depth=2
	s_delay_alu instid0(SALU_CYCLE_1) | instskip(NEXT) | instid1(VALU_DEP_1)
	s_or_b32 exec_lo, exec_lo, s7
	v_mul_f32_e32 v16, v17, v16
                                        ; implicit-def: $vgpr97
	s_mov_b32 s7, exec_lo
	s_delay_alu instid0(VALU_DEP_1) | instskip(SKIP_1) | instid1(VALU_DEP_2)
	v_and_b32_e32 v54, 0x7f800000, v16
	v_lshrrev_b32_e32 v17, 24, v16
	v_cmpx_ne_u64_e32 0x7f800000, v[54:55]
	s_xor_b32 s27, exec_lo, s7
	s_cbranch_execz .LBB4_4409
; %bb.4392:                             ;   in Loop: Header=BB4_3907 Depth=2
	v_and_b32_e32 v54, 0x7fffffff, v16
	v_and_b32_e32 v99, 0x80, v17
                                        ; implicit-def: $vgpr97
	s_mov_b32 s7, exec_lo
	s_delay_alu instid0(VALU_DEP_2)
	v_cmpx_gt_u64_e32 0x43e00001, v[54:55]
	s_xor_b32 s28, exec_lo, s7
	s_cbranch_execz .LBB4_4406
; %bb.4393:                             ;   in Loop: Header=BB4_3907 Depth=2
	v_mov_b32_e32 v97, 0
	s_mov_b32 s29, exec_lo
	v_cmpx_ne_u32_e32 0, v16
	s_cbranch_execz .LBB4_4405
; %bb.4394:                             ;   in Loop: Header=BB4_3907 Depth=2
	v_bfe_u32 v97, v16, 23, 8
	v_and_b32_e32 v18, 0x7fffff, v16
	s_delay_alu instid0(VALU_DEP_2) | instskip(NEXT) | instid1(VALU_DEP_2)
	v_cmp_gt_u32_e32 vcc_lo, 0x7a, v97
	v_or_b32_e32 v19, 0x800000, v18
	v_sub_nc_u32_e32 v17, 0x79, v97
	s_delay_alu instid0(VALU_DEP_1) | instskip(SKIP_1) | instid1(VALU_DEP_2)
	v_cndmask_b32_e32 v17, 0, v17, vcc_lo
	v_cmp_eq_u32_e32 vcc_lo, 0, v97
	v_cndmask_b32_e64 v102, v17, 0x78, vcc_lo
	v_cndmask_b32_e32 v54, v19, v18, vcc_lo
	s_delay_alu instid0(VALU_DEP_2) | instskip(NEXT) | instid1(VALU_DEP_1)
	v_dual_add_nc_u32 v16, 20, v102 :: v_dual_add_nc_u32 v113, 19, v102
	v_lshlrev_b64_e64 v[16:17], v16, -1
	s_delay_alu instid0(VALU_DEP_2) | instskip(NEXT) | instid1(VALU_DEP_2)
	v_lshlrev_b64_e64 v[18:19], v113, 1
	v_bfi_b32 v57, v17, 0, 0
	s_delay_alu instid0(VALU_DEP_3) | instskip(SKIP_1) | instid1(VALU_DEP_2)
	v_bfi_b32 v56, v16, 0, v54
	v_lshrrev_b64 v[16:17], v102, v[54:55]
	v_cmp_eq_u64_e64 s7, v[56:57], v[18:19]
	s_delay_alu instid0(VALU_DEP_2)
	v_mov_b64_e32 v[18:19], v[16:17]
	s_and_saveexec_b32 s40, s7
; %bb.4395:                             ;   in Loop: Header=BB4_3907 Depth=2
	v_bfe_u32 v54, v16, 20, 1
	s_delay_alu instid0(VALU_DEP_1) | instskip(NEXT) | instid1(VALU_DEP_1)
	v_add_nc_u64_e32 v[18:19], v[16:17], v[54:55]
	v_add_nc_u64_e32 v[18:19], -1, v[18:19]
; %bb.4396:                             ;   in Loop: Header=BB4_3907 Depth=2
	s_or_b32 exec_lo, exec_lo, s40
	v_add_nc_u32_e32 v17, 0xffffff81, v97
	v_lshrrev_b32_e32 v19, 23, v16
	s_mov_b32 s7, exec_lo
	s_delay_alu instid0(VALU_DEP_2) | instskip(NEXT) | instid1(VALU_DEP_1)
	v_cndmask_b32_e64 v17, v17, 0xffffff82, vcc_lo
	v_add3_u32 v19, v102, v17, v19
	v_and_b32_e32 v17, 0xfffff, v18
                                        ; implicit-def: $vgpr18
	s_delay_alu instid0(VALU_DEP_1) | instskip(NEXT) | instid1(VALU_DEP_1)
	v_dual_add_nc_u32 v97, 6, v19 :: v_dual_add_nc_u32 v54, v17, v16
                                        ; implicit-def: $vgpr16_vgpr17
	v_cmpx_ne_u32_e32 0, v97
	s_xor_b32 s7, exec_lo, s7
; %bb.4397:                             ;   in Loop: Header=BB4_3907 Depth=2
	s_delay_alu instid0(VALU_DEP_2) | instskip(SKIP_1) | instid1(VALU_DEP_1)
	v_cmp_lt_u64_e32 vcc_lo, 0xffffff, v[54:55]
	v_add_nc_u32_e32 v16, 7, v19
	v_cndmask_b32_e32 v18, v97, v16, vcc_lo
	v_cndmask_b32_e64 v16, 0, 1, vcc_lo
	s_delay_alu instid0(VALU_DEP_1)
	v_lshrrev_b64 v[16:17], v16, v[54:55]
; %bb.4398:                             ;   in Loop: Header=BB4_3907 Depth=2
	s_and_not1_saveexec_b32 s7, s7
; %bb.4399:                             ;   in Loop: Header=BB4_3907 Depth=2
	v_mov_b64_e32 v[16:17], v[54:55]
	v_bfe_u32 v18, v54, 23, 1
; %bb.4400:                             ;   in Loop: Header=BB4_3907 Depth=2
	s_or_b32 exec_lo, exec_lo, s7
	s_delay_alu instid0(VALU_DEP_2) | instskip(NEXT) | instid1(VALU_DEP_2)
	v_lshrrev_b64 v[16:17], 20, v[16:17]
	v_cmp_gt_i32_e32 vcc_lo, 16, v18
	v_cmp_ne_u32_e64 s7, 0, v18
                                        ; implicit-def: $vgpr97
	s_delay_alu instid0(VALU_DEP_3) | instskip(NEXT) | instid1(VALU_DEP_1)
	v_dual_cndmask_b32 v17, 0, v17 :: v_dual_cndmask_b32 v16, 7, v16
	v_cmp_ne_u64_e32 vcc_lo, 0, v[16:17]
	s_or_b32 s7, s7, vcc_lo
	s_delay_alu instid0(SALU_CYCLE_1) | instskip(NEXT) | instid1(SALU_CYCLE_1)
	s_and_saveexec_b32 s40, s7
	s_xor_b32 s7, exec_lo, s40
; %bb.4401:                             ;   in Loop: Header=BB4_3907 Depth=2
	v_min_i32_e32 v17, 15, v18
	s_delay_alu instid0(VALU_DEP_1) | instskip(NEXT) | instid1(VALU_DEP_1)
	v_lshl_or_b32 v17, v17, 3, v99
                                        ; implicit-def: $vgpr99
	v_and_or_b32 v97, v16, 7, v17
; %bb.4402:                             ;   in Loop: Header=BB4_3907 Depth=2
	s_and_not1_saveexec_b32 s7, s7
; %bb.4403:                             ;   in Loop: Header=BB4_3907 Depth=2
	v_mov_b32_e32 v97, v99
; %bb.4404:                             ;   in Loop: Header=BB4_3907 Depth=2
	s_or_b32 exec_lo, exec_lo, s7
.LBB4_4405:                             ;   in Loop: Header=BB4_3907 Depth=2
	s_delay_alu instid0(SALU_CYCLE_1)
	s_or_b32 exec_lo, exec_lo, s29
                                        ; implicit-def: $vgpr99
.LBB4_4406:                             ;   in Loop: Header=BB4_3907 Depth=2
	s_and_not1_saveexec_b32 s7, s28
; %bb.4407:                             ;   in Loop: Header=BB4_3907 Depth=2
	v_or_b32_e32 v97, 0x7e, v99
; %bb.4408:                             ;   in Loop: Header=BB4_3907 Depth=2
	s_or_b32 exec_lo, exec_lo, s7
                                        ; implicit-def: $vgpr17
.LBB4_4409:                             ;   in Loop: Header=BB4_3907 Depth=2
	s_and_not1_saveexec_b32 s7, s27
; %bb.4410:                             ;   in Loop: Header=BB4_3907 Depth=2
	v_or_b32_e32 v97, 0x7f, v17
; %bb.4411:                             ;   in Loop: Header=BB4_3907 Depth=2
	s_or_b32 exec_lo, exec_lo, s7
	v_and_b32_e32 v18, 0xff, v96
	v_dual_mov_b32 v16, 0 :: v_dual_mov_b32 v17, 0
	s_mov_b32 s7, exec_lo
	s_delay_alu instid0(VALU_DEP_2)
	v_cmpx_ne_u16_e32 0, v18
	s_cbranch_execz .LBB4_4419
; %bb.4412:                             ;   in Loop: Header=BB4_3907 Depth=2
	v_bfrev_b32_e32 v17, 1
	s_mov_b32 s27, exec_lo
	v_cmpx_ne_u16_e32 0x80, v18
	s_cbranch_execz .LBB4_4418
; %bb.4413:                             ;   in Loop: Header=BB4_3907 Depth=2
	v_and_b32_e32 v19, 0x7f, v96
	v_mov_b32_e32 v17, 0x7f800001
	s_mov_b32 s28, exec_lo
	s_delay_alu instid0(VALU_DEP_2)
	v_cmpx_ne_u32_e32 0x7f, v19
	s_cbranch_execz .LBB4_4417
; %bb.4414:                             ;   in Loop: Header=BB4_3907 Depth=2
	v_dual_lshrrev_b32 v17, 3, v19 :: v_dual_bitop2_b32 v54, 7, v18 bitop3:0x40
	s_mov_b32 s29, exec_lo
	v_cmpx_gt_u32_e32 8, v19
; %bb.4415:                             ;   in Loop: Header=BB4_3907 Depth=2
	s_delay_alu instid0(VALU_DEP_2) | instskip(NEXT) | instid1(VALU_DEP_1)
	v_clz_i32_u32_e32 v17, v54
	v_min_u32_e32 v17, 32, v17
	s_delay_alu instid0(VALU_DEP_1) | instskip(NEXT) | instid1(VALU_DEP_1)
	v_subrev_nc_u32_e32 v18, 28, v17
	v_lshlrev_b64_e32 v[18:19], v18, v[54:55]
	s_delay_alu instid0(VALU_DEP_1)
	v_dual_sub_nc_u32 v17, 29, v17 :: v_dual_bitop2_b32 v54, 7, v18 bitop3:0x40
; %bb.4416:                             ;   in Loop: Header=BB4_3907 Depth=2
	s_or_b32 exec_lo, exec_lo, s29
	s_delay_alu instid0(VALU_DEP_1) | instskip(NEXT) | instid1(VALU_DEP_2)
	v_dual_lshlrev_b32 v18, 24, v96 :: v_dual_lshlrev_b32 v19, 20, v54
	v_lshl_add_u32 v17, v17, 23, 0x3c000000
	s_delay_alu instid0(VALU_DEP_2) | instskip(NEXT) | instid1(VALU_DEP_1)
	v_and_b32_e32 v18, 0x80000000, v18
	v_or3_b32 v17, v19, v18, v17
.LBB4_4417:                             ;   in Loop: Header=BB4_3907 Depth=2
	s_or_b32 exec_lo, exec_lo, s28
.LBB4_4418:                             ;   in Loop: Header=BB4_3907 Depth=2
	s_delay_alu instid0(SALU_CYCLE_1)
	s_or_b32 exec_lo, exec_lo, s27
.LBB4_4419:                             ;   in Loop: Header=BB4_3907 Depth=2
	s_delay_alu instid0(SALU_CYCLE_1) | instskip(SKIP_3) | instid1(VALU_DEP_1)
	s_or_b32 exec_lo, exec_lo, s7
	s_wait_loadcnt_dscnt 0x101
	v_and_b32_e32 v18, 0xff, v86
	s_mov_b32 s7, exec_lo
	v_cmpx_ne_u16_e32 0, v18
	s_cbranch_execz .LBB4_4427
; %bb.4420:                             ;   in Loop: Header=BB4_3907 Depth=2
	v_bfrev_b32_e32 v16, 1
	s_mov_b32 s27, exec_lo
	v_cmpx_ne_u16_e32 0x80, v18
	s_cbranch_execz .LBB4_4426
; %bb.4421:                             ;   in Loop: Header=BB4_3907 Depth=2
	v_and_b32_e32 v19, 0x7f, v86
	v_mov_b32_e32 v16, 0x7f800001
	s_mov_b32 s28, exec_lo
	s_delay_alu instid0(VALU_DEP_2)
	v_cmpx_ne_u32_e32 0x7f, v19
	s_cbranch_execz .LBB4_4425
; %bb.4422:                             ;   in Loop: Header=BB4_3907 Depth=2
	v_dual_lshrrev_b32 v16, 3, v19 :: v_dual_bitop2_b32 v54, 7, v18 bitop3:0x40
	s_mov_b32 s29, exec_lo
	v_cmpx_gt_u32_e32 8, v19
; %bb.4423:                             ;   in Loop: Header=BB4_3907 Depth=2
	s_delay_alu instid0(VALU_DEP_2) | instskip(NEXT) | instid1(VALU_DEP_1)
	v_clz_i32_u32_e32 v16, v54
	v_min_u32_e32 v16, 32, v16
	s_delay_alu instid0(VALU_DEP_1) | instskip(NEXT) | instid1(VALU_DEP_1)
	v_subrev_nc_u32_e32 v18, 28, v16
	v_lshlrev_b64_e32 v[18:19], v18, v[54:55]
	s_delay_alu instid0(VALU_DEP_1)
	v_dual_sub_nc_u32 v16, 29, v16 :: v_dual_bitop2_b32 v54, 7, v18 bitop3:0x40
; %bb.4424:                             ;   in Loop: Header=BB4_3907 Depth=2
	s_or_b32 exec_lo, exec_lo, s29
	v_lshlrev_b32_e32 v18, 24, v86
	s_delay_alu instid0(VALU_DEP_2) | instskip(NEXT) | instid1(VALU_DEP_3)
	v_lshlrev_b32_e32 v19, 20, v54
	v_lshl_add_u32 v16, v16, 23, 0x3c000000
	s_delay_alu instid0(VALU_DEP_3) | instskip(NEXT) | instid1(VALU_DEP_1)
	v_and_b32_e32 v18, 0x80000000, v18
	v_or3_b32 v16, v19, v18, v16
.LBB4_4425:                             ;   in Loop: Header=BB4_3907 Depth=2
	s_or_b32 exec_lo, exec_lo, s28
.LBB4_4426:                             ;   in Loop: Header=BB4_3907 Depth=2
	s_delay_alu instid0(SALU_CYCLE_1)
	s_or_b32 exec_lo, exec_lo, s27
.LBB4_4427:                             ;   in Loop: Header=BB4_3907 Depth=2
	s_delay_alu instid0(SALU_CYCLE_1) | instskip(NEXT) | instid1(VALU_DEP_1)
	s_or_b32 exec_lo, exec_lo, s7
	v_mul_f32_e32 v16, v17, v16
                                        ; implicit-def: $vgpr86
	s_mov_b32 s7, exec_lo
	s_delay_alu instid0(VALU_DEP_1) | instskip(SKIP_1) | instid1(VALU_DEP_2)
	v_and_b32_e32 v54, 0x7f800000, v16
	v_lshrrev_b32_e32 v17, 24, v16
	v_cmpx_ne_u64_e32 0x7f800000, v[54:55]
	s_xor_b32 s27, exec_lo, s7
	s_cbranch_execz .LBB4_4445
; %bb.4428:                             ;   in Loop: Header=BB4_3907 Depth=2
	v_and_b32_e32 v54, 0x7fffffff, v16
	v_and_b32_e32 v96, 0x80, v17
                                        ; implicit-def: $vgpr86
	s_mov_b32 s7, exec_lo
	s_delay_alu instid0(VALU_DEP_2)
	v_cmpx_gt_u64_e32 0x43e00001, v[54:55]
	s_xor_b32 s28, exec_lo, s7
	s_cbranch_execz .LBB4_4442
; %bb.4429:                             ;   in Loop: Header=BB4_3907 Depth=2
	v_mov_b32_e32 v86, 0
	s_mov_b32 s29, exec_lo
	v_cmpx_ne_u32_e32 0, v16
	s_cbranch_execz .LBB4_4441
; %bb.4430:                             ;   in Loop: Header=BB4_3907 Depth=2
	v_bfe_u32 v86, v16, 23, 8
	v_and_b32_e32 v18, 0x7fffff, v16
	s_delay_alu instid0(VALU_DEP_2) | instskip(SKIP_1) | instid1(VALU_DEP_3)
	v_sub_nc_u32_e32 v17, 0x79, v86
	v_cmp_gt_u32_e32 vcc_lo, 0x7a, v86
	v_or_b32_e32 v19, 0x800000, v18
	s_delay_alu instid0(VALU_DEP_3) | instskip(SKIP_1) | instid1(VALU_DEP_2)
	v_cndmask_b32_e32 v17, 0, v17, vcc_lo
	v_cmp_eq_u32_e32 vcc_lo, 0, v86
	v_cndmask_b32_e64 v99, v17, 0x78, vcc_lo
	s_delay_alu instid0(VALU_DEP_1) | instskip(SKIP_1) | instid1(VALU_DEP_2)
	v_dual_cndmask_b32 v54, v19, v18, vcc_lo :: v_dual_add_nc_u32 v102, 19, v99
	v_add_nc_u32_e32 v16, 20, v99
	v_lshlrev_b64_e64 v[18:19], v102, 1
	s_delay_alu instid0(VALU_DEP_2) | instskip(NEXT) | instid1(VALU_DEP_1)
	v_lshlrev_b64_e64 v[16:17], v16, -1
	v_bfi_b32 v57, v17, 0, 0
	s_delay_alu instid0(VALU_DEP_2) | instskip(SKIP_1) | instid1(VALU_DEP_2)
	v_bfi_b32 v56, v16, 0, v54
	v_lshrrev_b64 v[16:17], v99, v[54:55]
	v_cmp_eq_u64_e64 s7, v[56:57], v[18:19]
	s_delay_alu instid0(VALU_DEP_2)
	v_mov_b64_e32 v[18:19], v[16:17]
	s_and_saveexec_b32 s40, s7
; %bb.4431:                             ;   in Loop: Header=BB4_3907 Depth=2
	v_bfe_u32 v54, v16, 20, 1
	s_delay_alu instid0(VALU_DEP_1) | instskip(NEXT) | instid1(VALU_DEP_1)
	v_add_nc_u64_e32 v[18:19], v[16:17], v[54:55]
	v_add_nc_u64_e32 v[18:19], -1, v[18:19]
; %bb.4432:                             ;   in Loop: Header=BB4_3907 Depth=2
	s_or_b32 exec_lo, exec_lo, s40
	v_add_nc_u32_e32 v17, 0xffffff81, v86
	v_lshrrev_b32_e32 v19, 23, v16
	s_mov_b32 s7, exec_lo
	s_delay_alu instid0(VALU_DEP_2) | instskip(NEXT) | instid1(VALU_DEP_1)
	v_cndmask_b32_e64 v17, v17, 0xffffff82, vcc_lo
	v_add3_u32 v19, v99, v17, v19
	v_and_b32_e32 v17, 0xfffff, v18
                                        ; implicit-def: $vgpr18
	s_delay_alu instid0(VALU_DEP_1) | instskip(NEXT) | instid1(VALU_DEP_1)
	v_dual_add_nc_u32 v86, 6, v19 :: v_dual_add_nc_u32 v54, v17, v16
                                        ; implicit-def: $vgpr16_vgpr17
	v_cmpx_ne_u32_e32 0, v86
	s_xor_b32 s7, exec_lo, s7
; %bb.4433:                             ;   in Loop: Header=BB4_3907 Depth=2
	s_delay_alu instid0(VALU_DEP_2) | instskip(SKIP_1) | instid1(VALU_DEP_1)
	v_cmp_lt_u64_e32 vcc_lo, 0xffffff, v[54:55]
	v_add_nc_u32_e32 v16, 7, v19
	v_cndmask_b32_e32 v18, v86, v16, vcc_lo
	v_cndmask_b32_e64 v16, 0, 1, vcc_lo
	s_delay_alu instid0(VALU_DEP_1)
	v_lshrrev_b64 v[16:17], v16, v[54:55]
; %bb.4434:                             ;   in Loop: Header=BB4_3907 Depth=2
	s_and_not1_saveexec_b32 s7, s7
; %bb.4435:                             ;   in Loop: Header=BB4_3907 Depth=2
	v_mov_b64_e32 v[16:17], v[54:55]
	v_bfe_u32 v18, v54, 23, 1
; %bb.4436:                             ;   in Loop: Header=BB4_3907 Depth=2
	s_or_b32 exec_lo, exec_lo, s7
	s_delay_alu instid0(VALU_DEP_2) | instskip(NEXT) | instid1(VALU_DEP_2)
	v_lshrrev_b64 v[16:17], 20, v[16:17]
	v_cmp_gt_i32_e32 vcc_lo, 16, v18
	v_cmp_ne_u32_e64 s7, 0, v18
                                        ; implicit-def: $vgpr86
	s_delay_alu instid0(VALU_DEP_3) | instskip(NEXT) | instid1(VALU_DEP_1)
	v_dual_cndmask_b32 v17, 0, v17 :: v_dual_cndmask_b32 v16, 7, v16
	v_cmp_ne_u64_e32 vcc_lo, 0, v[16:17]
	s_or_b32 s7, s7, vcc_lo
	s_delay_alu instid0(SALU_CYCLE_1) | instskip(NEXT) | instid1(SALU_CYCLE_1)
	s_and_saveexec_b32 s40, s7
	s_xor_b32 s7, exec_lo, s40
; %bb.4437:                             ;   in Loop: Header=BB4_3907 Depth=2
	v_min_i32_e32 v17, 15, v18
	s_delay_alu instid0(VALU_DEP_1) | instskip(NEXT) | instid1(VALU_DEP_1)
	v_lshl_or_b32 v17, v17, 3, v96
                                        ; implicit-def: $vgpr96
	v_and_or_b32 v86, v16, 7, v17
; %bb.4438:                             ;   in Loop: Header=BB4_3907 Depth=2
	s_and_not1_saveexec_b32 s7, s7
; %bb.4439:                             ;   in Loop: Header=BB4_3907 Depth=2
	v_mov_b32_e32 v86, v96
; %bb.4440:                             ;   in Loop: Header=BB4_3907 Depth=2
	s_or_b32 exec_lo, exec_lo, s7
.LBB4_4441:                             ;   in Loop: Header=BB4_3907 Depth=2
	s_delay_alu instid0(SALU_CYCLE_1)
	s_or_b32 exec_lo, exec_lo, s29
                                        ; implicit-def: $vgpr96
.LBB4_4442:                             ;   in Loop: Header=BB4_3907 Depth=2
	s_and_not1_saveexec_b32 s7, s28
; %bb.4443:                             ;   in Loop: Header=BB4_3907 Depth=2
	v_or_b32_e32 v86, 0x7e, v96
; %bb.4444:                             ;   in Loop: Header=BB4_3907 Depth=2
	s_or_b32 exec_lo, exec_lo, s7
                                        ; implicit-def: $vgpr17
.LBB4_4445:                             ;   in Loop: Header=BB4_3907 Depth=2
	s_and_not1_saveexec_b32 s7, s27
; %bb.4446:                             ;   in Loop: Header=BB4_3907 Depth=2
	v_or_b32_e32 v86, 0x7f, v17
; %bb.4447:                             ;   in Loop: Header=BB4_3907 Depth=2
	s_or_b32 exec_lo, exec_lo, s7
	v_and_b32_e32 v18, 0xff, v85
	v_dual_mov_b32 v16, 0 :: v_dual_mov_b32 v17, 0
	s_mov_b32 s7, exec_lo
	s_delay_alu instid0(VALU_DEP_2)
	v_cmpx_ne_u16_e32 0, v18
	s_cbranch_execz .LBB4_4455
; %bb.4448:                             ;   in Loop: Header=BB4_3907 Depth=2
	v_bfrev_b32_e32 v17, 1
	s_mov_b32 s27, exec_lo
	v_cmpx_ne_u16_e32 0x80, v18
	s_cbranch_execz .LBB4_4454
; %bb.4449:                             ;   in Loop: Header=BB4_3907 Depth=2
	v_and_b32_e32 v19, 0x7f, v85
	v_mov_b32_e32 v17, 0x7f800001
	s_mov_b32 s28, exec_lo
	s_delay_alu instid0(VALU_DEP_2)
	v_cmpx_ne_u32_e32 0x7f, v19
	s_cbranch_execz .LBB4_4453
; %bb.4450:                             ;   in Loop: Header=BB4_3907 Depth=2
	v_dual_lshrrev_b32 v17, 3, v19 :: v_dual_bitop2_b32 v54, 7, v18 bitop3:0x40
	s_mov_b32 s29, exec_lo
	v_cmpx_gt_u32_e32 8, v19
; %bb.4451:                             ;   in Loop: Header=BB4_3907 Depth=2
	s_delay_alu instid0(VALU_DEP_2) | instskip(NEXT) | instid1(VALU_DEP_1)
	v_clz_i32_u32_e32 v17, v54
	v_min_u32_e32 v17, 32, v17
	s_delay_alu instid0(VALU_DEP_1) | instskip(NEXT) | instid1(VALU_DEP_1)
	v_subrev_nc_u32_e32 v18, 28, v17
	v_lshlrev_b64_e32 v[18:19], v18, v[54:55]
	s_delay_alu instid0(VALU_DEP_1)
	v_dual_sub_nc_u32 v17, 29, v17 :: v_dual_bitop2_b32 v54, 7, v18 bitop3:0x40
; %bb.4452:                             ;   in Loop: Header=BB4_3907 Depth=2
	s_or_b32 exec_lo, exec_lo, s29
	s_delay_alu instid0(VALU_DEP_1) | instskip(NEXT) | instid1(VALU_DEP_2)
	v_dual_lshlrev_b32 v18, 24, v85 :: v_dual_lshlrev_b32 v19, 20, v54
	v_lshl_add_u32 v17, v17, 23, 0x3c000000
	s_delay_alu instid0(VALU_DEP_2) | instskip(NEXT) | instid1(VALU_DEP_1)
	v_and_b32_e32 v18, 0x80000000, v18
	v_or3_b32 v17, v19, v18, v17
.LBB4_4453:                             ;   in Loop: Header=BB4_3907 Depth=2
	s_or_b32 exec_lo, exec_lo, s28
.LBB4_4454:                             ;   in Loop: Header=BB4_3907 Depth=2
	s_delay_alu instid0(SALU_CYCLE_1)
	s_or_b32 exec_lo, exec_lo, s27
.LBB4_4455:                             ;   in Loop: Header=BB4_3907 Depth=2
	s_delay_alu instid0(SALU_CYCLE_1) | instskip(SKIP_3) | instid1(VALU_DEP_1)
	s_or_b32 exec_lo, exec_lo, s7
	s_wait_loadcnt_dscnt 0x0
	v_and_b32_e32 v18, 0xff, v25
	s_mov_b32 s7, exec_lo
	v_cmpx_ne_u16_e32 0, v18
	s_cbranch_execz .LBB4_4463
; %bb.4456:                             ;   in Loop: Header=BB4_3907 Depth=2
	v_bfrev_b32_e32 v16, 1
	s_mov_b32 s27, exec_lo
	v_cmpx_ne_u16_e32 0x80, v18
	s_cbranch_execz .LBB4_4462
; %bb.4457:                             ;   in Loop: Header=BB4_3907 Depth=2
	v_and_b32_e32 v19, 0x7f, v25
	v_mov_b32_e32 v16, 0x7f800001
	s_mov_b32 s28, exec_lo
	s_delay_alu instid0(VALU_DEP_2)
	v_cmpx_ne_u32_e32 0x7f, v19
	s_cbranch_execz .LBB4_4461
; %bb.4458:                             ;   in Loop: Header=BB4_3907 Depth=2
	v_dual_lshrrev_b32 v16, 3, v19 :: v_dual_bitop2_b32 v54, 7, v18 bitop3:0x40
	s_mov_b32 s29, exec_lo
	v_cmpx_gt_u32_e32 8, v19
; %bb.4459:                             ;   in Loop: Header=BB4_3907 Depth=2
	s_delay_alu instid0(VALU_DEP_2) | instskip(NEXT) | instid1(VALU_DEP_1)
	v_clz_i32_u32_e32 v16, v54
	v_min_u32_e32 v16, 32, v16
	s_delay_alu instid0(VALU_DEP_1) | instskip(NEXT) | instid1(VALU_DEP_1)
	v_subrev_nc_u32_e32 v18, 28, v16
	v_lshlrev_b64_e32 v[18:19], v18, v[54:55]
	s_delay_alu instid0(VALU_DEP_1)
	v_dual_sub_nc_u32 v16, 29, v16 :: v_dual_bitop2_b32 v54, 7, v18 bitop3:0x40
; %bb.4460:                             ;   in Loop: Header=BB4_3907 Depth=2
	s_or_b32 exec_lo, exec_lo, s29
	s_delay_alu instid0(VALU_DEP_1) | instskip(NEXT) | instid1(VALU_DEP_2)
	v_dual_lshlrev_b32 v18, 24, v25 :: v_dual_lshlrev_b32 v19, 20, v54
	v_lshl_add_u32 v16, v16, 23, 0x3c000000
	s_delay_alu instid0(VALU_DEP_2) | instskip(NEXT) | instid1(VALU_DEP_1)
	v_and_b32_e32 v18, 0x80000000, v18
	v_or3_b32 v16, v19, v18, v16
.LBB4_4461:                             ;   in Loop: Header=BB4_3907 Depth=2
	s_or_b32 exec_lo, exec_lo, s28
.LBB4_4462:                             ;   in Loop: Header=BB4_3907 Depth=2
	s_delay_alu instid0(SALU_CYCLE_1)
	s_or_b32 exec_lo, exec_lo, s27
.LBB4_4463:                             ;   in Loop: Header=BB4_3907 Depth=2
	s_delay_alu instid0(SALU_CYCLE_1) | instskip(NEXT) | instid1(VALU_DEP_1)
	s_or_b32 exec_lo, exec_lo, s7
	v_mul_f32_e32 v16, v17, v16
                                        ; implicit-def: $vgpr17
	s_mov_b32 s7, exec_lo
	s_delay_alu instid0(VALU_DEP_1) | instskip(SKIP_1) | instid1(VALU_DEP_2)
	v_and_b32_e32 v54, 0x7f800000, v16
	v_lshrrev_b32_e32 v18, 24, v16
	v_cmpx_ne_u64_e32 0x7f800000, v[54:55]
	s_xor_b32 s27, exec_lo, s7
	s_cbranch_execz .LBB4_4481
; %bb.4464:                             ;   in Loop: Header=BB4_3907 Depth=2
	v_and_b32_e32 v54, 0x7fffffff, v16
	v_and_b32_e32 v25, 0x80, v18
                                        ; implicit-def: $vgpr17
	s_mov_b32 s7, exec_lo
	s_delay_alu instid0(VALU_DEP_2)
	v_cmpx_gt_u64_e32 0x43e00001, v[54:55]
	s_xor_b32 s28, exec_lo, s7
	s_cbranch_execz .LBB4_4478
; %bb.4465:                             ;   in Loop: Header=BB4_3907 Depth=2
	v_mov_b32_e32 v17, 0
	s_mov_b32 s29, exec_lo
	v_cmpx_ne_u32_e32 0, v16
	s_cbranch_execz .LBB4_4477
; %bb.4466:                             ;   in Loop: Header=BB4_3907 Depth=2
	v_bfe_u32 v85, v16, 23, 8
	v_and_b32_e32 v18, 0x7fffff, v16
	s_delay_alu instid0(VALU_DEP_2) | instskip(NEXT) | instid1(VALU_DEP_2)
	v_cmp_gt_u32_e32 vcc_lo, 0x7a, v85
	v_or_b32_e32 v19, 0x800000, v18
	v_sub_nc_u32_e32 v17, 0x79, v85
	s_delay_alu instid0(VALU_DEP_1) | instskip(SKIP_1) | instid1(VALU_DEP_2)
	v_cndmask_b32_e32 v17, 0, v17, vcc_lo
	v_cmp_eq_u32_e32 vcc_lo, 0, v85
	v_cndmask_b32_e64 v96, v17, 0x78, vcc_lo
	s_delay_alu instid0(VALU_DEP_1) | instskip(SKIP_1) | instid1(VALU_DEP_2)
	v_dual_cndmask_b32 v54, v19, v18, vcc_lo :: v_dual_add_nc_u32 v16, 20, v96
	v_add_nc_u32_e32 v99, 19, v96
	v_lshlrev_b64_e64 v[16:17], v16, -1
	s_delay_alu instid0(VALU_DEP_2) | instskip(NEXT) | instid1(VALU_DEP_2)
	v_lshlrev_b64_e64 v[18:19], v99, 1
	v_bfi_b32 v57, v17, 0, 0
	s_delay_alu instid0(VALU_DEP_3) | instskip(SKIP_1) | instid1(VALU_DEP_2)
	v_bfi_b32 v56, v16, 0, v54
	v_lshrrev_b64 v[16:17], v96, v[54:55]
	v_cmp_eq_u64_e64 s7, v[56:57], v[18:19]
	s_delay_alu instid0(VALU_DEP_2)
	v_mov_b64_e32 v[18:19], v[16:17]
	s_and_saveexec_b32 s40, s7
; %bb.4467:                             ;   in Loop: Header=BB4_3907 Depth=2
	v_bfe_u32 v54, v16, 20, 1
	s_delay_alu instid0(VALU_DEP_1) | instskip(NEXT) | instid1(VALU_DEP_1)
	v_add_nc_u64_e32 v[18:19], v[16:17], v[54:55]
	v_add_nc_u64_e32 v[18:19], -1, v[18:19]
; %bb.4468:                             ;   in Loop: Header=BB4_3907 Depth=2
	s_or_b32 exec_lo, exec_lo, s40
	v_add_nc_u32_e32 v17, 0xffffff81, v85
	v_lshrrev_b32_e32 v19, 23, v16
	s_mov_b32 s7, exec_lo
	s_delay_alu instid0(VALU_DEP_2) | instskip(NEXT) | instid1(VALU_DEP_1)
	v_cndmask_b32_e64 v17, v17, 0xffffff82, vcc_lo
	v_add3_u32 v19, v96, v17, v19
	v_and_b32_e32 v17, 0xfffff, v18
                                        ; implicit-def: $vgpr18
	s_delay_alu instid0(VALU_DEP_1) | instskip(NEXT) | instid1(VALU_DEP_1)
	v_dual_add_nc_u32 v85, 6, v19 :: v_dual_add_nc_u32 v54, v17, v16
                                        ; implicit-def: $vgpr16_vgpr17
	v_cmpx_ne_u32_e32 0, v85
	s_xor_b32 s7, exec_lo, s7
; %bb.4469:                             ;   in Loop: Header=BB4_3907 Depth=2
	s_delay_alu instid0(VALU_DEP_2) | instskip(SKIP_1) | instid1(VALU_DEP_1)
	v_cmp_lt_u64_e32 vcc_lo, 0xffffff, v[54:55]
	v_add_nc_u32_e32 v16, 7, v19
	v_cndmask_b32_e32 v18, v85, v16, vcc_lo
	v_cndmask_b32_e64 v16, 0, 1, vcc_lo
	s_delay_alu instid0(VALU_DEP_1)
	v_lshrrev_b64 v[16:17], v16, v[54:55]
; %bb.4470:                             ;   in Loop: Header=BB4_3907 Depth=2
	s_and_not1_saveexec_b32 s7, s7
; %bb.4471:                             ;   in Loop: Header=BB4_3907 Depth=2
	v_mov_b64_e32 v[16:17], v[54:55]
	v_bfe_u32 v18, v54, 23, 1
; %bb.4472:                             ;   in Loop: Header=BB4_3907 Depth=2
	s_or_b32 exec_lo, exec_lo, s7
	s_delay_alu instid0(VALU_DEP_2) | instskip(NEXT) | instid1(VALU_DEP_2)
	v_lshrrev_b64 v[16:17], 20, v[16:17]
	v_cmp_gt_i32_e32 vcc_lo, 16, v18
	v_cmp_ne_u32_e64 s7, 0, v18
	s_delay_alu instid0(VALU_DEP_3) | instskip(NEXT) | instid1(VALU_DEP_1)
	v_dual_cndmask_b32 v17, 0, v17 :: v_dual_cndmask_b32 v16, 7, v16
	v_cmp_ne_u64_e32 vcc_lo, 0, v[16:17]
                                        ; implicit-def: $vgpr17
	s_or_b32 s7, s7, vcc_lo
	s_delay_alu instid0(SALU_CYCLE_1) | instskip(NEXT) | instid1(SALU_CYCLE_1)
	s_and_saveexec_b32 s40, s7
	s_xor_b32 s7, exec_lo, s40
; %bb.4473:                             ;   in Loop: Header=BB4_3907 Depth=2
	v_min_i32_e32 v17, 15, v18
	s_delay_alu instid0(VALU_DEP_1) | instskip(NEXT) | instid1(VALU_DEP_1)
	v_lshl_or_b32 v17, v17, 3, v25
                                        ; implicit-def: $vgpr25
	v_and_or_b32 v17, v16, 7, v17
; %bb.4474:                             ;   in Loop: Header=BB4_3907 Depth=2
	s_and_not1_saveexec_b32 s7, s7
; %bb.4475:                             ;   in Loop: Header=BB4_3907 Depth=2
	v_mov_b32_e32 v17, v25
; %bb.4476:                             ;   in Loop: Header=BB4_3907 Depth=2
	s_or_b32 exec_lo, exec_lo, s7
.LBB4_4477:                             ;   in Loop: Header=BB4_3907 Depth=2
	s_delay_alu instid0(SALU_CYCLE_1)
	s_or_b32 exec_lo, exec_lo, s29
                                        ; implicit-def: $vgpr25
.LBB4_4478:                             ;   in Loop: Header=BB4_3907 Depth=2
	s_and_not1_saveexec_b32 s7, s28
; %bb.4479:                             ;   in Loop: Header=BB4_3907 Depth=2
	v_or_b32_e32 v17, 0x7e, v25
; %bb.4480:                             ;   in Loop: Header=BB4_3907 Depth=2
	s_or_b32 exec_lo, exec_lo, s7
                                        ; implicit-def: $vgpr18
.LBB4_4481:                             ;   in Loop: Header=BB4_3907 Depth=2
	s_and_not1_saveexec_b32 s7, s27
	s_cbranch_execz .LBB4_3906
; %bb.4482:                             ;   in Loop: Header=BB4_3907 Depth=2
	v_or_b32_e32 v17, 0x7f, v18
	s_branch .LBB4_3906
.LBB4_4483:                             ;   in Loop: Header=BB4_2331 Depth=1
	s_or_b32 exec_lo, exec_lo, s26
.LBB4_4484:                             ;   in Loop: Header=BB4_2331 Depth=1
	s_delay_alu instid0(SALU_CYCLE_1) | instskip(SKIP_1) | instid1(VALU_DEP_1)
	s_or_b32 exec_lo, exec_lo, s11
	v_and_b32_e32 v10, 0xfffffe00, v21
	v_cmp_ne_u32_e32 vcc_lo, v21, v10
	s_and_b32 exec_lo, exec_lo, vcc_lo
	s_cbranch_execz .LBB4_4524
; %bb.4485:                             ;   in Loop: Header=BB4_2331 Depth=1
	v_dual_add_nc_u32 v11, v22, v24 :: v_dual_lshlrev_b32 v12, 5, v23
	s_delay_alu instid0(VALU_DEP_1) | instskip(NEXT) | instid1(VALU_DEP_1)
	v_and_b32_e32 v11, 0xffffffe0, v11
	v_sub_nc_u32_e32 v11, v22, v11
	s_delay_alu instid0(VALU_DEP_1) | instskip(SKIP_1) | instid1(VALU_DEP_1)
	v_sub_nc_u32_e32 v11, v11, v12
	v_and_b32_e32 v12, 0x1ff, v21
	v_sub_nc_u32_e32 v21, v12, v11
	s_delay_alu instid0(VALU_DEP_1)
	v_cmp_lt_i32_e32 vcc_lo, 0, v21
	s_and_b32 exec_lo, exec_lo, vcc_lo
	s_cbranch_execz .LBB4_4524
; %bb.4486:                             ;   in Loop: Header=BB4_2331 Depth=1
	s_trap 2
	ds_load_b128 v[12:15], v0
	ds_load_b64 v[16:17], v0
	v_add3_u32 v18, v10, v20, v11
	s_mov_b32 s11, 0
	s_delay_alu instid0(VALU_DEP_1) | instskip(SKIP_1) | instid1(VALU_DEP_1)
	v_ashrrev_i32_e32 v19, 31, v18
	s_wait_dscnt 0x1
	v_add_nc_u64_e32 v[10:11], v[12:13], v[18:19]
	v_add_nc_u64_e32 v[12:13], v[14:15], v[18:19]
	s_wait_dscnt 0x0
	v_add_nc_u64_e32 v[14:15], v[16:17], v[18:19]
	s_branch .LBB4_4488
.LBB4_4487:                             ;   in Loop: Header=BB4_4488 Depth=2
	s_or_b32 exec_lo, exec_lo, s7
	v_sub_nc_u32_e32 v21, v21, v64
	flat_store_b8 v[14:15], v17 th:TH_STORE_NT
	v_add_nc_u64_e32 v[10:11], v[10:11], v[64:65]
	v_add_nc_u64_e32 v[12:13], v[12:13], v[64:65]
	s_wait_xcnt 0x0
	v_add_nc_u64_e32 v[14:15], v[14:15], v[64:65]
	v_cmp_gt_i32_e32 vcc_lo, 1, v21
	s_or_b32 s11, vcc_lo, s11
	s_delay_alu instid0(SALU_CYCLE_1)
	s_and_not1_b32 exec_lo, exec_lo, s11
	s_cbranch_execz .LBB4_4524
.LBB4_4488:                             ;   Parent Loop BB4_2331 Depth=1
                                        ; =>  This Inner Loop Header: Depth=2
	flat_load_u8 v19, v[10:11] th:TH_LOAD_NT
	flat_load_u8 v16, v[12:13] th:TH_LOAD_NT
	v_dual_mov_b32 v17, 0 :: v_dual_mov_b32 v18, 0
	s_mov_b32 s7, exec_lo
	s_wait_loadcnt_dscnt 0x101
	s_wait_xcnt 0x0
	v_cmpx_ne_u16_e32 0, v19
	s_cbranch_execz .LBB4_4496
; %bb.4489:                             ;   in Loop: Header=BB4_4488 Depth=2
	v_bfrev_b32_e32 v18, 1
	s_mov_b32 s26, exec_lo
	v_cmpx_ne_u16_e32 0x80, v19
	s_cbranch_execz .LBB4_4495
; %bb.4490:                             ;   in Loop: Header=BB4_4488 Depth=2
	v_and_b32_e32 v22, 0xffff, v19
	v_mov_b32_e32 v18, 0x7f800001
	s_mov_b32 s27, exec_lo
	s_delay_alu instid0(VALU_DEP_2) | instskip(NEXT) | instid1(VALU_DEP_1)
	v_and_b32_e32 v20, 0x7f, v22
	v_cmpx_ne_u32_e32 0x7f, v20
	s_cbranch_execz .LBB4_4494
; %bb.4491:                             ;   in Loop: Header=BB4_4488 Depth=2
	v_dual_lshrrev_b32 v18, 3, v20 :: v_dual_bitop2_b32 v54, 7, v22 bitop3:0x40
	s_mov_b32 s28, exec_lo
	v_cmpx_gt_u32_e32 8, v20
; %bb.4492:                             ;   in Loop: Header=BB4_4488 Depth=2
	s_delay_alu instid0(VALU_DEP_2) | instskip(NEXT) | instid1(VALU_DEP_1)
	v_clz_i32_u32_e32 v18, v54
	v_min_u32_e32 v18, 32, v18
	s_delay_alu instid0(VALU_DEP_1) | instskip(SKIP_1) | instid1(VALU_DEP_2)
	v_subrev_nc_u32_e32 v20, 28, v18
	v_sub_nc_u32_e32 v18, 29, v18
	v_lshlrev_b64_e32 v[22:23], v20, v[54:55]
	s_delay_alu instid0(VALU_DEP_1)
	v_and_b32_e32 v54, 7, v22
; %bb.4493:                             ;   in Loop: Header=BB4_4488 Depth=2
	s_or_b32 exec_lo, exec_lo, s28
	s_delay_alu instid0(VALU_DEP_1) | instskip(SKIP_1) | instid1(VALU_DEP_2)
	v_dual_lshlrev_b32 v19, 24, v19 :: v_dual_lshlrev_b32 v20, 20, v54
	v_lshl_add_u32 v18, v18, 23, 0x3c000000
	v_and_b32_e32 v19, 0x80000000, v19
	s_delay_alu instid0(VALU_DEP_1)
	v_or3_b32 v18, v20, v19, v18
.LBB4_4494:                             ;   in Loop: Header=BB4_4488 Depth=2
	s_or_b32 exec_lo, exec_lo, s27
.LBB4_4495:                             ;   in Loop: Header=BB4_4488 Depth=2
	s_delay_alu instid0(SALU_CYCLE_1)
	s_or_b32 exec_lo, exec_lo, s26
.LBB4_4496:                             ;   in Loop: Header=BB4_4488 Depth=2
	s_delay_alu instid0(SALU_CYCLE_1) | instskip(SKIP_3) | instid1(VALU_DEP_1)
	s_or_b32 exec_lo, exec_lo, s7
	s_wait_loadcnt_dscnt 0x0
	v_and_b32_e32 v19, 0xff, v16
	s_mov_b32 s7, exec_lo
	v_cmpx_ne_u16_e32 0, v19
	s_cbranch_execz .LBB4_4504
; %bb.4497:                             ;   in Loop: Header=BB4_4488 Depth=2
	v_bfrev_b32_e32 v17, 1
	s_mov_b32 s26, exec_lo
	v_cmpx_ne_u16_e32 0x80, v19
	s_cbranch_execz .LBB4_4503
; %bb.4498:                             ;   in Loop: Header=BB4_4488 Depth=2
	v_and_b32_e32 v20, 0x7f, v16
	v_mov_b32_e32 v17, 0x7f800001
	s_mov_b32 s27, exec_lo
	s_delay_alu instid0(VALU_DEP_2)
	v_cmpx_ne_u32_e32 0x7f, v20
	s_cbranch_execz .LBB4_4502
; %bb.4499:                             ;   in Loop: Header=BB4_4488 Depth=2
	v_dual_lshrrev_b32 v17, 3, v20 :: v_dual_bitop2_b32 v54, 7, v19 bitop3:0x40
	s_mov_b32 s28, exec_lo
	v_cmpx_gt_u32_e32 8, v20
; %bb.4500:                             ;   in Loop: Header=BB4_4488 Depth=2
	s_delay_alu instid0(VALU_DEP_2) | instskip(NEXT) | instid1(VALU_DEP_1)
	v_clz_i32_u32_e32 v17, v54
	v_min_u32_e32 v17, 32, v17
	s_delay_alu instid0(VALU_DEP_1) | instskip(NEXT) | instid1(VALU_DEP_1)
	v_subrev_nc_u32_e32 v19, 28, v17
	v_lshlrev_b64_e32 v[22:23], v19, v[54:55]
	s_delay_alu instid0(VALU_DEP_1)
	v_dual_sub_nc_u32 v17, 29, v17 :: v_dual_bitop2_b32 v54, 7, v22 bitop3:0x40
; %bb.4501:                             ;   in Loop: Header=BB4_4488 Depth=2
	s_or_b32 exec_lo, exec_lo, s28
	s_delay_alu instid0(VALU_DEP_1) | instskip(NEXT) | instid1(VALU_DEP_2)
	v_dual_lshlrev_b32 v16, 24, v16 :: v_dual_lshlrev_b32 v19, 20, v54
	v_lshl_add_u32 v17, v17, 23, 0x3c000000
	s_delay_alu instid0(VALU_DEP_2) | instskip(NEXT) | instid1(VALU_DEP_1)
	v_and_b32_e32 v16, 0x80000000, v16
	v_or3_b32 v17, v19, v16, v17
.LBB4_4502:                             ;   in Loop: Header=BB4_4488 Depth=2
	s_or_b32 exec_lo, exec_lo, s27
.LBB4_4503:                             ;   in Loop: Header=BB4_4488 Depth=2
	s_delay_alu instid0(SALU_CYCLE_1)
	s_or_b32 exec_lo, exec_lo, s26
.LBB4_4504:                             ;   in Loop: Header=BB4_4488 Depth=2
	s_delay_alu instid0(SALU_CYCLE_1) | instskip(NEXT) | instid1(VALU_DEP_1)
	s_or_b32 exec_lo, exec_lo, s7
	v_mul_f32_e32 v16, v18, v17
                                        ; implicit-def: $vgpr17
	s_mov_b32 s7, exec_lo
	s_delay_alu instid0(VALU_DEP_1) | instskip(SKIP_1) | instid1(VALU_DEP_2)
	v_and_b32_e32 v54, 0x7f800000, v16
	v_lshrrev_b32_e32 v18, 24, v16
	v_cmpx_ne_u64_e32 0x7f800000, v[54:55]
	s_xor_b32 s26, exec_lo, s7
	s_cbranch_execz .LBB4_4522
; %bb.4505:                             ;   in Loop: Header=BB4_4488 Depth=2
	v_and_b32_e32 v54, 0x7fffffff, v16
	v_and_b32_e32 v20, 0x80, v18
                                        ; implicit-def: $vgpr17
	s_mov_b32 s7, exec_lo
	s_delay_alu instid0(VALU_DEP_2)
	v_cmpx_gt_u64_e32 0x43e00001, v[54:55]
	s_xor_b32 s27, exec_lo, s7
	s_cbranch_execz .LBB4_4519
; %bb.4506:                             ;   in Loop: Header=BB4_4488 Depth=2
	v_mov_b32_e32 v17, 0
	s_mov_b32 s28, exec_lo
	v_cmpx_ne_u32_e32 0, v16
	s_cbranch_execz .LBB4_4518
; %bb.4507:                             ;   in Loop: Header=BB4_4488 Depth=2
	v_bfe_u32 v22, v16, 23, 8
	v_and_b32_e32 v18, 0x7fffff, v16
	s_delay_alu instid0(VALU_DEP_2) | instskip(SKIP_1) | instid1(VALU_DEP_3)
	v_sub_nc_u32_e32 v17, 0x79, v22
	v_cmp_gt_u32_e32 vcc_lo, 0x7a, v22
	v_or_b32_e32 v19, 0x800000, v18
	s_delay_alu instid0(VALU_DEP_3) | instskip(SKIP_1) | instid1(VALU_DEP_2)
	v_cndmask_b32_e32 v17, 0, v17, vcc_lo
	v_cmp_eq_u32_e32 vcc_lo, 0, v22
	v_cndmask_b32_e64 v23, v17, 0x78, vcc_lo
	s_delay_alu instid0(VALU_DEP_1) | instskip(SKIP_1) | instid1(VALU_DEP_2)
	v_dual_cndmask_b32 v54, v19, v18, vcc_lo :: v_dual_add_nc_u32 v24, 19, v23
	v_add_nc_u32_e32 v16, 20, v23
	v_lshlrev_b64_e64 v[18:19], v24, 1
	s_delay_alu instid0(VALU_DEP_2) | instskip(NEXT) | instid1(VALU_DEP_1)
	v_lshlrev_b64_e64 v[16:17], v16, -1
	v_bfi_b32 v25, v17, 0, 0
	s_delay_alu instid0(VALU_DEP_2) | instskip(SKIP_1) | instid1(VALU_DEP_2)
	v_bfi_b32 v24, v16, 0, v54
	v_lshrrev_b64 v[16:17], v23, v[54:55]
	v_cmp_eq_u64_e64 s7, v[24:25], v[18:19]
	s_delay_alu instid0(VALU_DEP_2)
	v_mov_b64_e32 v[18:19], v[16:17]
	s_and_saveexec_b32 s29, s7
; %bb.4508:                             ;   in Loop: Header=BB4_4488 Depth=2
	v_bfe_u32 v54, v16, 20, 1
	s_delay_alu instid0(VALU_DEP_1) | instskip(NEXT) | instid1(VALU_DEP_1)
	v_add_nc_u64_e32 v[18:19], v[16:17], v[54:55]
	v_add_nc_u64_e32 v[18:19], -1, v[18:19]
; %bb.4509:                             ;   in Loop: Header=BB4_4488 Depth=2
	s_or_b32 exec_lo, exec_lo, s29
	v_add_nc_u32_e32 v17, 0xffffff81, v22
	v_lshrrev_b32_e32 v19, 23, v16
	s_mov_b32 s7, exec_lo
	s_delay_alu instid0(VALU_DEP_2) | instskip(NEXT) | instid1(VALU_DEP_1)
	v_cndmask_b32_e64 v17, v17, 0xffffff82, vcc_lo
	v_add3_u32 v19, v23, v17, v19
	v_and_b32_e32 v17, 0xfffff, v18
                                        ; implicit-def: $vgpr18
	s_delay_alu instid0(VALU_DEP_1) | instskip(NEXT) | instid1(VALU_DEP_1)
	v_dual_add_nc_u32 v22, 6, v19 :: v_dual_add_nc_u32 v54, v17, v16
                                        ; implicit-def: $vgpr16_vgpr17
	v_cmpx_ne_u32_e32 0, v22
	s_xor_b32 s7, exec_lo, s7
; %bb.4510:                             ;   in Loop: Header=BB4_4488 Depth=2
	s_delay_alu instid0(VALU_DEP_2) | instskip(SKIP_1) | instid1(VALU_DEP_1)
	v_cmp_lt_u64_e32 vcc_lo, 0xffffff, v[54:55]
	v_add_nc_u32_e32 v16, 7, v19
	v_cndmask_b32_e32 v18, v22, v16, vcc_lo
	v_cndmask_b32_e64 v16, 0, 1, vcc_lo
	s_delay_alu instid0(VALU_DEP_1)
	v_lshrrev_b64 v[16:17], v16, v[54:55]
; %bb.4511:                             ;   in Loop: Header=BB4_4488 Depth=2
	s_and_not1_saveexec_b32 s7, s7
; %bb.4512:                             ;   in Loop: Header=BB4_4488 Depth=2
	v_mov_b64_e32 v[16:17], v[54:55]
	v_bfe_u32 v18, v54, 23, 1
; %bb.4513:                             ;   in Loop: Header=BB4_4488 Depth=2
	s_or_b32 exec_lo, exec_lo, s7
	s_delay_alu instid0(VALU_DEP_2) | instskip(NEXT) | instid1(VALU_DEP_2)
	v_lshrrev_b64 v[16:17], 20, v[16:17]
	v_cmp_gt_i32_e32 vcc_lo, 16, v18
	v_cmp_ne_u32_e64 s7, 0, v18
	s_delay_alu instid0(VALU_DEP_3) | instskip(NEXT) | instid1(VALU_DEP_1)
	v_dual_cndmask_b32 v17, 0, v17 :: v_dual_cndmask_b32 v16, 7, v16
	v_cmp_ne_u64_e32 vcc_lo, 0, v[16:17]
                                        ; implicit-def: $vgpr17
	s_or_b32 s7, s7, vcc_lo
	s_delay_alu instid0(SALU_CYCLE_1) | instskip(NEXT) | instid1(SALU_CYCLE_1)
	s_and_saveexec_b32 s29, s7
	s_xor_b32 s7, exec_lo, s29
; %bb.4514:                             ;   in Loop: Header=BB4_4488 Depth=2
	v_min_i32_e32 v17, 15, v18
	s_delay_alu instid0(VALU_DEP_1) | instskip(NEXT) | instid1(VALU_DEP_1)
	v_lshl_or_b32 v17, v17, 3, v20
                                        ; implicit-def: $vgpr20
	v_and_or_b32 v17, v16, 7, v17
; %bb.4515:                             ;   in Loop: Header=BB4_4488 Depth=2
	s_and_not1_saveexec_b32 s7, s7
; %bb.4516:                             ;   in Loop: Header=BB4_4488 Depth=2
	v_mov_b32_e32 v17, v20
; %bb.4517:                             ;   in Loop: Header=BB4_4488 Depth=2
	s_or_b32 exec_lo, exec_lo, s7
.LBB4_4518:                             ;   in Loop: Header=BB4_4488 Depth=2
	s_delay_alu instid0(SALU_CYCLE_1)
	s_or_b32 exec_lo, exec_lo, s28
                                        ; implicit-def: $vgpr20
.LBB4_4519:                             ;   in Loop: Header=BB4_4488 Depth=2
	s_and_not1_saveexec_b32 s7, s27
; %bb.4520:                             ;   in Loop: Header=BB4_4488 Depth=2
	v_or_b32_e32 v17, 0x7e, v20
; %bb.4521:                             ;   in Loop: Header=BB4_4488 Depth=2
	s_or_b32 exec_lo, exec_lo, s7
                                        ; implicit-def: $vgpr18
.LBB4_4522:                             ;   in Loop: Header=BB4_4488 Depth=2
	s_and_not1_saveexec_b32 s7, s26
	s_cbranch_execz .LBB4_4487
; %bb.4523:                             ;   in Loop: Header=BB4_4488 Depth=2
	v_or_b32_e32 v17, 0x7f, v18
	s_branch .LBB4_4487
.LBB4_4524:                             ;   in Loop: Header=BB4_2331 Depth=1
	s_or_b32 exec_lo, exec_lo, s10
	v_cmp_ne_u32_e64 s7, 0, v118
	s_and_saveexec_b32 s10, s2
	s_cbranch_execz .LBB4_4543
.LBB4_4525:                             ;   in Loop: Header=BB4_2331 Depth=1
	s_and_saveexec_b32 s11, s3
	s_delay_alu instid0(SALU_CYCLE_1)
	s_xor_b32 s11, exec_lo, s11
	s_cbranch_execz .LBB4_4540
; %bb.4526:                             ;   in Loop: Header=BB4_2331 Depth=1
	s_and_saveexec_b32 s26, s4
	s_cbranch_execz .LBB4_4539
; %bb.4527:                             ;   in Loop: Header=BB4_2331 Depth=1
	s_mov_b32 s28, exec_lo
	s_mov_b32 s27, exec_lo
	v_mbcnt_lo_u32_b32 v10, s28, 0
	global_wb scope:SCOPE_DEV
	s_wait_storecnt 0x0
	s_wait_loadcnt_dscnt 0x0
	global_inv scope:SCOPE_DEV
	v_cmpx_eq_u32_e32 0, v10
	s_cbranch_execz .LBB4_4529
; %bb.4528:                             ;   in Loop: Header=BB4_2331 Depth=1
	s_bcnt1_i32_b32 s28, s28
	s_delay_alu instid0(SALU_CYCLE_1)
	v_mov_b32_e32 v54, s28
	s_wait_loadcnt 0x0
	ds_add_u64 v0, v[54:55]
	s_trap 2
.LBB4_4529:                             ;   in Loop: Header=BB4_2331 Depth=1
	s_or_b32 exec_lo, exec_lo, s27
	s_trap 2
	ds_load_b64 v[10:11], v0
	s_wait_dscnt 0x0
	v_add_nc_u64_e32 v[48:49], v[48:49], v[52:53]
	s_mov_b32 s27, exec_lo
	s_delay_alu instid0(VALU_DEP_1)
	v_cmpx_lt_u64_e64 v[10:11], v[48:49]
	s_cbranch_execz .LBB4_4538
; %bb.4530:                             ;   in Loop: Header=BB4_2331 Depth=1
	s_mov_b32 s28, 0
	s_mov_b32 s41, 0
                                        ; implicit-def: $sgpr29
                                        ; implicit-def: $sgpr40
	s_branch .LBB4_4532
.LBB4_4531:                             ;   in Loop: Header=BB4_4532 Depth=2
	s_or_b32 exec_lo, exec_lo, s43
	s_delay_alu instid0(SALU_CYCLE_1) | instskip(NEXT) | instid1(SALU_CYCLE_1)
	s_and_b32 s42, exec_lo, s44
	s_or_b32 s28, s42, s28
	s_and_not1_b32 s29, s29, exec_lo
	s_and_b32 s42, s40, exec_lo
	s_delay_alu instid0(SALU_CYCLE_1)
	s_or_b32 s29, s29, s42
	s_and_not1_b32 exec_lo, exec_lo, s28
	s_cbranch_execz .LBB4_4536
.LBB4_4532:                             ;   Parent Loop BB4_2331 Depth=1
                                        ; =>  This Inner Loop Header: Depth=2
	s_add_co_i32 s41, s41, 1
	s_delay_alu instid0(SALU_CYCLE_1) | instskip(SKIP_1) | instid1(SALU_CYCLE_1)
	s_cmp_lg_u32 s41, 0x2710
	s_cselect_b32 s42, -1, 0
	s_and_b32 vcc_lo, exec_lo, s42
	s_cbranch_vccz .LBB4_4534
; %bb.4533:                             ;   in Loop: Header=BB4_4532 Depth=2
	s_mov_b32 s44, -1
	s_or_b32 s40, s40, exec_lo
	s_and_saveexec_b32 s43, s42
	s_cbranch_execz .LBB4_4531
	s_branch .LBB4_4535
.LBB4_4534:                             ;   in Loop: Header=BB4_4532 Depth=2
	s_trap 2
	ds_load_b64 v[10:11], v0
	s_and_not1_b32 s42, s42, exec_lo
	s_mov_b32 s41, 0
	s_wait_loadcnt_dscnt 0x0
	flat_load_b32 v10, v[10:11] scope:SCOPE_SYS
	s_wait_loadcnt_dscnt 0x0
	global_inv scope:SCOPE_SYS
	v_cmp_eq_u32_e32 vcc_lo, 0, v10
	s_and_b32 s43, vcc_lo, exec_lo
	s_delay_alu instid0(SALU_CYCLE_1)
	s_or_b32 s42, s42, s43
	s_mov_b32 s44, -1
	s_or_b32 s40, s40, exec_lo
	s_and_saveexec_b32 s43, s42
	s_cbranch_execz .LBB4_4531
.LBB4_4535:                             ;   in Loop: Header=BB4_4532 Depth=2
	s_sleep 1
	s_trap 2
	ds_load_b64 v[10:11], v0
	s_wait_dscnt 0x0
	s_and_not1_b32 s40, s40, exec_lo
	v_cmp_ge_u64_e32 vcc_lo, v[10:11], v[48:49]
	s_or_not1_b32 s44, vcc_lo, exec_lo
	s_branch .LBB4_4531
.LBB4_4536:                             ;   in Loop: Header=BB4_2331 Depth=1
	s_or_b32 exec_lo, exec_lo, s28
	s_and_saveexec_b32 s28, s29
	s_delay_alu instid0(SALU_CYCLE_1)
	s_xor_b32 s28, exec_lo, s28
	s_cbranch_execz .LBB4_4538
; %bb.4537:                             ;   in Loop: Header=BB4_2331 Depth=1
	ds_store_b32 v0, v116
	s_trap 2
.LBB4_4538:                             ;   in Loop: Header=BB4_2331 Depth=1
	s_or_b32 exec_lo, exec_lo, s27
	;;#ASMSTART
	s_wakeup
	;;#ASMEND
.LBB4_4539:                             ;   in Loop: Header=BB4_2331 Depth=1
	s_or_b32 exec_lo, exec_lo, s26
.LBB4_4540:                             ;   in Loop: Header=BB4_2331 Depth=1
	s_and_not1_saveexec_b32 s11, s11
	s_cbranch_execz .LBB4_4542
; %bb.4541:                             ;   in Loop: Header=BB4_2331 Depth=1
	global_wb scope:SCOPE_DEV
	s_wait_storecnt 0x0
	s_wait_loadcnt_dscnt 0x0
	global_inv scope:SCOPE_DEV
	s_barrier_signal -1
	s_barrier_wait -1
.LBB4_4542:                             ;   in Loop: Header=BB4_2331 Depth=1
	s_or_b32 exec_lo, exec_lo, s11
.LBB4_4543:                             ;   in Loop: Header=BB4_2331 Depth=1
	s_delay_alu instid0(SALU_CYCLE_1) | instskip(SKIP_1) | instid1(VALU_DEP_1)
	s_or_b32 exec_lo, exec_lo, s10
	v_and_b32_e32 v10, 16, v30
	v_cmp_ne_u32_e32 vcc_lo, 0, v10
	s_and_b32 s10, vcc_lo, s7
	s_delay_alu instid0(SALU_CYCLE_1)
	s_and_saveexec_b32 s7, s10
	s_cbranch_execz .LBB4_4545
; %bb.4544:                             ;   in Loop: Header=BB4_2331 Depth=1
	global_wb scope:SCOPE_SYS
	s_wait_storecnt 0x0
	s_wait_loadcnt_dscnt 0x0
	global_inv scope:SCOPE_SYS
.LBB4_4545:                             ;   in Loop: Header=BB4_2331 Depth=1
	s_or_b32 exec_lo, exec_lo, s7
	v_and_b32_e32 v10, 32, v30
	s_mov_b32 s7, exec_lo
	s_delay_alu instid0(VALU_DEP_1)
	v_cmpx_ne_u32_e32 0, v10
	s_cbranch_execz .LBB4_4547
; %bb.4546:                             ;   in Loop: Header=BB4_2331 Depth=1
	v_add_nc_u64_e32 v[8:9], 1, v[8:9]
	global_wb scope:SCOPE_SYS
	s_wait_storecnt 0x0
	s_wait_loadcnt_dscnt 0x0
	flat_store_b64 v[32:33], v[8:9] scope:SCOPE_SYS
.LBB4_4547:                             ;   in Loop: Header=BB4_2331 Depth=1
	s_wait_xcnt 0x0
	s_or_b32 exec_lo, exec_lo, s7
	v_mov_b32_e32 v14, v83
.LBB4_4548:                             ;   in Loop: Header=BB4_2331 Depth=1
	s_or_b32 exec_lo, exec_lo, s25
	s_and_saveexec_b32 s10, s24
	s_cbranch_execz .LBB4_2330
; %bb.4549:                             ;   in Loop: Header=BB4_2331 Depth=1
	v_and_b32_e32 v10, 4, v30
	s_mov_b32 s11, exec_lo
	s_delay_alu instid0(VALU_DEP_1)
	v_cmpx_ne_u32_e32 0, v10
	s_cbranch_execz .LBB4_4571
; %bb.4550:                             ;   in Loop: Header=BB4_2331 Depth=1
	s_wait_dscnt 0x0
	v_add_nc_u64_e32 v[10:11], 1, v[8:9]
	s_mov_b32 s24, exec_lo
	s_wait_loadcnt 0x0
	s_delay_alu instid0(VALU_DEP_1)
	v_cmpx_lt_u64_e64 v[38:39], v[10:11]
	s_cbranch_execz .LBB4_4562
; %bb.4551:                             ;   in Loop: Header=BB4_2331 Depth=1
	v_and_b32_e32 v9, 64, v30
	s_mov_b32 s25, 0
	s_mov_b32 s29, 0
                                        ; implicit-def: $sgpr26
                                        ; implicit-def: $sgpr27
                                        ; implicit-def: $sgpr28
	s_delay_alu instid0(VALU_DEP_1)
	v_cmp_eq_u32_e32 vcc_lo, 0, v9
	s_branch .LBB4_4555
.LBB4_4552:                             ;   in Loop: Header=BB4_4555 Depth=2
	s_wait_loadcnt_dscnt 0x0
	v_cmp_ge_u64_e64 s7, v[38:39], v[10:11]
	s_or_b32 s42, s42, exec_lo
	s_or_not1_b32 s41, s7, exec_lo
.LBB4_4553:                             ;   in Loop: Header=BB4_4555 Depth=2
	s_or_b32 exec_lo, exec_lo, s44
	s_delay_alu instid0(SALU_CYCLE_1)
	s_and_not1_b32 s7, s28, exec_lo
	s_and_b32 s28, s42, exec_lo
	s_and_not1_b32 s27, s27, exec_lo
	s_and_b32 s41, s41, exec_lo
	s_or_b32 s28, s7, s28
	s_or_b32 s27, s27, s41
.LBB4_4554:                             ;   in Loop: Header=BB4_4555 Depth=2
	s_or_b32 exec_lo, exec_lo, s40
	s_delay_alu instid0(SALU_CYCLE_1) | instskip(NEXT) | instid1(SALU_CYCLE_1)
	s_and_b32 s7, exec_lo, s27
	s_or_b32 s25, s7, s25
	s_and_not1_b32 s7, s26, exec_lo
	s_and_b32 s26, s28, exec_lo
	s_delay_alu instid0(SALU_CYCLE_1)
	s_or_b32 s26, s7, s26
	s_and_not1_b32 exec_lo, exec_lo, s25
	s_cbranch_execz .LBB4_4559
.LBB4_4555:                             ;   Parent Loop BB4_2331 Depth=1
                                        ; =>  This Inner Loop Header: Depth=2
	s_sleep 1
	s_wait_loadcnt_dscnt 0x0
	flat_load_b64 v[38:39], v[32:33] scope:SCOPE_SYS
	s_or_b32 s28, s28, exec_lo
	s_or_b32 s27, s27, exec_lo
                                        ; implicit-def: $vgpr9
	s_wait_xcnt 0x0
	s_and_saveexec_b32 s40, vcc_lo
	s_cbranch_execz .LBB4_4554
; %bb.4556:                             ;   in Loop: Header=BB4_4555 Depth=2
	s_cmp_lt_i32 s29, 0x270f
	s_mov_b32 s41, -1
	s_cselect_b32 s43, -1, 0
	s_cmp_gt_i32 s29, 0x270e
	s_cbranch_scc0 .LBB4_4558
; %bb.4557:                             ;   in Loop: Header=BB4_4555 Depth=2
	s_trap 2
	ds_load_b64 v[12:13], v0
	s_and_not1_b32 s29, s43, exec_lo
	s_mov_b32 s42, 0
	s_wait_storecnt 0x0
	s_wait_loadcnt_dscnt 0x0
	flat_load_b32 v9, v[12:13] scope:SCOPE_SYS
	s_wait_loadcnt_dscnt 0x0
	global_inv scope:SCOPE_SYS
	v_cmp_eq_u32_e64 s7, 0, v9
	s_and_b32 s7, s7, exec_lo
	s_delay_alu instid0(SALU_CYCLE_1)
	s_or_b32 s43, s29, s7
	s_mov_b32 s29, 0
	s_and_saveexec_b32 s44, s43
	s_cbranch_execz .LBB4_4553
	s_branch .LBB4_4552
.LBB4_4558:                             ;   in Loop: Header=BB4_4555 Depth=2
	s_add_co_i32 s29, s29, 1
	s_mov_b32 s42, -1
                                        ; implicit-def: $vgpr9
	s_and_saveexec_b32 s44, s43
	s_cbranch_execz .LBB4_4553
	s_branch .LBB4_4552
.LBB4_4559:                             ;   in Loop: Header=BB4_2331 Depth=1
	s_or_b32 exec_lo, exec_lo, s25
	s_xor_b32 s7, s26, -1
	s_delay_alu instid0(SALU_CYCLE_1) | instskip(NEXT) | instid1(SALU_CYCLE_1)
	s_and_saveexec_b32 s25, s7
	s_xor_b32 s7, exec_lo, s25
	s_cbranch_execz .LBB4_4561
; %bb.4560:                             ;   in Loop: Header=BB4_2331 Depth=1
	v_or_b32_e32 v30, 64, v30
	s_wait_storecnt 0x0
	s_wait_loadcnt_dscnt 0x0
	ds_store_b32 v0, v9
	s_trap 2
.LBB4_4561:                             ;   in Loop: Header=BB4_2331 Depth=1
	s_or_b32 exec_lo, exec_lo, s7
.LBB4_4562:                             ;   in Loop: Header=BB4_2331 Depth=1
	s_delay_alu instid0(SALU_CYCLE_1) | instskip(SKIP_4) | instid1(VALU_DEP_2)
	s_or_b32 exec_lo, exec_lo, s24
	v_and_b32_e32 v9, 0x100, v30
	v_and_b32_e32 v54, 7, v8
	s_mov_b32 s7, -1
	;;#ASMSTART
	s_wakeup
	;;#ASMEND
	v_cmp_ne_u32_e32 vcc_lo, 0, v9
                                        ; implicit-def: $vgpr8_vgpr9
	s_and_saveexec_b32 s24, vcc_lo
	s_cbranch_execz .LBB4_4566
; %bb.4563:                             ;   in Loop: Header=BB4_2331 Depth=1
	v_mad_nc_u64_u32 v[12:13], v54, 24, v[6:7]
	flat_load_b32 v8, v[12:13]
	s_wait_loadcnt_dscnt 0x0
	v_cmp_eq_u32_e64 s7, 1, v8
	v_cmp_ne_u32_e32 vcc_lo, 1, v8
                                        ; implicit-def: $vgpr8_vgpr9
	s_wait_xcnt 0x0
	s_and_saveexec_b32 s25, s7
	s_cbranch_execz .LBB4_4565
; %bb.4564:                             ;   in Loop: Header=BB4_2331 Depth=1
	flat_load_b32 v8, v[12:13] offset:4 scope:SCOPE_SYS
	s_wait_loadcnt_dscnt 0x0
	v_ashrrev_i32_e32 v9, 31, v8
.LBB4_4565:                             ;   in Loop: Header=BB4_2331 Depth=1
	s_wait_xcnt 0x0
	s_or_b32 exec_lo, exec_lo, s25
	s_delay_alu instid0(SALU_CYCLE_1)
	s_or_not1_b32 s7, vcc_lo, exec_lo
.LBB4_4566:                             ;   in Loop: Header=BB4_2331 Depth=1
	s_or_b32 exec_lo, exec_lo, s24
	s_and_saveexec_b32 s24, s7
; %bb.4567:                             ;   in Loop: Header=BB4_2331 Depth=1
	v_mul_u64_e32 v[8:9], v[54:55], v[34:35]
; %bb.4568:                             ;   in Loop: Header=BB4_2331 Depth=1
	s_or_b32 exec_lo, exec_lo, s24
	s_delay_alu instid0(VALU_DEP_1)
	v_add_nc_u64_e32 v[8:9], v[36:37], v[8:9]
	v_and_b32_e32 v12, 0x2000, v30
	s_mov_b32 s7, exec_lo
	ds_store_b64 v0, v[8:9] offset:728
	v_cmpx_ne_u32_e32 0, v12
	s_cbranch_execz .LBB4_4570
; %bb.4569:                             ;   in Loop: Header=BB4_2331 Depth=1
	ds_load_b64 v[8:9], v0 offset:872
	s_wait_dscnt 0x0
	v_add_nc_u64_e32 v[8:9], 1, v[8:9]
	ds_store_b64 v0, v[8:9] offset:872
.LBB4_4570:                             ;   in Loop: Header=BB4_2331 Depth=1
	s_or_b32 exec_lo, exec_lo, s7
	v_mov_b64_e32 v[8:9], v[10:11]
.LBB4_4571:                             ;   in Loop: Header=BB4_2331 Depth=1
	s_or_b32 exec_lo, exec_lo, s11
	s_and_saveexec_b32 s7, s2
	s_cbranch_execz .LBB4_4590
; %bb.4572:                             ;   in Loop: Header=BB4_2331 Depth=1
	s_and_saveexec_b32 s11, s3
	s_delay_alu instid0(SALU_CYCLE_1)
	s_xor_b32 s11, exec_lo, s11
	s_cbranch_execz .LBB4_4587
; %bb.4573:                             ;   in Loop: Header=BB4_2331 Depth=1
	s_and_saveexec_b32 s24, s4
	s_cbranch_execz .LBB4_4586
; %bb.4574:                             ;   in Loop: Header=BB4_2331 Depth=1
	s_mov_b32 s26, exec_lo
	s_mov_b32 s25, exec_lo
	v_mbcnt_lo_u32_b32 v10, s26, 0
	global_wb scope:SCOPE_DEV
	s_wait_storecnt 0x0
	s_wait_loadcnt_dscnt 0x0
	global_inv scope:SCOPE_DEV
	v_cmpx_eq_u32_e32 0, v10
	s_cbranch_execz .LBB4_4576
; %bb.4575:                             ;   in Loop: Header=BB4_2331 Depth=1
	s_bcnt1_i32_b32 s26, s26
	s_delay_alu instid0(SALU_CYCLE_1)
	v_mov_b32_e32 v54, s26
	s_wait_loadcnt 0x0
	ds_add_u64 v0, v[54:55]
	s_trap 2
.LBB4_4576:                             ;   in Loop: Header=BB4_2331 Depth=1
	s_or_b32 exec_lo, exec_lo, s25
	s_trap 2
	ds_load_b64 v[10:11], v0
	s_wait_dscnt 0x0
	v_add_nc_u64_e32 v[48:49], v[48:49], v[52:53]
	s_mov_b32 s25, exec_lo
	s_delay_alu instid0(VALU_DEP_1)
	v_cmpx_lt_u64_e64 v[10:11], v[48:49]
	s_cbranch_execz .LBB4_4585
; %bb.4577:                             ;   in Loop: Header=BB4_2331 Depth=1
	s_mov_b32 s26, 0
	s_mov_b32 s29, 0
                                        ; implicit-def: $sgpr27
                                        ; implicit-def: $sgpr28
	s_branch .LBB4_4579
.LBB4_4578:                             ;   in Loop: Header=BB4_4579 Depth=2
	s_or_b32 exec_lo, exec_lo, s41
	s_delay_alu instid0(SALU_CYCLE_1) | instskip(NEXT) | instid1(SALU_CYCLE_1)
	s_and_b32 s40, exec_lo, s42
	s_or_b32 s26, s40, s26
	s_and_not1_b32 s27, s27, exec_lo
	s_and_b32 s40, s28, exec_lo
	s_delay_alu instid0(SALU_CYCLE_1)
	s_or_b32 s27, s27, s40
	s_and_not1_b32 exec_lo, exec_lo, s26
	s_cbranch_execz .LBB4_4583
.LBB4_4579:                             ;   Parent Loop BB4_2331 Depth=1
                                        ; =>  This Inner Loop Header: Depth=2
	s_add_co_i32 s29, s29, 1
	s_delay_alu instid0(SALU_CYCLE_1) | instskip(SKIP_1) | instid1(SALU_CYCLE_1)
	s_cmp_lg_u32 s29, 0x2710
	s_cselect_b32 s40, -1, 0
	s_and_b32 vcc_lo, exec_lo, s40
	s_cbranch_vccz .LBB4_4581
; %bb.4580:                             ;   in Loop: Header=BB4_4579 Depth=2
	s_mov_b32 s42, -1
	s_or_b32 s28, s28, exec_lo
	s_and_saveexec_b32 s41, s40
	s_cbranch_execz .LBB4_4578
	s_branch .LBB4_4582
.LBB4_4581:                             ;   in Loop: Header=BB4_4579 Depth=2
	s_trap 2
	ds_load_b64 v[10:11], v0
	s_and_not1_b32 s40, s40, exec_lo
	s_mov_b32 s29, 0
	s_wait_loadcnt_dscnt 0x0
	flat_load_b32 v10, v[10:11] scope:SCOPE_SYS
	s_wait_loadcnt_dscnt 0x0
	global_inv scope:SCOPE_SYS
	v_cmp_eq_u32_e32 vcc_lo, 0, v10
	s_and_b32 s41, vcc_lo, exec_lo
	s_delay_alu instid0(SALU_CYCLE_1)
	s_or_b32 s40, s40, s41
	s_mov_b32 s42, -1
	s_or_b32 s28, s28, exec_lo
	s_and_saveexec_b32 s41, s40
	s_cbranch_execz .LBB4_4578
.LBB4_4582:                             ;   in Loop: Header=BB4_4579 Depth=2
	s_sleep 1
	s_trap 2
	ds_load_b64 v[10:11], v0
	s_wait_dscnt 0x0
	s_and_not1_b32 s28, s28, exec_lo
	v_cmp_ge_u64_e32 vcc_lo, v[10:11], v[48:49]
	s_or_not1_b32 s42, vcc_lo, exec_lo
	s_branch .LBB4_4578
.LBB4_4583:                             ;   in Loop: Header=BB4_2331 Depth=1
	s_or_b32 exec_lo, exec_lo, s26
	s_and_saveexec_b32 s26, s27
	s_delay_alu instid0(SALU_CYCLE_1)
	s_xor_b32 s26, exec_lo, s26
	s_cbranch_execz .LBB4_4585
; %bb.4584:                             ;   in Loop: Header=BB4_2331 Depth=1
	ds_store_b32 v0, v116
	s_trap 2
.LBB4_4585:                             ;   in Loop: Header=BB4_2331 Depth=1
	s_or_b32 exec_lo, exec_lo, s25
	;;#ASMSTART
	s_wakeup
	;;#ASMEND
.LBB4_4586:                             ;   in Loop: Header=BB4_2331 Depth=1
	s_or_b32 exec_lo, exec_lo, s24
.LBB4_4587:                             ;   in Loop: Header=BB4_2331 Depth=1
	s_and_not1_saveexec_b32 s11, s11
	s_cbranch_execz .LBB4_4589
; %bb.4588:                             ;   in Loop: Header=BB4_2331 Depth=1
	global_wb scope:SCOPE_DEV
	s_wait_storecnt 0x0
	s_wait_loadcnt_dscnt 0x0
	global_inv scope:SCOPE_DEV
	s_barrier_signal -1
	s_barrier_wait -1
.LBB4_4589:                             ;   in Loop: Header=BB4_2331 Depth=1
	s_or_b32 exec_lo, exec_lo, s11
.LBB4_4590:                             ;   in Loop: Header=BB4_2331 Depth=1
	s_delay_alu instid0(SALU_CYCLE_1) | instskip(SKIP_3) | instid1(VALU_DEP_1)
	s_or_b32 exec_lo, exec_lo, s7
	s_trap 2
	ds_load_b32 v10, v0
	v_sub_nc_u32_e32 v11, v82, v14
	v_min_i32_e32 v11, v83, v11
	s_delay_alu instid0(VALU_DEP_1) | instskip(SKIP_4) | instid1(VALU_DEP_1)
	v_cmp_lt_i32_e32 vcc_lo, 0, v11
	s_wait_dscnt 0x0
	v_readfirstlane_b32 s7, v10
	v_and_b32_e32 v10, 16, v30
	s_cmp_eq_u32 s7, 0
	v_cmp_ne_u32_e64 s7, 0, v10
	s_cselect_b32 s11, -1, 0
	s_delay_alu instid0(SALU_CYCLE_1) | instskip(NEXT) | instid1(SALU_CYCLE_1)
	s_and_b32 s11, vcc_lo, s11
	s_and_b32 s11, s7, s11
	s_delay_alu instid0(SALU_CYCLE_1)
	s_and_saveexec_b32 s7, s11
	s_cbranch_execz .LBB4_4592
; %bb.4591:                             ;   in Loop: Header=BB4_2331 Depth=1
	global_wb scope:SCOPE_SYS
	s_wait_loadcnt 0x0
	s_wait_storecnt 0x0
	global_inv scope:SCOPE_SYS
.LBB4_4592:                             ;   in Loop: Header=BB4_2331 Depth=1
	s_or_b32 exec_lo, exec_lo, s7
	v_and_b32_e32 v10, 32, v30
	s_mov_b32 s7, exec_lo
	s_delay_alu instid0(VALU_DEP_1)
	v_cmpx_ne_u32_e32 0, v10
	s_cbranch_execz .LBB4_2329
; %bb.4593:                             ;   in Loop: Header=BB4_2331 Depth=1
	v_add_nc_u64_e32 v[8:9], 1, v[8:9]
	global_wb scope:SCOPE_SYS
	s_wait_loadcnt 0x0
	s_wait_storecnt 0x0
	flat_store_b64 v[32:33], v[8:9] scope:SCOPE_SYS
	s_branch .LBB4_2329
.LBB4_4594:
	s_or_b32 exec_lo, exec_lo, s21
.LBB4_4595:
	s_delay_alu instid0(SALU_CYCLE_1)
	s_or_b32 exec_lo, exec_lo, s17
.LBB4_4596:
	s_delay_alu instid0(SALU_CYCLE_1)
	s_or_b32 exec_lo, exec_lo, s16
                                        ; implicit-def: $vgpr26_vgpr27
                                        ; implicit-def: $vgpr4_vgpr5
                                        ; implicit-def: $vgpr52_vgpr53
                                        ; implicit-def: $vgpr34
                                        ; implicit-def: $vgpr38_vgpr39
                                        ; implicit-def: $vgpr36_vgpr37
                                        ; implicit-def: $vgpr32_vgpr33
                                        ; implicit-def: $vgpr0
                                        ; implicit-def: $vgpr15
                                        ; implicit-def: $vgpr50_vgpr51
.LBB4_4597:
	s_and_not1_saveexec_b32 s11, s20
	s_cbranch_execz .LBB4_4771
; %bb.4598:
	v_mov_b64_e32 v[48:49], 0
	s_mov_b32 s12, exec_lo
	v_cmpx_ne_u64_e32 0, v[4:5]
	s_cbranch_execz .LBB4_4770
; %bb.4599:
	s_wait_dscnt 0x1
	v_dual_ashrrev_i32 v10, 31, v0 :: v_dual_ashrrev_i32 v35, 31, v34
	s_ashr_i32 s4, s19, 31
	v_cmp_eq_u32_e32 vcc_lo, 32, v1
	s_lshr_b32 s5, s4, 24
	s_delay_alu instid0(VALU_DEP_2) | instskip(SKIP_3) | instid1(VALU_DEP_3)
	v_dual_lshrrev_b32 v10, 27, v10 :: v_dual_bitop2_b32 v11, 31, v31 bitop3:0x40
	s_add_co_i32 s19, s19, s5
	v_mov_b64_e32 v[16:17], 0
	v_cmp_ne_u64_e64 s4, 0, v[52:53]
	v_dual_add_nc_u32 v12, v0, v10 :: v_dual_lshrrev_b32 v10, 5, v1
	v_mov_b32_e32 v13, 0
	v_cmp_eq_u32_e64 s5, 0, v11
	s_wait_dscnt 0x0
	v_mov_b64_e32 v[24:25], 0
	v_and_b32_e32 v18, 0xffffffe0, v12
	v_ashrrev_i32_e32 v82, 5, v12
	v_mov_b64_e32 v[48:49], 0
	v_cmp_ge_i32_e64 s1, v0, v1
	v_cmp_ne_u32_e64 s2, 32, v1
	v_dual_sub_nc_u32 v83, v0, v18 :: v_dual_mov_b32 v11, v13
	v_dual_mov_b32 v19, v13 :: v_dual_lshlrev_b32 v12, 11, v82
	v_cmp_ne_u32_e64 s3, v1, v40
	v_and_b32_e32 v14, 0x1fe0, v1
	v_dual_lshlrev_b32 v18, 11, v10 :: v_dual_lshlrev_b32 v22, 9, v10
	s_delay_alu instid0(VALU_DEP_4)
	v_lshl_add_u32 v20, v83, 4, v12
	v_mov_b32_e32 v23, v13
	v_cmp_gt_i32_e64 s6, 1, v83
	v_cmp_lt_i32_e64 s7, v83, v15
	v_dual_mov_b32 v15, v13 :: v_dual_mov_b32 v84, 1
	v_ashrrev_i32_e32 v21, 31, v20
	s_ashr_i32 s14, s19, 8
	s_mov_b32 s13, 0
	s_xor_b32 s15, vcc_lo, -1
	s_trap 2
	s_branch .LBB4_4603
.LBB4_4600:                             ;   in Loop: Header=BB4_4603 Depth=1
	s_wait_xcnt 0x0
	s_or_b32 exec_lo, exec_lo, s16
	v_add_nc_u64_e32 v[8:9], 1, v[8:9]
	global_wb scope:SCOPE_SYS
	s_wait_storecnt 0x0
	s_wait_loadcnt_dscnt 0x0
	flat_store_b64 v[32:33], v[8:9] scope:SCOPE_SYS
.LBB4_4601:                             ;   in Loop: Header=BB4_4603 Depth=1
	s_wait_xcnt 0x0
	s_or_b32 exec_lo, exec_lo, s10
.LBB4_4602:                             ;   in Loop: Header=BB4_4603 Depth=1
	s_delay_alu instid0(SALU_CYCLE_1) | instskip(SKIP_1) | instid1(VALU_DEP_1)
	s_or_b32 exec_lo, exec_lo, s17
	v_add_nc_u64_e32 v[24:25], v[24:25], v[50:51]
	v_cmp_ge_u64_e32 vcc_lo, v[24:25], v[4:5]
	s_or_b32 s13, vcc_lo, s13
	s_delay_alu instid0(SALU_CYCLE_1)
	s_and_not1_b32 exec_lo, exec_lo, s13
	s_cbranch_execz .LBB4_4769
.LBB4_4603:                             ; =>This Loop Header: Depth=1
                                        ;     Child Loop BB4_4612 Depth 2
                                        ;     Child Loop BB4_4636 Depth 2
	;; [unrolled: 1-line block ×10, first 2 shown]
	v_sub_nc_u64_e32 v[54:55], v[4:5], v[24:25]
	s_delay_alu instid0(VALU_DEP_1) | instskip(NEXT) | instid1(VALU_DEP_1)
	v_min_u64 v[54:55], v[50:51], v[54:55]
	v_add_nc_u32_e32 v12, 15, v54
	s_delay_alu instid0(VALU_DEP_2) | instskip(NEXT) | instid1(VALU_DEP_2)
	v_cmp_eq_u64_e32 vcc_lo, 0, v[54:55]
	v_and_b32_e32 v12, 0x7ffffff0, v12
	s_or_b32 s16, s1, vcc_lo
	s_delay_alu instid0(SALU_CYCLE_1) | instskip(NEXT) | instid1(VALU_DEP_1)
	s_xor_b32 s10, s16, -1
	v_dual_mov_b32 v12, 0 :: v_dual_max_i32 v64, s14, v12
	s_and_saveexec_b32 s17, s10
	s_cbranch_execz .LBB4_4722
; %bb.4604:                             ;   in Loop: Header=BB4_4603 Depth=1
	s_and_saveexec_b32 s10, s0
	s_cbranch_execz .LBB4_4606
; %bb.4605:                             ;   in Loop: Header=BB4_4603 Depth=1
	s_trap 2
	ds_load_b64 v[66:67], v0
	s_wait_dscnt 0x0
	v_add_nc_u64_e32 v[66:67], v[66:67], v[26:27]
	s_delay_alu instid0(VALU_DEP_1)
	v_add_nc_u64_e32 v[66:67], v[66:67], v[24:25]
	ds_store_b64 v0, v[66:67]
	ds_store_b64 v0, v[16:17]
.LBB4_4606:                             ;   in Loop: Header=BB4_4603 Depth=1
	s_or_b32 exec_lo, exec_lo, s10
	v_and_b32_e32 v12, 8, v30
	v_min_u32_e32 v64, v64, v54
	s_mov_b32 s19, exec_lo
	s_delay_alu instid0(VALU_DEP_2)
	v_cmpx_ne_u32_e32 0, v12
	s_cbranch_execz .LBB4_4628
; %bb.4607:                             ;   in Loop: Header=BB4_4603 Depth=1
	s_wait_loadcnt 0x0
	v_add_nc_u64_e32 v[68:69], 8, v[38:39]
	v_add_nc_u64_e32 v[66:67], 1, v[8:9]
	s_mov_b32 s20, exec_lo
	s_delay_alu instid0(VALU_DEP_1)
	v_cmpx_lt_u64_e64 v[68:69], v[66:67]
	s_cbranch_execz .LBB4_4619
; %bb.4608:                             ;   in Loop: Header=BB4_4603 Depth=1
	v_and_b32_e32 v9, 64, v30
	s_mov_b32 s21, 0
	s_mov_b32 s25, 0
                                        ; implicit-def: $sgpr22
                                        ; implicit-def: $sgpr23
                                        ; implicit-def: $sgpr24
	s_delay_alu instid0(VALU_DEP_1)
	v_cmp_eq_u32_e32 vcc_lo, 0, v9
	s_branch .LBB4_4612
.LBB4_4609:                             ;   in Loop: Header=BB4_4612 Depth=2
	s_wait_loadcnt_dscnt 0x0
	v_add_nc_u64_e32 v[68:69], 8, v[38:39]
	s_or_b32 s28, s28, exec_lo
	s_delay_alu instid0(VALU_DEP_1)
	v_cmp_ge_u64_e64 s10, v[68:69], v[66:67]
	s_or_not1_b32 s27, s10, exec_lo
.LBB4_4610:                             ;   in Loop: Header=BB4_4612 Depth=2
	s_or_b32 exec_lo, exec_lo, s40
	s_delay_alu instid0(SALU_CYCLE_1)
	s_and_not1_b32 s10, s24, exec_lo
	s_and_b32 s24, s28, exec_lo
	s_and_not1_b32 s23, s23, exec_lo
	s_and_b32 s27, s27, exec_lo
	s_or_b32 s24, s10, s24
	s_or_b32 s23, s23, s27
.LBB4_4611:                             ;   in Loop: Header=BB4_4612 Depth=2
	s_or_b32 exec_lo, exec_lo, s26
	s_delay_alu instid0(SALU_CYCLE_1) | instskip(NEXT) | instid1(SALU_CYCLE_1)
	s_and_b32 s10, exec_lo, s23
	s_or_b32 s21, s10, s21
	s_and_not1_b32 s10, s22, exec_lo
	s_and_b32 s22, s24, exec_lo
	s_delay_alu instid0(SALU_CYCLE_1)
	s_or_b32 s22, s10, s22
	s_and_not1_b32 exec_lo, exec_lo, s21
	s_cbranch_execz .LBB4_4616
.LBB4_4612:                             ;   Parent Loop BB4_4603 Depth=1
                                        ; =>  This Inner Loop Header: Depth=2
	s_sleep 1
	s_wait_loadcnt_dscnt 0x0
	flat_load_b64 v[38:39], v[32:33] scope:SCOPE_SYS
	s_or_b32 s24, s24, exec_lo
	s_or_b32 s23, s23, exec_lo
                                        ; implicit-def: $vgpr9
	s_wait_xcnt 0x0
	s_and_saveexec_b32 s26, vcc_lo
	s_cbranch_execz .LBB4_4611
; %bb.4613:                             ;   in Loop: Header=BB4_4612 Depth=2
	s_cmp_lt_i32 s25, 0x270f
	s_mov_b32 s27, -1
	s_cselect_b32 s29, -1, 0
	s_cmp_gt_i32 s25, 0x270e
	s_cbranch_scc0 .LBB4_4615
; %bb.4614:                             ;   in Loop: Header=BB4_4612 Depth=2
	s_trap 2
	ds_load_b64 v[68:69], v0
	s_and_not1_b32 s25, s29, exec_lo
	s_mov_b32 s28, 0
	s_wait_storecnt 0x0
	s_wait_loadcnt_dscnt 0x0
	flat_load_b32 v9, v[68:69] scope:SCOPE_SYS
	s_wait_loadcnt_dscnt 0x0
	global_inv scope:SCOPE_SYS
	v_cmp_eq_u32_e64 s10, 0, v9
	s_and_b32 s10, s10, exec_lo
	s_delay_alu instid0(SALU_CYCLE_1)
	s_or_b32 s29, s25, s10
	s_mov_b32 s25, 0
	s_and_saveexec_b32 s40, s29
	s_cbranch_execz .LBB4_4610
	s_branch .LBB4_4609
.LBB4_4615:                             ;   in Loop: Header=BB4_4612 Depth=2
	s_add_co_i32 s25, s25, 1
	s_mov_b32 s28, -1
                                        ; implicit-def: $vgpr9
	s_and_saveexec_b32 s40, s29
	s_cbranch_execz .LBB4_4610
	s_branch .LBB4_4609
.LBB4_4616:                             ;   in Loop: Header=BB4_4603 Depth=1
	s_or_b32 exec_lo, exec_lo, s21
	s_xor_b32 s10, s22, -1
	s_delay_alu instid0(SALU_CYCLE_1) | instskip(NEXT) | instid1(SALU_CYCLE_1)
	s_and_saveexec_b32 s21, s10
	s_xor_b32 s10, exec_lo, s21
	s_cbranch_execz .LBB4_4618
; %bb.4617:                             ;   in Loop: Header=BB4_4603 Depth=1
	v_or_b32_e32 v30, 64, v30
	s_wait_storecnt 0x0
	s_wait_loadcnt_dscnt 0x0
	ds_store_b32 v0, v9
	s_trap 2
.LBB4_4618:                             ;   in Loop: Header=BB4_4603 Depth=1
	s_or_b32 exec_lo, exec_lo, s10
.LBB4_4619:                             ;   in Loop: Header=BB4_4603 Depth=1
	s_delay_alu instid0(SALU_CYCLE_1) | instskip(SKIP_4) | instid1(VALU_DEP_2)
	s_or_b32 exec_lo, exec_lo, s20
	v_and_b32_e32 v9, 0x100, v30
	v_and_b32_e32 v12, 7, v8
	s_mov_b32 s10, -1
	;;#ASMSTART
	s_wakeup
	;;#ASMEND
	v_cmp_ne_u32_e32 vcc_lo, 0, v9
                                        ; implicit-def: $vgpr8_vgpr9
	s_and_saveexec_b32 s20, vcc_lo
	s_cbranch_execz .LBB4_4623
; %bb.4620:                             ;   in Loop: Header=BB4_4603 Depth=1
	v_mad_nc_u64_u32 v[68:69], v12, 24, v[6:7]
	v_mov_b32_e32 v65, v13
	s_clause 0x1
	flat_load_b32 v8, v[68:69]
	flat_store_b64 v[68:69], v[64:65] offset:8
	s_wait_loadcnt_dscnt 0x1
	v_cmp_eq_u32_e64 s10, 1, v8
	v_cmp_ne_u32_e32 vcc_lo, 1, v8
                                        ; implicit-def: $vgpr8_vgpr9
	s_wait_xcnt 0x0
	s_and_saveexec_b32 s21, s10
	s_cbranch_execz .LBB4_4622
; %bb.4621:                             ;   in Loop: Header=BB4_4603 Depth=1
	flat_load_b32 v8, v[68:69] offset:4 scope:SCOPE_SYS
	s_wait_loadcnt_dscnt 0x0
	v_ashrrev_i32_e32 v9, 31, v8
.LBB4_4622:                             ;   in Loop: Header=BB4_4603 Depth=1
	s_wait_xcnt 0x0
	s_or_b32 exec_lo, exec_lo, s21
	s_delay_alu instid0(SALU_CYCLE_1)
	s_or_not1_b32 s10, vcc_lo, exec_lo
.LBB4_4623:                             ;   in Loop: Header=BB4_4603 Depth=1
	s_or_b32 exec_lo, exec_lo, s20
	s_and_saveexec_b32 s20, s10
; %bb.4624:                             ;   in Loop: Header=BB4_4603 Depth=1
	v_mul_u64_e32 v[8:9], v[12:13], v[34:35]
; %bb.4625:                             ;   in Loop: Header=BB4_4603 Depth=1
	s_or_b32 exec_lo, exec_lo, s20
	s_delay_alu instid0(VALU_DEP_1)
	v_add_nc_u64_e32 v[8:9], v[36:37], v[8:9]
	v_and_b32_e32 v12, 0x2000, v30
	s_mov_b32 s10, exec_lo
	ds_store_b64 v0, v[8:9] offset:784
	v_cmpx_ne_u32_e32 0, v12
	s_cbranch_execz .LBB4_4627
; %bb.4626:                             ;   in Loop: Header=BB4_4603 Depth=1
	ds_load_b64 v[8:9], v0 offset:872
	s_wait_dscnt 0x0
	v_add_nc_u64_e32 v[8:9], 1, v[8:9]
	ds_store_b64 v0, v[8:9] offset:872
.LBB4_4627:                             ;   in Loop: Header=BB4_4603 Depth=1
	s_or_b32 exec_lo, exec_lo, s10
	v_mov_b64_e32 v[8:9], v[66:67]
.LBB4_4628:                             ;   in Loop: Header=BB4_4603 Depth=1
	s_or_b32 exec_lo, exec_lo, s19
	s_and_saveexec_b32 s10, s2
	s_cbranch_execz .LBB4_4647
; %bb.4629:                             ;   in Loop: Header=BB4_4603 Depth=1
	s_and_saveexec_b32 s19, s3
	s_delay_alu instid0(SALU_CYCLE_1)
	s_xor_b32 s19, exec_lo, s19
	s_cbranch_execz .LBB4_4644
; %bb.4630:                             ;   in Loop: Header=BB4_4603 Depth=1
	s_and_saveexec_b32 s20, s5
	s_cbranch_execz .LBB4_4643
; %bb.4631:                             ;   in Loop: Header=BB4_4603 Depth=1
	s_mov_b32 s22, exec_lo
	s_mov_b32 s21, exec_lo
	v_mbcnt_lo_u32_b32 v12, s22, 0
	global_wb scope:SCOPE_DEV
	s_wait_storecnt 0x0
	s_wait_loadcnt_dscnt 0x0
	global_inv scope:SCOPE_DEV
	v_cmpx_eq_u32_e32 0, v12
	s_cbranch_execz .LBB4_4633
; %bb.4632:                             ;   in Loop: Header=BB4_4603 Depth=1
	s_bcnt1_i32_b32 s22, s22
	s_delay_alu instid0(SALU_CYCLE_1)
	v_mov_b32_e32 v12, s22
	s_wait_loadcnt 0x0
	ds_add_u64 v0, v[12:13]
	s_trap 2
.LBB4_4633:                             ;   in Loop: Header=BB4_4603 Depth=1
	s_or_b32 exec_lo, exec_lo, s21
	s_trap 2
	ds_load_b64 v[66:67], v0
	s_wait_dscnt 0x0
	v_add_nc_u64_e32 v[48:49], v[48:49], v[10:11]
	s_mov_b32 s21, exec_lo
	s_delay_alu instid0(VALU_DEP_1)
	v_cmpx_lt_u64_e64 v[66:67], v[48:49]
	s_cbranch_execz .LBB4_4642
; %bb.4634:                             ;   in Loop: Header=BB4_4603 Depth=1
	s_mov_b32 s22, 0
	s_mov_b32 s25, 0
                                        ; implicit-def: $sgpr23
                                        ; implicit-def: $sgpr24
	s_branch .LBB4_4636
.LBB4_4635:                             ;   in Loop: Header=BB4_4636 Depth=2
	s_or_b32 exec_lo, exec_lo, s27
	s_delay_alu instid0(SALU_CYCLE_1) | instskip(NEXT) | instid1(SALU_CYCLE_1)
	s_and_b32 s26, exec_lo, s28
	s_or_b32 s22, s26, s22
	s_and_not1_b32 s23, s23, exec_lo
	s_and_b32 s26, s24, exec_lo
	s_delay_alu instid0(SALU_CYCLE_1)
	s_or_b32 s23, s23, s26
	s_and_not1_b32 exec_lo, exec_lo, s22
	s_cbranch_execz .LBB4_4640
.LBB4_4636:                             ;   Parent Loop BB4_4603 Depth=1
                                        ; =>  This Inner Loop Header: Depth=2
	s_add_co_i32 s25, s25, 1
	s_delay_alu instid0(SALU_CYCLE_1) | instskip(SKIP_1) | instid1(SALU_CYCLE_1)
	s_cmp_lg_u32 s25, 0x2710
	s_cselect_b32 s26, -1, 0
	s_and_b32 vcc_lo, exec_lo, s26
	s_cbranch_vccz .LBB4_4638
; %bb.4637:                             ;   in Loop: Header=BB4_4636 Depth=2
	s_mov_b32 s28, -1
	s_or_b32 s24, s24, exec_lo
	s_and_saveexec_b32 s27, s26
	s_cbranch_execz .LBB4_4635
	s_branch .LBB4_4639
.LBB4_4638:                             ;   in Loop: Header=BB4_4636 Depth=2
	s_trap 2
	ds_load_b64 v[66:67], v0
	s_and_not1_b32 s26, s26, exec_lo
	s_mov_b32 s25, 0
	s_wait_loadcnt_dscnt 0x0
	flat_load_b32 v12, v[66:67] scope:SCOPE_SYS
	s_wait_loadcnt_dscnt 0x0
	global_inv scope:SCOPE_SYS
	v_cmp_eq_u32_e32 vcc_lo, 0, v12
	s_and_b32 s27, vcc_lo, exec_lo
	s_delay_alu instid0(SALU_CYCLE_1)
	s_or_b32 s26, s26, s27
	s_mov_b32 s28, -1
	s_or_b32 s24, s24, exec_lo
	s_and_saveexec_b32 s27, s26
	s_cbranch_execz .LBB4_4635
.LBB4_4639:                             ;   in Loop: Header=BB4_4636 Depth=2
	s_sleep 1
	s_trap 2
	ds_load_b64 v[66:67], v0
	s_wait_dscnt 0x0
	s_and_not1_b32 s24, s24, exec_lo
	v_cmp_ge_u64_e32 vcc_lo, v[66:67], v[48:49]
	s_or_not1_b32 s28, vcc_lo, exec_lo
	s_branch .LBB4_4635
.LBB4_4640:                             ;   in Loop: Header=BB4_4603 Depth=1
	s_or_b32 exec_lo, exec_lo, s22
	s_and_saveexec_b32 s22, s23
	s_delay_alu instid0(SALU_CYCLE_1)
	s_xor_b32 s22, exec_lo, s22
	s_cbranch_execz .LBB4_4642
; %bb.4641:                             ;   in Loop: Header=BB4_4603 Depth=1
	ds_store_b32 v0, v84
	s_trap 2
.LBB4_4642:                             ;   in Loop: Header=BB4_4603 Depth=1
	s_or_b32 exec_lo, exec_lo, s21
	;;#ASMSTART
	s_wakeup
	;;#ASMEND
.LBB4_4643:                             ;   in Loop: Header=BB4_4603 Depth=1
	s_or_b32 exec_lo, exec_lo, s20
.LBB4_4644:                             ;   in Loop: Header=BB4_4603 Depth=1
	s_and_not1_saveexec_b32 s19, s19
	s_cbranch_execz .LBB4_4646
; %bb.4645:                             ;   in Loop: Header=BB4_4603 Depth=1
	global_wb scope:SCOPE_DEV
	s_wait_storecnt 0x0
	s_wait_loadcnt_dscnt 0x0
	global_inv scope:SCOPE_DEV
	s_barrier_signal -1
	s_barrier_wait -1
.LBB4_4646:                             ;   in Loop: Header=BB4_4603 Depth=1
	s_or_b32 exec_lo, exec_lo, s19
.LBB4_4647:                             ;   in Loop: Header=BB4_4603 Depth=1
	s_delay_alu instid0(SALU_CYCLE_1) | instskip(SKIP_3) | instid1(VALU_DEP_1)
	s_or_b32 exec_lo, exec_lo, s10
	s_trap 2
	ds_load_b32 v55, v0
	v_and_b32_e32 v12, 0x4000, v30
	v_cmp_ne_u32_e32 vcc_lo, 0, v12
	s_and_b32 s19, s15, vcc_lo
	s_delay_alu instid0(SALU_CYCLE_1)
	s_and_saveexec_b32 s10, s19
	s_cbranch_execz .LBB4_4666
; %bb.4648:                             ;   in Loop: Header=BB4_4603 Depth=1
	s_and_saveexec_b32 s19, s3
	s_delay_alu instid0(SALU_CYCLE_1)
	s_xor_b32 s19, exec_lo, s19
	s_cbranch_execz .LBB4_4663
; %bb.4649:                             ;   in Loop: Header=BB4_4603 Depth=1
	s_and_saveexec_b32 s20, s5
	s_cbranch_execz .LBB4_4662
; %bb.4650:                             ;   in Loop: Header=BB4_4603 Depth=1
	s_mov_b32 s22, exec_lo
	s_mov_b32 s21, exec_lo
	v_mbcnt_lo_u32_b32 v12, s22, 0
	global_wb scope:SCOPE_DEV
	s_wait_storecnt 0x0
	s_wait_loadcnt_dscnt 0x0
	global_inv scope:SCOPE_DEV
	v_cmpx_eq_u32_e32 0, v12
	s_cbranch_execz .LBB4_4652
; %bb.4651:                             ;   in Loop: Header=BB4_4603 Depth=1
	s_bcnt1_i32_b32 s22, s22
	s_delay_alu instid0(SALU_CYCLE_1)
	v_mov_b32_e32 v12, s22
	s_wait_loadcnt 0x0
	ds_add_u64 v0, v[12:13]
	s_trap 2
.LBB4_4652:                             ;   in Loop: Header=BB4_4603 Depth=1
	s_or_b32 exec_lo, exec_lo, s21
	s_trap 2
	ds_load_b64 v[66:67], v0
	s_wait_dscnt 0x0
	v_add_nc_u64_e32 v[48:49], v[48:49], v[10:11]
	s_mov_b32 s21, exec_lo
	s_delay_alu instid0(VALU_DEP_1)
	v_cmpx_lt_u64_e64 v[66:67], v[48:49]
	s_cbranch_execz .LBB4_4661
; %bb.4653:                             ;   in Loop: Header=BB4_4603 Depth=1
	s_mov_b32 s22, 0
	s_mov_b32 s25, 0
                                        ; implicit-def: $sgpr23
                                        ; implicit-def: $sgpr24
	s_branch .LBB4_4655
.LBB4_4654:                             ;   in Loop: Header=BB4_4655 Depth=2
	s_or_b32 exec_lo, exec_lo, s27
	s_delay_alu instid0(SALU_CYCLE_1) | instskip(NEXT) | instid1(SALU_CYCLE_1)
	s_and_b32 s26, exec_lo, s28
	s_or_b32 s22, s26, s22
	s_and_not1_b32 s23, s23, exec_lo
	s_and_b32 s26, s24, exec_lo
	s_delay_alu instid0(SALU_CYCLE_1)
	s_or_b32 s23, s23, s26
	s_and_not1_b32 exec_lo, exec_lo, s22
	s_cbranch_execz .LBB4_4659
.LBB4_4655:                             ;   Parent Loop BB4_4603 Depth=1
                                        ; =>  This Inner Loop Header: Depth=2
	s_add_co_i32 s25, s25, 1
	s_delay_alu instid0(SALU_CYCLE_1) | instskip(SKIP_1) | instid1(SALU_CYCLE_1)
	s_cmp_lg_u32 s25, 0x2710
	s_cselect_b32 s26, -1, 0
	s_and_b32 vcc_lo, exec_lo, s26
	s_cbranch_vccz .LBB4_4657
; %bb.4656:                             ;   in Loop: Header=BB4_4655 Depth=2
	s_mov_b32 s28, -1
	s_or_b32 s24, s24, exec_lo
	s_and_saveexec_b32 s27, s26
	s_cbranch_execz .LBB4_4654
	s_branch .LBB4_4658
.LBB4_4657:                             ;   in Loop: Header=BB4_4655 Depth=2
	s_trap 2
	ds_load_b64 v[66:67], v0
	s_and_not1_b32 s26, s26, exec_lo
	s_mov_b32 s25, 0
	s_wait_loadcnt_dscnt 0x0
	flat_load_b32 v12, v[66:67] scope:SCOPE_SYS
	s_wait_loadcnt_dscnt 0x0
	global_inv scope:SCOPE_SYS
	v_cmp_eq_u32_e32 vcc_lo, 0, v12
	s_and_b32 s27, vcc_lo, exec_lo
	s_delay_alu instid0(SALU_CYCLE_1)
	s_or_b32 s26, s26, s27
	s_mov_b32 s28, -1
	s_or_b32 s24, s24, exec_lo
	s_and_saveexec_b32 s27, s26
	s_cbranch_execz .LBB4_4654
.LBB4_4658:                             ;   in Loop: Header=BB4_4655 Depth=2
	s_sleep 1
	s_trap 2
	ds_load_b64 v[66:67], v0
	s_wait_dscnt 0x0
	s_and_not1_b32 s24, s24, exec_lo
	v_cmp_ge_u64_e32 vcc_lo, v[66:67], v[48:49]
	s_or_not1_b32 s28, vcc_lo, exec_lo
	s_branch .LBB4_4654
.LBB4_4659:                             ;   in Loop: Header=BB4_4603 Depth=1
	s_or_b32 exec_lo, exec_lo, s22
	s_and_saveexec_b32 s22, s23
	s_delay_alu instid0(SALU_CYCLE_1)
	s_xor_b32 s22, exec_lo, s22
	s_cbranch_execz .LBB4_4661
; %bb.4660:                             ;   in Loop: Header=BB4_4603 Depth=1
	ds_store_b32 v0, v84
	s_trap 2
.LBB4_4661:                             ;   in Loop: Header=BB4_4603 Depth=1
	s_or_b32 exec_lo, exec_lo, s21
	;;#ASMSTART
	s_wakeup
	;;#ASMEND
.LBB4_4662:                             ;   in Loop: Header=BB4_4603 Depth=1
	s_or_b32 exec_lo, exec_lo, s20
.LBB4_4663:                             ;   in Loop: Header=BB4_4603 Depth=1
	s_and_not1_saveexec_b32 s19, s19
	s_cbranch_execz .LBB4_4665
; %bb.4664:                             ;   in Loop: Header=BB4_4603 Depth=1
	global_wb scope:SCOPE_DEV
	s_wait_storecnt 0x0
	s_wait_loadcnt_dscnt 0x0
	global_inv scope:SCOPE_DEV
	s_barrier_signal -1
	s_barrier_wait -1
.LBB4_4665:                             ;   in Loop: Header=BB4_4603 Depth=1
	s_or_b32 exec_lo, exec_lo, s19
.LBB4_4666:                             ;   in Loop: Header=BB4_4603 Depth=1
	s_delay_alu instid0(SALU_CYCLE_1)
	s_or_b32 exec_lo, exec_lo, s10
	s_trap 2
	ds_load_b64 v[66:67], v0
	s_wait_dscnt 0x0
	v_cmp_eq_u64_e32 vcc_lo, 0, v[66:67]
	s_cbranch_vccnz .LBB4_4674
; %bb.4667:                             ;   in Loop: Header=BB4_4603 Depth=1
	s_trap 2
	ds_load_b64 v[68:69], v0
	s_wait_dscnt 0x0
	v_cmp_eq_u64_e32 vcc_lo, 0, v[68:69]
	s_cbranch_vccnz .LBB4_4674
; %bb.4668:                             ;   in Loop: Header=BB4_4603 Depth=1
	s_mov_b32 s10, -1
	s_and_saveexec_b32 s19, s6
	s_cbranch_execz .LBB4_4670
; %bb.4669:                             ;   in Loop: Header=BB4_4603 Depth=1
	ds_load_b32 v12, v0 offset:720
	s_wait_dscnt 0x0
	v_and_b32_e32 v12, 15, v12
	s_delay_alu instid0(VALU_DEP_1)
	v_cmp_eq_u32_e32 vcc_lo, 0, v12
	s_or_not1_b32 s10, vcc_lo, exec_lo
.LBB4_4670:                             ;   in Loop: Header=BB4_4603 Depth=1
	s_or_b32 exec_lo, exec_lo, s19
	s_and_saveexec_b32 s19, s7
	s_cbranch_execz .LBB4_4672
; %bb.4671:                             ;   in Loop: Header=BB4_4603 Depth=1
	ds_load_b32 v12, v0 offset:784
	s_wait_dscnt 0x0
	v_and_b32_e32 v12, 15, v12
	s_delay_alu instid0(VALU_DEP_1) | instskip(SKIP_3) | instid1(SALU_CYCLE_1)
	v_cmp_eq_u32_e32 vcc_lo, 0, v12
	s_and_b32 s20, s10, vcc_lo
	s_and_not1_b32 s10, s10, exec_lo
	s_and_b32 s20, s20, exec_lo
	s_or_b32 s10, s10, s20
.LBB4_4672:                             ;   in Loop: Header=BB4_4603 Depth=1
	s_or_b32 exec_lo, exec_lo, s19
	v_cmp_eq_u32_e32 vcc_lo, 0, v55
	s_xor_b32 s10, s10, -1
	v_mov_b32_e32 v70, v82
	v_cndmask_b32_e64 v65, 0, 1, s10
	s_mov_b32 s20, -1
	v_dual_cndmask_b32 v12, 0, v64 :: v_dual_mov_b32 v55, 0
	v_mov_b32_e32 v80, v0
	s_delay_alu instid0(VALU_DEP_3) | instskip(NEXT) | instid1(VALU_DEP_3)
	v_cmp_ne_u32_e32 vcc_lo, 0, v65
	v_mov_b32_e32 v65, v12
	s_cbranch_vccz .LBB4_4675
; %bb.4673:                             ;   in Loop: Header=BB4_4603 Depth=1
	s_and_saveexec_b32 s10, s20
	s_cbranch_execnz .LBB4_4688
	s_branch .LBB4_4696
.LBB4_4674:                             ;   in Loop: Header=BB4_4603 Depth=1
	s_mov_b32 s10, 0
	s_and_saveexec_b32 s19, s2
	s_cbranch_execnz .LBB4_4697
	s_branch .LBB4_4715
.LBB4_4675:                             ;   in Loop: Header=BB4_4603 Depth=1
	v_lshrrev_b32_e32 v55, 11, v12
	s_mov_b32 s10, exec_lo
	s_delay_alu instid0(VALU_DEP_1) | instskip(NEXT) | instid1(VALU_DEP_1)
	v_sub_nc_u32_e32 v85, v55, v82
	v_cmpx_lt_i32_e32 0, v85
	s_cbranch_execz .LBB4_4679
; %bb.4676:                             ;   in Loop: Header=BB4_4603 Depth=1
	v_mov_b64_e32 v[70:71], v[68:69]
	v_mov_b64_e32 v[80:81], v[66:67]
	s_mov_b32 s19, 0
.LBB4_4677:                             ;   Parent Loop BB4_4603 Depth=1
                                        ; =>  This Inner Loop Header: Depth=2
	s_delay_alu instid0(VALU_DEP_1)
	v_add_nc_u64_e32 v[86:87], v[20:21], v[80:81]
	v_sub_nc_u32_e32 v85, v85, v10
	v_add_nc_u64_e32 v[80:81], v[80:81], v[18:19]
	s_clause 0x3
	global_load_b128 v[96:99], v[86:87], off th:TH_LOAD_NT
	global_load_b128 v[100:103], v[86:87], off offset:512 th:TH_LOAD_NT
	global_load_b128 v[112:115], v[86:87], off offset:1024 th:TH_LOAD_NT
	global_load_b128 v[116:119], v[86:87], off offset:1536 th:TH_LOAD_NT
	s_wait_xcnt 0x0
	v_add_nc_u64_e32 v[86:87], v[20:21], v[70:71]
	v_cmp_gt_i32_e32 vcc_lo, 1, v85
	v_add_nc_u64_e32 v[70:71], v[70:71], v[18:19]
	s_wait_loadcnt 0x3
	global_store_b128 v[86:87], v[96:99], off th:TH_STORE_NT
	s_wait_loadcnt 0x2
	global_store_b128 v[86:87], v[100:103], off offset:512 th:TH_STORE_NT
	s_wait_loadcnt 0x1
	global_store_b128 v[86:87], v[112:115], off offset:1024 th:TH_STORE_NT
	;; [unrolled: 2-line block ×3, first 2 shown]
	s_or_b32 s19, vcc_lo, s19
	s_wait_xcnt 0x0
	s_and_not1_b32 exec_lo, exec_lo, s19
	s_cbranch_execnz .LBB4_4677
; %bb.4678:                             ;   in Loop: Header=BB4_4603 Depth=1
	s_or_b32 exec_lo, exec_lo, s19
.LBB4_4679:                             ;   in Loop: Header=BB4_4603 Depth=1
	s_delay_alu instid0(SALU_CYCLE_1) | instskip(SKIP_4) | instid1(VALU_DEP_2)
	s_or_b32 exec_lo, exec_lo, s10
	v_and_b32_e32 v71, 0x3ffff800, v12
	v_mov_b32_e32 v55, 0
	s_mov_b32 s20, 0
	s_mov_b32 s19, exec_lo
                                        ; implicit-def: $vgpr65
                                        ; implicit-def: $vgpr80
                                        ; implicit-def: $vgpr70
	v_cmpx_ne_u32_e64 v12, v71
	s_cbranch_execz .LBB4_4687
; %bb.4680:                             ;   in Loop: Header=BB4_4603 Depth=1
	v_lshlrev_b32_e32 v55, 5, v85
	v_bfe_u32 v86, v12, 9, 2
	v_and_b32_e32 v85, 0x7ff, v12
	s_mov_b32 s20, exec_lo
	s_delay_alu instid0(VALU_DEP_3) | instskip(NEXT) | instid1(VALU_DEP_1)
	v_sub_nc_u32_e32 v55, v83, v55
	v_ashrrev_i32_e32 v65, 31, v55
	s_delay_alu instid0(VALU_DEP_1) | instskip(NEXT) | instid1(VALU_DEP_1)
	v_lshrrev_b32_e32 v65, 27, v65
	v_add_nc_u32_e32 v65, v55, v65
	s_delay_alu instid0(VALU_DEP_1) | instskip(NEXT) | instid1(VALU_DEP_1)
	v_and_b32_e32 v70, 0xffffffe0, v65
	v_dual_ashrrev_i32 v80, 5, v65 :: v_dual_sub_nc_u32 v81, v55, v70
	v_and_b32_e32 v55, 0x1ff, v12
	s_delay_alu instid0(VALU_DEP_2) | instskip(NEXT) | instid1(VALU_DEP_2)
	v_lshlrev_b32_e32 v65, 4, v81
	v_cmp_lt_u32_e32 vcc_lo, 15, v55
	s_delay_alu instid0(VALU_DEP_2) | instskip(SKIP_1) | instid1(VALU_DEP_1)
	v_lshl_add_u32 v70, v80, 9, v65
	v_add_co_ci_u32_e64 v86, null, 0, v86, vcc_lo
	v_dual_sub_nc_u32 v65, v85, v70 :: v_dual_sub_nc_u32 v85, v86, v80
	s_delay_alu instid0(VALU_DEP_1)
	v_cmpx_lt_i32_e32 15, v65
	s_cbranch_execz .LBB4_4684
; %bb.4681:                             ;   in Loop: Header=BB4_4603 Depth=1
	v_add_nc_u32_e32 v70, v70, v71
	s_mov_b32 s21, 0
	s_delay_alu instid0(VALU_DEP_1)
	v_ashrrev_i32_e32 v71, 31, v70
.LBB4_4682:                             ;   Parent Loop BB4_4603 Depth=1
                                        ; =>  This Inner Loop Header: Depth=2
	s_delay_alu instid0(VALU_DEP_1) | instskip(SKIP_2) | instid1(VALU_DEP_2)
	v_add_nc_u64_e32 v[86:87], v[66:67], v[70:71]
	v_sub_nc_u32_e32 v65, v65, v22
	v_sub_nc_u32_e32 v85, v85, v10
	v_cmp_gt_i32_e64 s10, 16, v65
	global_load_b128 v[96:99], v[86:87], off th:TH_LOAD_NT
	s_wait_xcnt 0x0
	v_add_nc_u64_e32 v[86:87], v[68:69], v[70:71]
	v_add_nc_u64_e32 v[70:71], v[70:71], v[22:23]
	s_or_b32 s21, s10, s21
	s_wait_loadcnt 0x0
	global_store_b128 v[86:87], v[96:99], off th:TH_STORE_NT
	s_wait_xcnt 0x0
	s_and_not1_b32 exec_lo, exec_lo, s21
	s_cbranch_execnz .LBB4_4682
; %bb.4683:                             ;   in Loop: Header=BB4_4603 Depth=1
	s_or_b32 exec_lo, exec_lo, s21
.LBB4_4684:                             ;   in Loop: Header=BB4_4603 Depth=1
	s_delay_alu instid0(SALU_CYCLE_1) | instskip(SKIP_3) | instid1(VALU_DEP_1)
	s_or_b32 exec_lo, exec_lo, s20
	v_and_b32_e32 v65, 15, v12
	s_mov_b32 s20, 0
	s_mov_b32 s21, exec_lo
                                        ; implicit-def: $vgpr80
                                        ; implicit-def: $vgpr70
	v_dual_cndmask_b32 v65, v55, v65, vcc_lo :: v_dual_mov_b32 v55, 0
	s_delay_alu instid0(VALU_DEP_1)
	v_cmpx_ne_u32_e32 0, v65
	s_cbranch_execz .LBB4_4686
; %bb.4685:                             ;   in Loop: Header=BB4_4603 Depth=1
	v_cmp_lt_i32_e64 s10, 0, v85
	v_and_b32_e32 v70, 0x1f0, v12
	s_mov_b32 s20, exec_lo
	v_cndmask_b32_e64 v55, 0, v10, s10
	s_delay_alu instid0(VALU_DEP_1) | instskip(NEXT) | instid1(VALU_DEP_1)
	v_dual_cndmask_b32 v70, 0, v70 :: v_dual_sub_nc_u32 v55, v55, v85
	v_lshl_add_u32 v80, v55, 5, v81
	s_delay_alu instid0(VALU_DEP_1) | instskip(NEXT) | instid1(VALU_DEP_1)
	v_ashrrev_i32_e32 v55, 31, v80
	v_lshrrev_b32_e32 v55, 27, v55
	s_delay_alu instid0(VALU_DEP_1) | instskip(SKIP_1) | instid1(VALU_DEP_2)
	v_add_nc_u32_e32 v71, v80, v55
	v_and_or_b32 v55, 0x3ffffe00, v12, v70
	v_ashrrev_i32_e32 v70, 5, v71
.LBB4_4686:                             ;   in Loop: Header=BB4_4603 Depth=1
	s_or_b32 exec_lo, exec_lo, s21
	s_delay_alu instid0(SALU_CYCLE_1)
	s_and_b32 s20, s20, exec_lo
.LBB4_4687:                             ;   in Loop: Header=BB4_4603 Depth=1
	s_or_b32 exec_lo, exec_lo, s19
	s_and_saveexec_b32 s10, s20
	s_cbranch_execz .LBB4_4696
.LBB4_4688:                             ;   in Loop: Header=BB4_4603 Depth=1
	v_lshrrev_b32_e32 v71, 9, v65
	s_mov_b32 s19, exec_lo
	s_delay_alu instid0(VALU_DEP_1) | instskip(NEXT) | instid1(VALU_DEP_1)
	v_dual_sub_nc_u32 v81, v71, v70 :: v_dual_ashrrev_i32 v71, 31, v80
	v_lshrrev_b32_e32 v85, 27, v71
	s_delay_alu instid0(VALU_DEP_2)
	v_cmpx_lt_i32_e32 0, v81
	s_cbranch_execz .LBB4_4692
; %bb.4689:                             ;   in Loop: Header=BB4_4603 Depth=1
	s_delay_alu instid0(VALU_DEP_2) | instskip(SKIP_1) | instid1(VALU_DEP_1)
	v_dual_add_nc_u32 v71, v80, v85 :: v_dual_lshlrev_b32 v70, 9, v70
	s_mov_b32 s20, 0
	v_and_b32_e32 v71, 0xffffffe0, v71
	s_delay_alu instid0(VALU_DEP_1) | instskip(NEXT) | instid1(VALU_DEP_1)
	v_sub_nc_u32_e32 v71, v80, v71
	v_add3_u32 v70, v55, v71, v70
	s_delay_alu instid0(VALU_DEP_1)
	v_ashrrev_i32_e32 v71, 31, v70
.LBB4_4690:                             ;   Parent Loop BB4_4603 Depth=1
                                        ; =>  This Inner Loop Header: Depth=2
	s_delay_alu instid0(VALU_DEP_1)
	v_add_nc_u64_e32 v[86:87], v[70:71], v[66:67]
	v_sub_nc_u32_e32 v81, v81, v10
	v_add_nc_u64_e32 v[66:67], v[66:67], v[22:23]
	s_clause 0xf
	flat_load_u8 v96, v[86:87] th:TH_LOAD_NT
	flat_load_u8 v97, v[86:87] offset:32 th:TH_LOAD_NT
	flat_load_u8 v98, v[86:87] offset:64 th:TH_LOAD_NT
	;; [unrolled: 1-line block ×15, first 2 shown]
	s_wait_xcnt 0x0
	v_add_nc_u64_e32 v[86:87], v[70:71], v[68:69]
	v_add_nc_u64_e32 v[68:69], v[68:69], v[22:23]
	v_cmp_gt_i32_e32 vcc_lo, 1, v81
	s_wait_loadcnt_dscnt 0xf0f
	flat_store_b8 v[86:87], v96 th:TH_STORE_NT
	s_wait_loadcnt_dscnt 0xe0f
	flat_store_b8 v[86:87], v97 offset:32 th:TH_STORE_NT
	s_wait_loadcnt_dscnt 0xd0f
	flat_store_b8 v[86:87], v98 offset:64 th:TH_STORE_NT
	s_wait_loadcnt_dscnt 0xc0f
	flat_store_b8 v[86:87], v99 offset:96 th:TH_STORE_NT
	s_wait_loadcnt_dscnt 0xb0f
	flat_store_b8 v[86:87], v100 offset:128 th:TH_STORE_NT
	s_wait_loadcnt_dscnt 0xa0f
	flat_store_b8 v[86:87], v101 offset:160 th:TH_STORE_NT
	s_wait_loadcnt_dscnt 0x90f
	flat_store_b8 v[86:87], v102 offset:192 th:TH_STORE_NT
	s_wait_loadcnt_dscnt 0x80f
	flat_store_b8 v[86:87], v103 offset:224 th:TH_STORE_NT
	s_wait_loadcnt_dscnt 0x70f
	flat_store_b8 v[86:87], v112 offset:256 th:TH_STORE_NT
	s_wait_loadcnt_dscnt 0x60f
	flat_store_b8 v[86:87], v113 offset:288 th:TH_STORE_NT
	s_wait_loadcnt_dscnt 0x50f
	flat_store_b8 v[86:87], v114 offset:320 th:TH_STORE_NT
	s_wait_loadcnt_dscnt 0x40f
	flat_store_b8 v[86:87], v115 offset:352 th:TH_STORE_NT
	s_wait_loadcnt_dscnt 0x30f
	flat_store_b8 v[86:87], v116 offset:384 th:TH_STORE_NT
	s_wait_loadcnt_dscnt 0x20f
	flat_store_b8 v[86:87], v117 offset:416 th:TH_STORE_NT
	s_wait_loadcnt_dscnt 0x10f
	flat_store_b8 v[86:87], v118 offset:448 th:TH_STORE_NT
	s_wait_loadcnt_dscnt 0xf
	flat_store_b8 v[86:87], v119 offset:480 th:TH_STORE_NT
	s_or_b32 s20, vcc_lo, s20
	s_wait_xcnt 0x0
	s_and_not1_b32 exec_lo, exec_lo, s20
	s_cbranch_execnz .LBB4_4690
; %bb.4691:                             ;   in Loop: Header=BB4_4603 Depth=1
	s_or_b32 exec_lo, exec_lo, s20
.LBB4_4692:                             ;   in Loop: Header=BB4_4603 Depth=1
	s_delay_alu instid0(SALU_CYCLE_1) | instskip(SKIP_1) | instid1(VALU_DEP_1)
	s_or_b32 exec_lo, exec_lo, s19
	v_and_b32_e32 v68, 0xfffffe00, v65
	v_cmp_ne_u32_e32 vcc_lo, v65, v68
	s_and_b32 exec_lo, exec_lo, vcc_lo
	s_cbranch_execz .LBB4_4696
; %bb.4693:                             ;   in Loop: Header=BB4_4603 Depth=1
	v_add_nc_u32_e32 v66, v80, v85
	v_and_b32_e32 v65, 0x1ff, v65
	s_delay_alu instid0(VALU_DEP_2) | instskip(NEXT) | instid1(VALU_DEP_1)
	v_and_b32_e32 v66, 0xffffffe0, v66
	v_dual_lshlrev_b32 v67, 5, v81 :: v_dual_sub_nc_u32 v66, v80, v66
	s_delay_alu instid0(VALU_DEP_1) | instskip(NEXT) | instid1(VALU_DEP_1)
	v_sub_nc_u32_e32 v69, v66, v67
	v_sub_nc_u32_e32 v65, v65, v69
	s_delay_alu instid0(VALU_DEP_1)
	v_cmp_lt_i32_e32 vcc_lo, 0, v65
	s_and_b32 exec_lo, exec_lo, vcc_lo
	s_cbranch_execz .LBB4_4696
; %bb.4694:                             ;   in Loop: Header=BB4_4603 Depth=1
	s_trap 2
	ds_load_b64 v[66:67], v0
	v_add3_u32 v68, v68, v55, v69
	s_mov_b32 s19, 0
	s_delay_alu instid0(VALU_DEP_1)
	v_ashrrev_i32_e32 v69, 31, v68
.LBB4_4695:                             ;   Parent Loop BB4_4603 Depth=1
                                        ; =>  This Inner Loop Header: Depth=2
	s_wait_dscnt 0x0
	s_delay_alu instid0(VALU_DEP_1) | instskip(SKIP_2) | instid1(VALU_DEP_2)
	v_add_nc_u64_e32 v[70:71], v[66:67], v[68:69]
	v_sub_nc_u32_e32 v65, v65, v14
	v_add_nc_u64_e32 v[68:69], v[68:69], v[14:15]
	v_cmp_gt_i32_e32 vcc_lo, 1, v65
	flat_load_u8 v55, v[70:71] th:TH_LOAD_NT
	s_or_b32 s19, vcc_lo, s19
	s_wait_loadcnt_dscnt 0x0
	flat_store_b8 v[70:71], v55 th:TH_STORE_NT
	s_wait_xcnt 0x0
	s_and_not1_b32 exec_lo, exec_lo, s19
	s_cbranch_execnz .LBB4_4695
.LBB4_4696:                             ;   in Loop: Header=BB4_4603 Depth=1
	s_or_b32 exec_lo, exec_lo, s10
	v_cmp_ne_u32_e64 s10, 0, v12
	s_and_saveexec_b32 s19, s2
	s_cbranch_execz .LBB4_4715
.LBB4_4697:                             ;   in Loop: Header=BB4_4603 Depth=1
	s_and_saveexec_b32 s20, s3
	s_delay_alu instid0(SALU_CYCLE_1)
	s_xor_b32 s20, exec_lo, s20
	s_cbranch_execz .LBB4_4712
; %bb.4698:                             ;   in Loop: Header=BB4_4603 Depth=1
	s_and_saveexec_b32 s21, s5
	s_cbranch_execz .LBB4_4711
; %bb.4699:                             ;   in Loop: Header=BB4_4603 Depth=1
	s_mov_b32 s23, exec_lo
	s_mov_b32 s22, exec_lo
	v_mbcnt_lo_u32_b32 v12, s23, 0
	global_wb scope:SCOPE_DEV
	s_wait_storecnt 0x0
	s_wait_loadcnt_dscnt 0x0
	global_inv scope:SCOPE_DEV
	v_cmpx_eq_u32_e32 0, v12
	s_cbranch_execz .LBB4_4701
; %bb.4700:                             ;   in Loop: Header=BB4_4603 Depth=1
	s_bcnt1_i32_b32 s23, s23
	s_delay_alu instid0(SALU_CYCLE_1)
	v_mov_b32_e32 v12, s23
	s_wait_loadcnt 0x0
	ds_add_u64 v0, v[12:13]
	s_trap 2
.LBB4_4701:                             ;   in Loop: Header=BB4_4603 Depth=1
	s_or_b32 exec_lo, exec_lo, s22
	s_trap 2
	ds_load_b64 v[66:67], v0
	s_wait_dscnt 0x0
	v_add_nc_u64_e32 v[48:49], v[48:49], v[10:11]
	s_mov_b32 s22, exec_lo
	s_delay_alu instid0(VALU_DEP_1)
	v_cmpx_lt_u64_e64 v[66:67], v[48:49]
	s_cbranch_execz .LBB4_4710
; %bb.4702:                             ;   in Loop: Header=BB4_4603 Depth=1
	s_mov_b32 s23, 0
	s_mov_b32 s26, 0
                                        ; implicit-def: $sgpr24
                                        ; implicit-def: $sgpr25
	s_branch .LBB4_4704
.LBB4_4703:                             ;   in Loop: Header=BB4_4704 Depth=2
	s_or_b32 exec_lo, exec_lo, s28
	s_delay_alu instid0(SALU_CYCLE_1) | instskip(NEXT) | instid1(SALU_CYCLE_1)
	s_and_b32 s27, exec_lo, s29
	s_or_b32 s23, s27, s23
	s_and_not1_b32 s24, s24, exec_lo
	s_and_b32 s27, s25, exec_lo
	s_delay_alu instid0(SALU_CYCLE_1)
	s_or_b32 s24, s24, s27
	s_and_not1_b32 exec_lo, exec_lo, s23
	s_cbranch_execz .LBB4_4708
.LBB4_4704:                             ;   Parent Loop BB4_4603 Depth=1
                                        ; =>  This Inner Loop Header: Depth=2
	s_add_co_i32 s26, s26, 1
	s_delay_alu instid0(SALU_CYCLE_1) | instskip(SKIP_1) | instid1(SALU_CYCLE_1)
	s_cmp_lg_u32 s26, 0x2710
	s_cselect_b32 s27, -1, 0
	s_and_b32 vcc_lo, exec_lo, s27
	s_cbranch_vccz .LBB4_4706
; %bb.4705:                             ;   in Loop: Header=BB4_4704 Depth=2
	s_mov_b32 s29, -1
	s_or_b32 s25, s25, exec_lo
	s_and_saveexec_b32 s28, s27
	s_cbranch_execz .LBB4_4703
	s_branch .LBB4_4707
.LBB4_4706:                             ;   in Loop: Header=BB4_4704 Depth=2
	s_trap 2
	ds_load_b64 v[66:67], v0
	s_and_not1_b32 s27, s27, exec_lo
	s_mov_b32 s26, 0
	s_wait_loadcnt_dscnt 0x0
	flat_load_b32 v12, v[66:67] scope:SCOPE_SYS
	s_wait_loadcnt_dscnt 0x0
	global_inv scope:SCOPE_SYS
	v_cmp_eq_u32_e32 vcc_lo, 0, v12
	s_and_b32 s28, vcc_lo, exec_lo
	s_delay_alu instid0(SALU_CYCLE_1)
	s_or_b32 s27, s27, s28
	s_mov_b32 s29, -1
	s_or_b32 s25, s25, exec_lo
	s_and_saveexec_b32 s28, s27
	s_cbranch_execz .LBB4_4703
.LBB4_4707:                             ;   in Loop: Header=BB4_4704 Depth=2
	s_sleep 1
	s_trap 2
	ds_load_b64 v[66:67], v0
	s_wait_dscnt 0x0
	s_and_not1_b32 s25, s25, exec_lo
	v_cmp_ge_u64_e32 vcc_lo, v[66:67], v[48:49]
	s_or_not1_b32 s29, vcc_lo, exec_lo
	s_branch .LBB4_4703
.LBB4_4708:                             ;   in Loop: Header=BB4_4603 Depth=1
	s_or_b32 exec_lo, exec_lo, s23
	s_and_saveexec_b32 s23, s24
	s_delay_alu instid0(SALU_CYCLE_1)
	s_xor_b32 s23, exec_lo, s23
	s_cbranch_execz .LBB4_4710
; %bb.4709:                             ;   in Loop: Header=BB4_4603 Depth=1
	ds_store_b32 v0, v84
	s_trap 2
.LBB4_4710:                             ;   in Loop: Header=BB4_4603 Depth=1
	s_or_b32 exec_lo, exec_lo, s22
	;;#ASMSTART
	s_wakeup
	;;#ASMEND
.LBB4_4711:                             ;   in Loop: Header=BB4_4603 Depth=1
	s_or_b32 exec_lo, exec_lo, s21
.LBB4_4712:                             ;   in Loop: Header=BB4_4603 Depth=1
	s_and_not1_saveexec_b32 s20, s20
	s_cbranch_execz .LBB4_4714
; %bb.4713:                             ;   in Loop: Header=BB4_4603 Depth=1
	global_wb scope:SCOPE_DEV
	s_wait_storecnt 0x0
	s_wait_loadcnt_dscnt 0x0
	global_inv scope:SCOPE_DEV
	s_barrier_signal -1
	s_barrier_wait -1
.LBB4_4714:                             ;   in Loop: Header=BB4_4603 Depth=1
	s_or_b32 exec_lo, exec_lo, s20
.LBB4_4715:                             ;   in Loop: Header=BB4_4603 Depth=1
	s_delay_alu instid0(SALU_CYCLE_1) | instskip(SKIP_1) | instid1(VALU_DEP_1)
	s_or_b32 exec_lo, exec_lo, s19
	v_and_b32_e32 v12, 16, v30
	v_cmp_ne_u32_e32 vcc_lo, 0, v12
	s_and_b32 s19, vcc_lo, s10
	s_delay_alu instid0(SALU_CYCLE_1)
	s_and_saveexec_b32 s10, s19
	s_cbranch_execz .LBB4_4717
; %bb.4716:                             ;   in Loop: Header=BB4_4603 Depth=1
	global_wb scope:SCOPE_SYS
	s_wait_storecnt 0x0
	s_wait_loadcnt_dscnt 0x0
	global_inv scope:SCOPE_SYS
.LBB4_4717:                             ;   in Loop: Header=BB4_4603 Depth=1
	s_or_b32 exec_lo, exec_lo, s10
	s_delay_alu instid0(SALU_CYCLE_1)
	s_mov_b32 s10, exec_lo
	v_cmpx_ne_u32_e32 0, v12
	s_cbranch_execz .LBB4_4721
; %bb.4718:                             ;   in Loop: Header=BB4_4603 Depth=1
	s_and_saveexec_b32 s19, s4
	s_cbranch_execz .LBB4_4720
; %bb.4719:                             ;   in Loop: Header=BB4_4603 Depth=1
	global_wb scope:SCOPE_SYS
	s_wait_storecnt 0x0
	s_wait_loadcnt_dscnt 0x0
	flat_store_b32 v[52:53], v84 scope:SCOPE_SYS
.LBB4_4720:                             ;   in Loop: Header=BB4_4603 Depth=1
	s_wait_xcnt 0x0
	s_or_b32 exec_lo, exec_lo, s19
	v_add_nc_u64_e32 v[8:9], 1, v[8:9]
	global_wb scope:SCOPE_SYS
	s_wait_storecnt 0x0
	s_wait_loadcnt_dscnt 0x0
	flat_store_b64 v[32:33], v[8:9] scope:SCOPE_SYS
.LBB4_4721:                             ;   in Loop: Header=BB4_4603 Depth=1
	s_wait_xcnt 0x0
	s_or_b32 exec_lo, exec_lo, s10
	v_mov_b32_e32 v12, v64
.LBB4_4722:                             ;   in Loop: Header=BB4_4603 Depth=1
	s_or_b32 exec_lo, exec_lo, s17
	s_and_saveexec_b32 s17, s16
	s_cbranch_execz .LBB4_4602
; %bb.4723:                             ;   in Loop: Header=BB4_4603 Depth=1
	s_delay_alu instid0(VALU_DEP_1) | instskip(SKIP_1) | instid1(VALU_DEP_1)
	v_dual_sub_nc_u32 v12, v54, v12 :: v_dual_bitop2_b32 v55, 8, v30 bitop3:0x40
	s_mov_b32 s16, exec_lo
	v_min_i32_e32 v54, v64, v12
	s_delay_alu instid0(VALU_DEP_2)
	v_cmpx_ne_u32_e32 0, v55
	s_cbranch_execz .LBB4_4745
; %bb.4724:                             ;   in Loop: Header=BB4_4603 Depth=1
	s_wait_loadcnt 0x0
	v_add_nc_u64_e32 v[66:67], 8, v[38:39]
	v_add_nc_u64_e32 v[64:65], 1, v[8:9]
	s_mov_b32 s19, exec_lo
	s_delay_alu instid0(VALU_DEP_1)
	v_cmpx_lt_u64_e64 v[66:67], v[64:65]
	s_cbranch_execz .LBB4_4736
; %bb.4725:                             ;   in Loop: Header=BB4_4603 Depth=1
	v_and_b32_e32 v9, 64, v30
	s_mov_b32 s20, 0
	s_mov_b32 s24, 0
                                        ; implicit-def: $sgpr21
                                        ; implicit-def: $sgpr22
                                        ; implicit-def: $sgpr23
	s_delay_alu instid0(VALU_DEP_1)
	v_cmp_eq_u32_e32 vcc_lo, 0, v9
	s_branch .LBB4_4729
.LBB4_4726:                             ;   in Loop: Header=BB4_4729 Depth=2
	s_wait_loadcnt_dscnt 0x0
	v_add_nc_u64_e32 v[66:67], 8, v[38:39]
	s_or_b32 s27, s27, exec_lo
	s_delay_alu instid0(VALU_DEP_1)
	v_cmp_ge_u64_e64 s10, v[66:67], v[64:65]
	s_or_not1_b32 s26, s10, exec_lo
.LBB4_4727:                             ;   in Loop: Header=BB4_4729 Depth=2
	s_or_b32 exec_lo, exec_lo, s29
	s_delay_alu instid0(SALU_CYCLE_1)
	s_and_not1_b32 s10, s23, exec_lo
	s_and_b32 s23, s27, exec_lo
	s_and_not1_b32 s22, s22, exec_lo
	s_and_b32 s26, s26, exec_lo
	s_or_b32 s23, s10, s23
	s_or_b32 s22, s22, s26
.LBB4_4728:                             ;   in Loop: Header=BB4_4729 Depth=2
	s_or_b32 exec_lo, exec_lo, s25
	s_delay_alu instid0(SALU_CYCLE_1) | instskip(NEXT) | instid1(SALU_CYCLE_1)
	s_and_b32 s10, exec_lo, s22
	s_or_b32 s20, s10, s20
	s_and_not1_b32 s10, s21, exec_lo
	s_and_b32 s21, s23, exec_lo
	s_delay_alu instid0(SALU_CYCLE_1)
	s_or_b32 s21, s10, s21
	s_and_not1_b32 exec_lo, exec_lo, s20
	s_cbranch_execz .LBB4_4733
.LBB4_4729:                             ;   Parent Loop BB4_4603 Depth=1
                                        ; =>  This Inner Loop Header: Depth=2
	s_sleep 1
	s_wait_loadcnt_dscnt 0x0
	flat_load_b64 v[38:39], v[32:33] scope:SCOPE_SYS
	s_or_b32 s23, s23, exec_lo
	s_or_b32 s22, s22, exec_lo
                                        ; implicit-def: $vgpr9
	s_wait_xcnt 0x0
	s_and_saveexec_b32 s25, vcc_lo
	s_cbranch_execz .LBB4_4728
; %bb.4730:                             ;   in Loop: Header=BB4_4729 Depth=2
	s_cmp_lt_i32 s24, 0x270f
	s_mov_b32 s26, -1
	s_cselect_b32 s28, -1, 0
	s_cmp_gt_i32 s24, 0x270e
	s_cbranch_scc0 .LBB4_4732
; %bb.4731:                             ;   in Loop: Header=BB4_4729 Depth=2
	s_trap 2
	ds_load_b64 v[66:67], v0
	s_and_not1_b32 s24, s28, exec_lo
	s_mov_b32 s27, 0
	s_wait_storecnt 0x0
	s_wait_loadcnt_dscnt 0x0
	flat_load_b32 v9, v[66:67] scope:SCOPE_SYS
	s_wait_loadcnt_dscnt 0x0
	global_inv scope:SCOPE_SYS
	v_cmp_eq_u32_e64 s10, 0, v9
	s_and_b32 s10, s10, exec_lo
	s_delay_alu instid0(SALU_CYCLE_1)
	s_or_b32 s28, s24, s10
	s_mov_b32 s24, 0
	s_and_saveexec_b32 s29, s28
	s_cbranch_execz .LBB4_4727
	s_branch .LBB4_4726
.LBB4_4732:                             ;   in Loop: Header=BB4_4729 Depth=2
	s_add_co_i32 s24, s24, 1
	s_mov_b32 s27, -1
                                        ; implicit-def: $vgpr9
	s_and_saveexec_b32 s29, s28
	s_cbranch_execz .LBB4_4727
	s_branch .LBB4_4726
.LBB4_4733:                             ;   in Loop: Header=BB4_4603 Depth=1
	s_or_b32 exec_lo, exec_lo, s20
	s_xor_b32 s10, s21, -1
	s_delay_alu instid0(SALU_CYCLE_1) | instskip(NEXT) | instid1(SALU_CYCLE_1)
	s_and_saveexec_b32 s20, s10
	s_xor_b32 s10, exec_lo, s20
	s_cbranch_execz .LBB4_4735
; %bb.4734:                             ;   in Loop: Header=BB4_4603 Depth=1
	v_or_b32_e32 v30, 64, v30
	s_wait_storecnt 0x0
	s_wait_loadcnt_dscnt 0x0
	ds_store_b32 v0, v9
	s_trap 2
.LBB4_4735:                             ;   in Loop: Header=BB4_4603 Depth=1
	s_or_b32 exec_lo, exec_lo, s10
.LBB4_4736:                             ;   in Loop: Header=BB4_4603 Depth=1
	s_delay_alu instid0(SALU_CYCLE_1) | instskip(SKIP_4) | instid1(VALU_DEP_2)
	s_or_b32 exec_lo, exec_lo, s19
	v_and_b32_e32 v9, 0x100, v30
	v_and_b32_e32 v12, 7, v8
	s_mov_b32 s10, -1
	;;#ASMSTART
	s_wakeup
	;;#ASMEND
	v_cmp_ne_u32_e32 vcc_lo, 0, v9
                                        ; implicit-def: $vgpr8_vgpr9
	s_and_saveexec_b32 s19, vcc_lo
	s_cbranch_execz .LBB4_4740
; %bb.4737:                             ;   in Loop: Header=BB4_4603 Depth=1
	v_mad_nc_u64_u32 v[66:67], v12, 24, v[6:7]
	v_ashrrev_i32_e32 v55, 31, v54
	s_clause 0x1
	flat_load_b32 v8, v[66:67]
	flat_store_b64 v[66:67], v[54:55] offset:8
	s_wait_loadcnt_dscnt 0x1
	v_cmp_eq_u32_e64 s10, 1, v8
	v_cmp_ne_u32_e32 vcc_lo, 1, v8
                                        ; implicit-def: $vgpr8_vgpr9
	s_wait_xcnt 0x0
	s_and_saveexec_b32 s20, s10
	s_cbranch_execz .LBB4_4739
; %bb.4738:                             ;   in Loop: Header=BB4_4603 Depth=1
	flat_load_b32 v8, v[66:67] offset:4 scope:SCOPE_SYS
	s_wait_loadcnt_dscnt 0x0
	v_ashrrev_i32_e32 v9, 31, v8
.LBB4_4739:                             ;   in Loop: Header=BB4_4603 Depth=1
	s_wait_xcnt 0x0
	s_or_b32 exec_lo, exec_lo, s20
	s_delay_alu instid0(SALU_CYCLE_1)
	s_or_not1_b32 s10, vcc_lo, exec_lo
.LBB4_4740:                             ;   in Loop: Header=BB4_4603 Depth=1
	s_or_b32 exec_lo, exec_lo, s19
	s_and_saveexec_b32 s19, s10
; %bb.4741:                             ;   in Loop: Header=BB4_4603 Depth=1
	v_mul_u64_e32 v[8:9], v[12:13], v[34:35]
; %bb.4742:                             ;   in Loop: Header=BB4_4603 Depth=1
	s_or_b32 exec_lo, exec_lo, s19
	s_delay_alu instid0(VALU_DEP_1)
	v_add_nc_u64_e32 v[8:9], v[36:37], v[8:9]
	v_and_b32_e32 v12, 0x2000, v30
	s_mov_b32 s10, exec_lo
	ds_store_b64 v0, v[8:9] offset:784
	v_cmpx_ne_u32_e32 0, v12
	s_cbranch_execz .LBB4_4744
; %bb.4743:                             ;   in Loop: Header=BB4_4603 Depth=1
	ds_load_b64 v[8:9], v0 offset:872
	s_wait_dscnt 0x0
	v_add_nc_u64_e32 v[8:9], 1, v[8:9]
	ds_store_b64 v0, v[8:9] offset:872
.LBB4_4744:                             ;   in Loop: Header=BB4_4603 Depth=1
	s_or_b32 exec_lo, exec_lo, s10
	v_mov_b64_e32 v[8:9], v[64:65]
.LBB4_4745:                             ;   in Loop: Header=BB4_4603 Depth=1
	s_or_b32 exec_lo, exec_lo, s16
	s_and_saveexec_b32 s10, s2
	s_cbranch_execz .LBB4_4764
; %bb.4746:                             ;   in Loop: Header=BB4_4603 Depth=1
	s_and_saveexec_b32 s16, s3
	s_delay_alu instid0(SALU_CYCLE_1)
	s_xor_b32 s16, exec_lo, s16
	s_cbranch_execz .LBB4_4761
; %bb.4747:                             ;   in Loop: Header=BB4_4603 Depth=1
	s_and_saveexec_b32 s19, s5
	s_cbranch_execz .LBB4_4760
; %bb.4748:                             ;   in Loop: Header=BB4_4603 Depth=1
	s_mov_b32 s21, exec_lo
	s_mov_b32 s20, exec_lo
	v_mbcnt_lo_u32_b32 v12, s21, 0
	global_wb scope:SCOPE_DEV
	s_wait_storecnt 0x0
	s_wait_loadcnt_dscnt 0x0
	global_inv scope:SCOPE_DEV
	v_cmpx_eq_u32_e32 0, v12
	s_cbranch_execz .LBB4_4750
; %bb.4749:                             ;   in Loop: Header=BB4_4603 Depth=1
	s_bcnt1_i32_b32 s21, s21
	s_delay_alu instid0(SALU_CYCLE_1)
	v_mov_b32_e32 v12, s21
	s_wait_loadcnt 0x0
	ds_add_u64 v0, v[12:13]
	s_trap 2
.LBB4_4750:                             ;   in Loop: Header=BB4_4603 Depth=1
	s_or_b32 exec_lo, exec_lo, s20
	s_trap 2
	ds_load_b64 v[64:65], v0
	s_wait_dscnt 0x0
	v_add_nc_u64_e32 v[48:49], v[48:49], v[10:11]
	s_mov_b32 s20, exec_lo
	s_delay_alu instid0(VALU_DEP_1)
	v_cmpx_lt_u64_e64 v[64:65], v[48:49]
	s_cbranch_execz .LBB4_4759
; %bb.4751:                             ;   in Loop: Header=BB4_4603 Depth=1
	s_mov_b32 s21, 0
	s_mov_b32 s24, 0
                                        ; implicit-def: $sgpr22
                                        ; implicit-def: $sgpr23
	s_branch .LBB4_4753
.LBB4_4752:                             ;   in Loop: Header=BB4_4753 Depth=2
	s_or_b32 exec_lo, exec_lo, s26
	s_delay_alu instid0(SALU_CYCLE_1) | instskip(NEXT) | instid1(SALU_CYCLE_1)
	s_and_b32 s25, exec_lo, s27
	s_or_b32 s21, s25, s21
	s_and_not1_b32 s22, s22, exec_lo
	s_and_b32 s25, s23, exec_lo
	s_delay_alu instid0(SALU_CYCLE_1)
	s_or_b32 s22, s22, s25
	s_and_not1_b32 exec_lo, exec_lo, s21
	s_cbranch_execz .LBB4_4757
.LBB4_4753:                             ;   Parent Loop BB4_4603 Depth=1
                                        ; =>  This Inner Loop Header: Depth=2
	s_add_co_i32 s24, s24, 1
	s_delay_alu instid0(SALU_CYCLE_1) | instskip(SKIP_1) | instid1(SALU_CYCLE_1)
	s_cmp_lg_u32 s24, 0x2710
	s_cselect_b32 s25, -1, 0
	s_and_b32 vcc_lo, exec_lo, s25
	s_cbranch_vccz .LBB4_4755
; %bb.4754:                             ;   in Loop: Header=BB4_4753 Depth=2
	s_mov_b32 s27, -1
	s_or_b32 s23, s23, exec_lo
	s_and_saveexec_b32 s26, s25
	s_cbranch_execz .LBB4_4752
	s_branch .LBB4_4756
.LBB4_4755:                             ;   in Loop: Header=BB4_4753 Depth=2
	s_trap 2
	ds_load_b64 v[64:65], v0
	s_and_not1_b32 s25, s25, exec_lo
	s_mov_b32 s24, 0
	s_wait_loadcnt_dscnt 0x0
	flat_load_b32 v12, v[64:65] scope:SCOPE_SYS
	s_wait_loadcnt_dscnt 0x0
	global_inv scope:SCOPE_SYS
	v_cmp_eq_u32_e32 vcc_lo, 0, v12
	s_and_b32 s26, vcc_lo, exec_lo
	s_delay_alu instid0(SALU_CYCLE_1)
	s_or_b32 s25, s25, s26
	s_mov_b32 s27, -1
	s_or_b32 s23, s23, exec_lo
	s_and_saveexec_b32 s26, s25
	s_cbranch_execz .LBB4_4752
.LBB4_4756:                             ;   in Loop: Header=BB4_4753 Depth=2
	s_sleep 1
	s_trap 2
	ds_load_b64 v[64:65], v0
	s_wait_dscnt 0x0
	s_and_not1_b32 s23, s23, exec_lo
	v_cmp_ge_u64_e32 vcc_lo, v[64:65], v[48:49]
	s_or_not1_b32 s27, vcc_lo, exec_lo
	s_branch .LBB4_4752
.LBB4_4757:                             ;   in Loop: Header=BB4_4603 Depth=1
	s_or_b32 exec_lo, exec_lo, s21
	s_and_saveexec_b32 s21, s22
	s_delay_alu instid0(SALU_CYCLE_1)
	s_xor_b32 s21, exec_lo, s21
	s_cbranch_execz .LBB4_4759
; %bb.4758:                             ;   in Loop: Header=BB4_4603 Depth=1
	ds_store_b32 v0, v84
	s_trap 2
.LBB4_4759:                             ;   in Loop: Header=BB4_4603 Depth=1
	s_or_b32 exec_lo, exec_lo, s20
	;;#ASMSTART
	s_wakeup
	;;#ASMEND
.LBB4_4760:                             ;   in Loop: Header=BB4_4603 Depth=1
	s_or_b32 exec_lo, exec_lo, s19
.LBB4_4761:                             ;   in Loop: Header=BB4_4603 Depth=1
	s_and_not1_saveexec_b32 s16, s16
	s_cbranch_execz .LBB4_4763
; %bb.4762:                             ;   in Loop: Header=BB4_4603 Depth=1
	global_wb scope:SCOPE_DEV
	s_wait_storecnt 0x0
	s_wait_loadcnt_dscnt 0x0
	global_inv scope:SCOPE_DEV
	s_barrier_signal -1
	s_barrier_wait -1
.LBB4_4763:                             ;   in Loop: Header=BB4_4603 Depth=1
	s_or_b32 exec_lo, exec_lo, s16
.LBB4_4764:                             ;   in Loop: Header=BB4_4603 Depth=1
	s_delay_alu instid0(SALU_CYCLE_1)
	s_or_b32 exec_lo, exec_lo, s10
	s_trap 2
	ds_load_b32 v12, v0
	v_cmp_lt_i32_e32 vcc_lo, 0, v54
	s_wait_dscnt 0x0
	v_readfirstlane_b32 s10, v12
	v_and_b32_e32 v12, 16, v30
	s_cmp_eq_u32 s10, 0
	s_delay_alu instid0(VALU_DEP_1) | instskip(SKIP_1) | instid1(SALU_CYCLE_1)
	v_cmp_ne_u32_e64 s10, 0, v12
	s_cselect_b32 s16, -1, 0
	s_and_b32 s16, vcc_lo, s16
	s_delay_alu instid0(SALU_CYCLE_1) | instskip(NEXT) | instid1(SALU_CYCLE_1)
	s_and_b32 s16, s10, s16
	s_and_saveexec_b32 s10, s16
	s_cbranch_execz .LBB4_4766
; %bb.4765:                             ;   in Loop: Header=BB4_4603 Depth=1
	global_wb scope:SCOPE_SYS
	s_wait_loadcnt 0x0
	s_wait_storecnt 0x0
	global_inv scope:SCOPE_SYS
.LBB4_4766:                             ;   in Loop: Header=BB4_4603 Depth=1
	s_or_b32 exec_lo, exec_lo, s10
	s_delay_alu instid0(SALU_CYCLE_1)
	s_mov_b32 s10, exec_lo
	v_cmpx_ne_u32_e32 0, v12
	s_cbranch_execz .LBB4_4601
; %bb.4767:                             ;   in Loop: Header=BB4_4603 Depth=1
	s_and_saveexec_b32 s16, s4
	s_cbranch_execz .LBB4_4600
; %bb.4768:                             ;   in Loop: Header=BB4_4603 Depth=1
	global_wb scope:SCOPE_SYS
	s_wait_loadcnt 0x0
	s_wait_storecnt 0x0
	flat_store_b32 v[52:53], v84 scope:SCOPE_SYS
	s_branch .LBB4_4600
.LBB4_4769:
	s_or_b32 exec_lo, exec_lo, s13
.LBB4_4770:
	s_delay_alu instid0(SALU_CYCLE_1)
	s_or_b32 exec_lo, exec_lo, s12
.LBB4_4771:
	s_delay_alu instid0(SALU_CYCLE_1) | instskip(SKIP_2) | instid1(VALU_DEP_1)
	s_or_b32 exec_lo, exec_lo, s11
	v_and_b32_e32 v0, 0x800, v30
	s_mov_b32 s1, exec_lo
	v_cmpx_eq_u32_e32 0, v0
	s_cbranch_execz .LBB4_4804
; %bb.4772:
	v_and_b32_e32 v0, 48, v30
	s_mov_b32 s0, exec_lo
	s_delay_alu instid0(VALU_DEP_1)
	v_cmpx_ne_u32_e32 0, v0
	s_cbranch_execz .LBB4_4774
; %bb.4773:
	s_wait_dscnt 0x0
	flat_store_b64 v[28:29], v[8:9] offset:104
.LBB4_4774:
	s_wait_xcnt 0x0
	s_or_b32 exec_lo, exec_lo, s0
	v_and_b32_e32 v0, 0x88, v30
	s_mov_b32 s2, exec_lo
	s_delay_alu instid0(VALU_DEP_1)
	v_cmpx_eq_u32_e32 0x88, v0
	s_cbranch_execz .LBB4_4784
; %bb.4775:
	s_wait_dscnt 0x0
	v_add_nc_u32_e32 v0, -1, v8
	s_mov_b32 s3, 0
	s_delay_alu instid0(VALU_DEP_1) | instskip(NEXT) | instid1(VALU_DEP_1)
	v_and_b32_e32 v0, 7, v0
	v_mad_nc_u64_u32 v[4:5], v0, 24, v[6:7]
	v_and_b32_e32 v0, 64, v30
	s_delay_alu instid0(VALU_DEP_1)
	v_cmp_eq_u32_e64 s0, 0, v0
	flat_load_b64 v[6:7], v[4:5] offset:8 scope:SCOPE_SYS
	s_wait_loadcnt_dscnt 0x0
	v_cmp_ne_u64_e32 vcc_lo, -1, v[6:7]
	s_and_b32 s0, vcc_lo, s0
	s_wait_xcnt 0x0
	s_and_b32 exec_lo, exec_lo, s0
	s_cbranch_execz .LBB4_4784
; %bb.4776:
	s_mov_b32 s5, 0
                                        ; implicit-def: $sgpr0
                                        ; implicit-def: $sgpr4
	s_branch .LBB4_4779
.LBB4_4777:                             ;   in Loop: Header=BB4_4779 Depth=1
	flat_load_b64 v[6:7], v[4:5] offset:8 scope:SCOPE_SYS
	s_wait_loadcnt 0x0
	s_and_not1_b32 s4, s4, exec_lo
	s_wait_dscnt 0x0
	v_cmp_eq_u64_e32 vcc_lo, -1, v[6:7]
	s_or_not1_b32 s7, vcc_lo, exec_lo
.LBB4_4778:                             ;   in Loop: Header=BB4_4779 Depth=1
	s_wait_xcnt 0x0
	s_or_b32 exec_lo, exec_lo, s10
	s_delay_alu instid0(SALU_CYCLE_1) | instskip(NEXT) | instid1(SALU_CYCLE_1)
	s_and_b32 s6, exec_lo, s7
	s_or_b32 s3, s6, s3
	s_and_not1_b32 s0, s0, exec_lo
	s_and_b32 s6, s4, exec_lo
	s_delay_alu instid0(SALU_CYCLE_1)
	s_or_b32 s0, s0, s6
	s_and_not1_b32 exec_lo, exec_lo, s3
	s_cbranch_execz .LBB4_4782
.LBB4_4779:                             ; =>This Inner Loop Header: Depth=1
	s_cmp_lt_i32 s5, 0x270f
	s_cselect_b32 s6, -1, 0
	s_delay_alu instid0(SALU_CYCLE_1)
	s_and_b32 vcc_lo, exec_lo, s6
	s_cbranch_vccnz .LBB4_4781
; %bb.4780:                             ;   in Loop: Header=BB4_4779 Depth=1
	s_trap 2
	ds_load_b64 v[6:7], v0
	s_and_not1_b32 s6, s6, exec_lo
	s_mov_b32 s5, 0
	s_wait_storecnt_dscnt 0x0
	flat_load_b32 v0, v[6:7] scope:SCOPE_SYS
	s_wait_loadcnt_dscnt 0x0
	global_inv scope:SCOPE_SYS
	v_cmp_eq_u32_e32 vcc_lo, 0, v0
	s_and_b32 s7, vcc_lo, exec_lo
	s_delay_alu instid0(SALU_CYCLE_1)
	s_or_b32 s6, s6, s7
	s_mov_b32 s7, -1
	s_or_b32 s4, s4, exec_lo
	s_wait_xcnt 0x0
	s_and_saveexec_b32 s10, s6
	s_cbranch_execz .LBB4_4778
	s_branch .LBB4_4777
.LBB4_4781:                             ;   in Loop: Header=BB4_4779 Depth=1
	s_add_co_i32 s5, s5, 1
                                        ; implicit-def: $vgpr0
	s_mov_b32 s7, -1
	s_or_b32 s4, s4, exec_lo
	s_and_saveexec_b32 s10, s6
	s_cbranch_execz .LBB4_4778
	s_branch .LBB4_4777
.LBB4_4782:
	s_or_b32 exec_lo, exec_lo, s3
	s_and_saveexec_b32 s3, s0
	s_delay_alu instid0(SALU_CYCLE_1)
	s_xor_b32 s3, exec_lo, s3
	s_cbranch_execz .LBB4_4784
; %bb.4783:
	s_wait_loadcnt 0x0
	s_wait_storecnt 0x0
	ds_store_b32 v0, v0
	s_trap 2
.LBB4_4784:
	s_or_b32 exec_lo, exec_lo, s2
	v_and_b32_e32 v0, 0x2000, v30
	s_mov_b32 s0, exec_lo
	s_delay_alu instid0(VALU_DEP_1)
	v_cmpx_ne_u32_e32 0, v0
	s_cbranch_execz .LBB4_4786
; %bb.4785:
	s_trap 2
	ds_load_b64 v[4:5], v0
	s_wait_dscnt 0x0
	flat_store_b64 v[2:3], v[4:5] offset:16
.LBB4_4786:
	s_wait_xcnt 0x0
	s_or_b32 exec_lo, exec_lo, s0
	v_cmp_ne_u32_e32 vcc_lo, 32, v1
	s_and_b32 exec_lo, exec_lo, vcc_lo
	s_cbranch_execz .LBB4_4804
; %bb.4787:
	s_mov_b32 s0, exec_lo
	v_cmpx_ne_u32_e64 v1, v40
	s_xor_b32 s0, exec_lo, s0
	s_cbranch_execz .LBB4_4802
; %bb.4788:
	v_and_b32_e32 v0, 31, v31
	s_mov_b32 s2, exec_lo
	s_delay_alu instid0(VALU_DEP_1)
	v_cmpx_eq_u32_e32 0, v0
	s_cbranch_execz .LBB4_4801
; %bb.4789:
	s_mov_b32 s4, exec_lo
	s_mov_b32 s3, exec_lo
	v_mbcnt_lo_u32_b32 v0, s4, 0
	global_wb scope:SCOPE_DEV
	s_wait_storecnt 0x0
	s_wait_loadcnt_dscnt 0x0
	global_inv scope:SCOPE_DEV
	v_cmpx_eq_u32_e32 0, v0
	s_cbranch_execz .LBB4_4791
; %bb.4790:
	s_bcnt1_i32_b32 s4, s4
	s_delay_alu instid0(SALU_CYCLE_1)
	v_dual_mov_b32 v3, 0 :: v_dual_mov_b32 v2, s4
	s_wait_loadcnt 0x0
	ds_add_u64 v0, v[2:3]
	s_trap 2
.LBB4_4791:
	s_or_b32 exec_lo, exec_lo, s3
	s_trap 2
	ds_load_b64 v[2:3], v0
	s_wait_dscnt 0x0
	v_dual_mov_b32 v1, 0 :: v_dual_lshrrev_b32 v0, 5, v1
	s_mov_b32 s3, exec_lo
	s_delay_alu instid0(VALU_DEP_1) | instskip(NEXT) | instid1(VALU_DEP_1)
	v_add_nc_u64_e32 v[0:1], v[48:49], v[0:1]
	v_cmpx_lt_u64_e64 v[2:3], v[0:1]
	s_cbranch_execz .LBB4_4800
; %bb.4792:
	s_mov_b32 s4, 0
	s_mov_b32 s7, 0
                                        ; implicit-def: $sgpr5
                                        ; implicit-def: $sgpr6
	s_branch .LBB4_4794
.LBB4_4793:                             ;   in Loop: Header=BB4_4794 Depth=1
	s_or_b32 exec_lo, exec_lo, s11
	s_delay_alu instid0(SALU_CYCLE_1) | instskip(NEXT) | instid1(SALU_CYCLE_1)
	s_and_b32 s10, exec_lo, s12
	s_or_b32 s4, s10, s4
	s_and_not1_b32 s5, s5, exec_lo
	s_and_b32 s10, s6, exec_lo
	s_delay_alu instid0(SALU_CYCLE_1)
	s_or_b32 s5, s5, s10
	s_and_not1_b32 exec_lo, exec_lo, s4
	s_cbranch_execz .LBB4_4798
.LBB4_4794:                             ; =>This Inner Loop Header: Depth=1
	s_add_co_i32 s7, s7, 1
	s_delay_alu instid0(SALU_CYCLE_1) | instskip(SKIP_1) | instid1(SALU_CYCLE_1)
	s_cmp_lg_u32 s7, 0x2710
	s_cselect_b32 s10, -1, 0
	s_and_b32 vcc_lo, exec_lo, s10
	s_cbranch_vccz .LBB4_4796
; %bb.4795:                             ;   in Loop: Header=BB4_4794 Depth=1
	s_mov_b32 s12, -1
	s_or_b32 s6, s6, exec_lo
	s_and_saveexec_b32 s11, s10
	s_cbranch_execz .LBB4_4793
	s_branch .LBB4_4797
.LBB4_4796:                             ;   in Loop: Header=BB4_4794 Depth=1
	s_trap 2
	ds_load_b64 v[2:3], v0
	s_and_not1_b32 s10, s10, exec_lo
	s_mov_b32 s7, 0
	s_wait_loadcnt_dscnt 0x0
	flat_load_b32 v2, v[2:3] scope:SCOPE_SYS
	s_wait_loadcnt_dscnt 0x0
	global_inv scope:SCOPE_SYS
	v_cmp_eq_u32_e32 vcc_lo, 0, v2
	s_and_b32 s11, vcc_lo, exec_lo
	s_delay_alu instid0(SALU_CYCLE_1)
	s_or_b32 s10, s10, s11
	s_mov_b32 s12, -1
	s_or_b32 s6, s6, exec_lo
	s_and_saveexec_b32 s11, s10
	s_cbranch_execz .LBB4_4793
.LBB4_4797:                             ;   in Loop: Header=BB4_4794 Depth=1
	s_sleep 1
	s_trap 2
	ds_load_b64 v[2:3], v0
	s_wait_dscnt 0x0
	s_and_not1_b32 s6, s6, exec_lo
	v_cmp_ge_u64_e32 vcc_lo, v[2:3], v[0:1]
	s_or_not1_b32 s12, vcc_lo, exec_lo
	s_branch .LBB4_4793
.LBB4_4798:
	s_or_b32 exec_lo, exec_lo, s4
	s_and_saveexec_b32 s4, s5
	s_delay_alu instid0(SALU_CYCLE_1)
	s_xor_b32 s4, exec_lo, s4
	s_cbranch_execz .LBB4_4800
; %bb.4799:
	v_mov_b32_e32 v0, 1
	ds_store_b32 v0, v0
	s_trap 2
.LBB4_4800:
	s_or_b32 exec_lo, exec_lo, s3
	;;#ASMSTART
	s_wakeup
	;;#ASMEND
.LBB4_4801:
	s_or_b32 exec_lo, exec_lo, s2
.LBB4_4802:
	s_and_not1_saveexec_b32 s0, s0
	s_cbranch_execz .LBB4_4804
; %bb.4803:
	global_wb scope:SCOPE_DEV
	s_wait_storecnt 0x0
	s_wait_loadcnt_dscnt 0x0
	global_inv scope:SCOPE_DEV
	s_barrier_signal -1
	s_barrier_wait -1
.LBB4_4804:
	s_or_b32 exec_lo, exec_lo, s1
.LBB4_4805:
	s_and_not1_saveexec_b32 s21, s18
	s_cbranch_execz .LBB4_4807
; %bb.4806:
	s_get_pc_i64 s[0:1]
	s_add_nc_u64 s[0:1], s[0:1], __PRETTY_FUNCTION__._ZN10PrimitivesI14__hip_fp8_e4m38FuncProdIS0_E12FanSymmetricILi1EELi0E11ProtoSimpleILi1ELi1ELi0ELi2ELi0ELi0EELi0ELb0ELi0ELi0ELi0EEC2EiiPKiS9_PKvPvmhhhP15ncclDevWorkCollP14ncclDevWorkP2pii@rel64+4
	s_get_pc_i64 s[2:3]
	s_add_nc_u64 s[2:3], s[2:3], __assert_fail@rel64+4
	v_dual_mov_b32 v0, s0 :: v_dual_mov_b32 v1, s1
	s_swap_pc_i64 s[30:31], s[2:3]
	; divergent unreachable
.LBB4_4807:
	s_or_b32 exec_lo, exec_lo, s21
	s_clause 0x1d
	scratch_load_b32 v93, off, s33
	scratch_load_b32 v92, off, s33 offset:4
	scratch_load_b32 v91, off, s33 offset:8
	;; [unrolled: 1-line block ×29, first 2 shown]
	v_readlane_b32 s30, v94, 0
	v_readlane_b32 s31, v94, 1
	s_mov_b32 s32, s33
	s_wait_xcnt 0x0
	s_or_saveexec_b32 s0, -1
	scratch_load_b32 v94, off, s33 offset:120 ; 4-byte Folded Reload
	s_wait_xcnt 0x0
	s_mov_b32 exec_lo, s0
	s_mov_b32 s33, s47
	s_wait_loadcnt_dscnt 0x0
	s_set_pc_i64 s[30:31]
.Lfunc_end4:
	.size	_ZN12_GLOBAL__N_17runRingI14__hip_fp8_e4m38FuncProdIS1_E11ProtoSimpleILi1ELi1ELi0ELi2ELi0ELi0EELi0ELi2ELi0EEEviiP15ncclDevWorkColl, .Lfunc_end4-_ZN12_GLOBAL__N_17runRingI14__hip_fp8_e4m38FuncProdIS1_E11ProtoSimpleILi1ELi1ELi0ELi2ELi0ELi0EELi0ELi2ELi0EEEviiP15ncclDevWorkColl
                                        ; -- End function
	.set .L_ZN12_GLOBAL__N_17runRingI14__hip_fp8_e4m38FuncProdIS1_E11ProtoSimpleILi1ELi1ELi0ELi2ELi0ELi0EELi0ELi2ELi0EEEviiP15ncclDevWorkColl.num_vgpr, max(120, .L__assert_fail.num_vgpr)
	.set .L_ZN12_GLOBAL__N_17runRingI14__hip_fp8_e4m38FuncProdIS1_E11ProtoSimpleILi1ELi1ELi0ELi2ELi0ELi0EELi0ELi2ELi0EEEviiP15ncclDevWorkColl.num_agpr, max(0, .L__assert_fail.num_agpr)
	.set .L_ZN12_GLOBAL__N_17runRingI14__hip_fp8_e4m38FuncProdIS1_E11ProtoSimpleILi1ELi1ELi0ELi2ELi0ELi0EELi0ELi2ELi0EEEviiP15ncclDevWorkColl.numbered_sgpr, max(48, .L__assert_fail.numbered_sgpr)
	.set .L_ZN12_GLOBAL__N_17runRingI14__hip_fp8_e4m38FuncProdIS1_E11ProtoSimpleILi1ELi1ELi0ELi2ELi0ELi0EELi0ELi2ELi0EEEviiP15ncclDevWorkColl.num_named_barrier, max(0, .L__assert_fail.num_named_barrier)
	.set .L_ZN12_GLOBAL__N_17runRingI14__hip_fp8_e4m38FuncProdIS1_E11ProtoSimpleILi1ELi1ELi0ELi2ELi0ELi0EELi0ELi2ELi0EEEviiP15ncclDevWorkColl.private_seg_size, 128+max(.L__assert_fail.private_seg_size)
	.set .L_ZN12_GLOBAL__N_17runRingI14__hip_fp8_e4m38FuncProdIS1_E11ProtoSimpleILi1ELi1ELi0ELi2ELi0ELi0EELi0ELi2ELi0EEEviiP15ncclDevWorkColl.uses_vcc, or(1, .L__assert_fail.uses_vcc)
	.set .L_ZN12_GLOBAL__N_17runRingI14__hip_fp8_e4m38FuncProdIS1_E11ProtoSimpleILi1ELi1ELi0ELi2ELi0ELi0EELi0ELi2ELi0EEEviiP15ncclDevWorkColl.uses_flat_scratch, or(1, .L__assert_fail.uses_flat_scratch)
	.set .L_ZN12_GLOBAL__N_17runRingI14__hip_fp8_e4m38FuncProdIS1_E11ProtoSimpleILi1ELi1ELi0ELi2ELi0ELi0EELi0ELi2ELi0EEEviiP15ncclDevWorkColl.has_dyn_sized_stack, or(0, .L__assert_fail.has_dyn_sized_stack)
	.set .L_ZN12_GLOBAL__N_17runRingI14__hip_fp8_e4m38FuncProdIS1_E11ProtoSimpleILi1ELi1ELi0ELi2ELi0ELi0EELi0ELi2ELi0EEEviiP15ncclDevWorkColl.has_recursion, or(1, .L__assert_fail.has_recursion)
	.set .L_ZN12_GLOBAL__N_17runRingI14__hip_fp8_e4m38FuncProdIS1_E11ProtoSimpleILi1ELi1ELi0ELi2ELi0ELi0EELi0ELi2ELi0EEEviiP15ncclDevWorkColl.has_indirect_call, or(0, .L__assert_fail.has_indirect_call)
	.section	.AMDGPU.csdata,"",@progbits
; Function info:
; codeLenInByte = 153196
; TotalNumSgprs: 50
; NumVgprs: 120
; ScratchSize: 192
; MemoryBound: 1
	.text
	.p2align	2                               ; -- Begin function _Z48ncclDevFunc_Reduce_RING_SIMPLE_Prod_f8e4m3_0_0_2v
	.type	_Z48ncclDevFunc_Reduce_RING_SIMPLE_Prod_f8e4m3_0_0_2v,@function
_Z48ncclDevFunc_Reduce_RING_SIMPLE_Prod_f8e4m3_0_0_2v: ; @_Z48ncclDevFunc_Reduce_RING_SIMPLE_Prod_f8e4m3_0_0_2v
; %bb.0:
	s_wait_loadcnt_dscnt 0x0
	s_wait_kmcnt 0x0
	s_mov_b32 s63, s33
	s_mov_b32 s33, s32
	s_or_saveexec_b32 s0, -1
	scratch_store_b32 off, v42, s33 offset:12 ; 4-byte Folded Spill
	s_wait_xcnt 0x0
	s_mov_b32 exec_lo, s0
	s_add_co_i32 s32, s32, 32
	s_clause 0x2
	scratch_store_b32 off, v40, s33 offset:8
	; meta instruction
	scratch_store_b32 off, v41, s33 offset:4
	; meta instruction
	scratch_store_b32 off, v94, s33
	v_writelane_b32 v42, s30, 0
	v_writelane_b32 v42, s31, 1
	s_trap 2
	ds_load_b32 v0, v0
	s_wait_xcnt 0x2
	v_mov_b32_e32 v40, v31
	s_wait_dscnt 0x0
	v_cmp_gt_i32_e32 vcc_lo, 1, v0
	s_cbranch_vccnz .LBB5_8
; %bb.1:
	s_wait_xcnt 0x1
	v_and_b32_e32 v41, 0x3ff, v40
	s_mov_b32 s58, s12
	s_mov_b64 s[56:57], s[8:9]
	s_mov_b32 s59, 0
	s_get_pc_i64 s[60:61]
	s_add_nc_u64 s[60:61], s[60:61], _ZN12_GLOBAL__N_17runRingI14__hip_fp8_e4m38FuncProdIS1_E11ProtoSimpleILi1ELi1ELi0ELi2ELi0ELi0EELi0ELi2ELi0EEEviiP15ncclDevWorkColl@rel64+4
	s_branch .LBB5_3
.LBB5_2:                                ;   in Loop: Header=BB5_3 Depth=1
	s_or_b32 exec_lo, exec_lo, s62
	s_trap 2
	ds_load_b32 v0, v0
	s_add_co_i32 s59, s59, 1
	s_wait_dscnt 0x0
	v_cmp_lt_i32_e32 vcc_lo, s59, v0
	s_cbranch_vccz .LBB5_8
.LBB5_3:                                ; =>This Inner Loop Header: Depth=1
	s_trap 2
	ds_load_b32 v0, v0
	s_cmp_eq_u32 s59, 0
	s_cbranch_scc1 .LBB5_6
; %bb.4:                                ;   in Loop: Header=BB5_3 Depth=1
	s_trap 2
	s_wait_dscnt 0x0
	ds_load_b32 v1, v0
	s_wait_dscnt 0x0
	v_xor_b32_e32 v1, v1, v0
	s_delay_alu instid0(VALU_DEP_1) | instskip(NEXT) | instid1(VALU_DEP_1)
	v_and_b32_e32 v1, 0xff0000, v1
	v_cmp_eq_u32_e32 vcc_lo, 0, v1
	s_cbranch_vccnz .LBB5_6
; %bb.5:                                ;   in Loop: Header=BB5_3 Depth=1
	s_wait_storecnt 0x0
	s_barrier_signal -1
	s_barrier_wait -1
	ds_load_b32 v0, v0
.LBB5_6:                                ;   in Loop: Header=BB5_3 Depth=1
	s_wait_dscnt 0x0
	v_lshrrev_b32_e32 v0, 11, v0
	s_mov_b32 s62, exec_lo
	s_delay_alu instid0(VALU_DEP_1) | instskip(SKIP_1) | instid1(VALU_DEP_1)
	v_and_b32_e32 v1, 0x1fe0, v0
	s_wait_xcnt 0x0
	v_cmpx_lt_u32_e64 v41, v1
	s_cbranch_execz .LBB5_2
; %bb.7:                                ;   in Loop: Header=BB5_3 Depth=1
	s_mov_b64 s[0:1], src_shared_base
	v_dual_mov_b32 v31, v40 :: v_dual_mov_b32 v0, v41
	v_mov_b32_e32 v3, s1
	s_mov_b64 s[8:9], s[56:57]
	s_mov_b32 s12, s58
	s_swap_pc_i64 s[30:31], s[60:61]
	s_branch .LBB5_2
.LBB5_8:
	s_clause 0x2
	scratch_load_b32 v94, off, s33
	scratch_load_b32 v41, off, s33 offset:4
	scratch_load_b32 v40, off, s33 offset:8
	v_readlane_b32 s30, v42, 0
	v_readlane_b32 s31, v42, 1
	s_mov_b32 s32, s33
	s_wait_xcnt 0x0
	s_or_saveexec_b32 s0, -1
	scratch_load_b32 v42, off, s33 offset:12 ; 4-byte Folded Reload
	s_wait_xcnt 0x0
	s_mov_b32 exec_lo, s0
	s_mov_b32 s33, s63
	s_wait_loadcnt 0x0
	s_set_pc_i64 s[30:31]
.Lfunc_end5:
	.size	_Z48ncclDevFunc_Reduce_RING_SIMPLE_Prod_f8e4m3_0_0_2v, .Lfunc_end5-_Z48ncclDevFunc_Reduce_RING_SIMPLE_Prod_f8e4m3_0_0_2v
                                        ; -- End function
	.set .L_Z48ncclDevFunc_Reduce_RING_SIMPLE_Prod_f8e4m3_0_0_2v.num_vgpr, max(95, .L_ZN12_GLOBAL__N_17runRingI14__hip_fp8_e4m38FuncProdIS1_E11ProtoSimpleILi1ELi1ELi0ELi2ELi0ELi0EELi0ELi2ELi0EEEviiP15ncclDevWorkColl.num_vgpr)
	.set .L_Z48ncclDevFunc_Reduce_RING_SIMPLE_Prod_f8e4m3_0_0_2v.num_agpr, max(0, .L_ZN12_GLOBAL__N_17runRingI14__hip_fp8_e4m38FuncProdIS1_E11ProtoSimpleILi1ELi1ELi0ELi2ELi0ELi0EELi0ELi2ELi0EEEviiP15ncclDevWorkColl.num_agpr)
	.set .L_Z48ncclDevFunc_Reduce_RING_SIMPLE_Prod_f8e4m3_0_0_2v.numbered_sgpr, max(64, .L_ZN12_GLOBAL__N_17runRingI14__hip_fp8_e4m38FuncProdIS1_E11ProtoSimpleILi1ELi1ELi0ELi2ELi0ELi0EELi0ELi2ELi0EEEviiP15ncclDevWorkColl.numbered_sgpr)
	.set .L_Z48ncclDevFunc_Reduce_RING_SIMPLE_Prod_f8e4m3_0_0_2v.num_named_barrier, max(0, .L_ZN12_GLOBAL__N_17runRingI14__hip_fp8_e4m38FuncProdIS1_E11ProtoSimpleILi1ELi1ELi0ELi2ELi0ELi0EELi0ELi2ELi0EEEviiP15ncclDevWorkColl.num_named_barrier)
	.set .L_Z48ncclDevFunc_Reduce_RING_SIMPLE_Prod_f8e4m3_0_0_2v.private_seg_size, 32+max(.L_ZN12_GLOBAL__N_17runRingI14__hip_fp8_e4m38FuncProdIS1_E11ProtoSimpleILi1ELi1ELi0ELi2ELi0ELi0EELi0ELi2ELi0EEEviiP15ncclDevWorkColl.private_seg_size)
	.set .L_Z48ncclDevFunc_Reduce_RING_SIMPLE_Prod_f8e4m3_0_0_2v.uses_vcc, or(1, .L_ZN12_GLOBAL__N_17runRingI14__hip_fp8_e4m38FuncProdIS1_E11ProtoSimpleILi1ELi1ELi0ELi2ELi0ELi0EELi0ELi2ELi0EEEviiP15ncclDevWorkColl.uses_vcc)
	.set .L_Z48ncclDevFunc_Reduce_RING_SIMPLE_Prod_f8e4m3_0_0_2v.uses_flat_scratch, or(1, .L_ZN12_GLOBAL__N_17runRingI14__hip_fp8_e4m38FuncProdIS1_E11ProtoSimpleILi1ELi1ELi0ELi2ELi0ELi0EELi0ELi2ELi0EEEviiP15ncclDevWorkColl.uses_flat_scratch)
	.set .L_Z48ncclDevFunc_Reduce_RING_SIMPLE_Prod_f8e4m3_0_0_2v.has_dyn_sized_stack, or(0, .L_ZN12_GLOBAL__N_17runRingI14__hip_fp8_e4m38FuncProdIS1_E11ProtoSimpleILi1ELi1ELi0ELi2ELi0ELi0EELi0ELi2ELi0EEEviiP15ncclDevWorkColl.has_dyn_sized_stack)
	.set .L_Z48ncclDevFunc_Reduce_RING_SIMPLE_Prod_f8e4m3_0_0_2v.has_recursion, or(1, .L_ZN12_GLOBAL__N_17runRingI14__hip_fp8_e4m38FuncProdIS1_E11ProtoSimpleILi1ELi1ELi0ELi2ELi0ELi0EELi0ELi2ELi0EEEviiP15ncclDevWorkColl.has_recursion)
	.set .L_Z48ncclDevFunc_Reduce_RING_SIMPLE_Prod_f8e4m3_0_0_2v.has_indirect_call, or(0, .L_ZN12_GLOBAL__N_17runRingI14__hip_fp8_e4m38FuncProdIS1_E11ProtoSimpleILi1ELi1ELi0ELi2ELi0ELi0EELi0ELi2ELi0EEEviiP15ncclDevWorkColl.has_indirect_call)
	.section	.AMDGPU.csdata,"",@progbits
; Function info:
; codeLenInByte = 464
; TotalNumSgprs: 66
; NumVgprs: 120
; ScratchSize: 224
; MemoryBound: 0
	.text
	.p2align	2                               ; -- Begin function _ZN12_GLOBAL__N_17runRingI14__hip_fp8_e4m38FuncProdIS1_E11ProtoSimpleILi1ELi1ELi0ELi4ELi0ELi0EELi0ELi4ELi0EEEviiP15ncclDevWorkColl
	.type	_ZN12_GLOBAL__N_17runRingI14__hip_fp8_e4m38FuncProdIS1_E11ProtoSimpleILi1ELi1ELi0ELi4ELi0ELi0EELi0ELi4ELi0EEEviiP15ncclDevWorkColl,@function
_ZN12_GLOBAL__N_17runRingI14__hip_fp8_e4m38FuncProdIS1_E11ProtoSimpleILi1ELi1ELi0ELi4ELi0ELi0EELi0ELi4ELi0EEEviiP15ncclDevWorkColl: ; @_ZN12_GLOBAL__N_17runRingI14__hip_fp8_e4m38FuncProdIS1_E11ProtoSimpleILi1ELi1ELi0ELi4ELi0ELi0EELi0ELi4ELi0EEEviiP15ncclDevWorkColl
; %bb.0:
	s_wait_loadcnt_dscnt 0x0
	s_wait_kmcnt 0x0
	s_mov_b32 s47, s33
	s_mov_b32 s33, s32
	s_or_saveexec_b32 s0, -1
	scratch_store_b32 off, v127, s33 offset:240 ; 4-byte Folded Spill
	s_wait_xcnt 0x0
	s_mov_b32 exec_lo, s0
	s_addk_co_i32 s32, 0x100
	s_clause 0x2e
	scratch_store_b32 off, v40, s33 offset:184
	; meta instruction
	scratch_store_b32 off, v41, s33 offset:180
	; meta instruction
	;; [unrolled: 2-line block ×46, first 2 shown]
	scratch_store_b32 off, v126, s33
	v_writelane_b32 v127, s30, 0
	v_writelane_b32 v127, s31, 1
	s_trap 2
	ds_load_b64 v[14:15], v0
	ds_load_b32 v9, v0
	flat_load_b64 v[6:7], v[2:3]
	v_mov_b32_e32 v66, v31
                                        ; implicit-def: $vgpr18_vgpr19
                                        ; implicit-def: $vgpr4_vgpr5
                                        ; implicit-def: $vgpr52_vgpr53
	s_wait_dscnt 0x2
	v_readfirstlane_b32 s0, v14
	v_readfirstlane_b32 s1, v15
	flat_load_u16 v17, v[2:3] offset:8
	flat_load_b32 v24, v15, s[0:1] offset:-4 scale_offset
	s_wait_xcnt 0x0
	s_mov_b32 s0, exec_lo
	s_wait_loadcnt_dscnt 0x202
	v_and_b32_e32 v8, 0xff, v6
	v_mov_b32_e32 v16, v7
	s_delay_alu instid0(VALU_DEP_2)
	v_cmpx_ne_u32_e64 v9, v8
	s_xor_b32 s0, exec_lo, s0
	s_cbranch_execz .LBB6_6
; %bb.1:
	v_bfe_u32 v10, v6, 8, 8
	v_not_b32_e32 v8, v8
	s_mov_b32 s1, exec_lo
                                        ; implicit-def: $vgpr18_vgpr19
                                        ; implicit-def: $vgpr4_vgpr5
                                        ; implicit-def: $vgpr52_vgpr53
	s_delay_alu instid0(VALU_DEP_2)
	v_cmpx_ne_u32_e64 v9, v10
	s_xor_b32 s1, exec_lo, s1
	s_cbranch_execz .LBB6_3
; %bb.2:
	s_clause 0x1
	flat_load_b128 v[4:7], v[2:3] offset:72
	flat_load_b64 v[10:11], v[2:3] offset:96
	v_add_nc_u32_e32 v8, v9, v8
	s_wait_loadcnt_dscnt 0x101
	s_delay_alu instid0(VALU_DEP_1) | instskip(SKIP_3) | instid1(VALU_DEP_3)
	v_mad_nc_u64_u32 v[52:53], v6, v8, v[4:5]
	v_ashrrev_i32_e32 v5, 31, v8
	s_wait_loadcnt_dscnt 0x0
	v_lshrrev_b64 v[18:19], 12, v[10:11]
                                        ; implicit-def: $vgpr10
	v_mad_u32 v4, v7, v8, v53
                                        ; implicit-def: $vgpr8
	s_delay_alu instid0(VALU_DEP_1)
	v_mad_u32 v53, v6, v5, v4
	v_mov_b64_e32 v[4:5], v[6:7]
.LBB6_3:
	s_wait_xcnt 0x0
	s_and_not1_saveexec_b32 s1, s1
	s_cbranch_execz .LBB6_5
; %bb.4:
	s_clause 0x1
	flat_load_b128 v[18:21], v[2:3] offset:72
	flat_load_b128 v[4:7], v[2:3] offset:88
	s_wait_loadcnt_dscnt 0x0
	v_add_nc_u32_e32 v6, v10, v8
	s_delay_alu instid0(VALU_DEP_1) | instskip(SKIP_1) | instid1(VALU_DEP_2)
	v_mad_nc_u64_u32 v[52:53], v20, v6, v[18:19]
	v_lshrrev_b32_e32 v18, 1, v7
	v_mad_u32 v8, v21, v6, v53
	v_ashrrev_i32_e32 v6, 31, v6
	s_delay_alu instid0(VALU_DEP_1)
	v_mad_u32 v53, v20, v6, v8
.LBB6_5:
	s_wait_xcnt 0x0
	s_or_b32 exec_lo, exec_lo, s1
.LBB6_6:
	s_and_not1_saveexec_b32 s0, s0
	s_cbranch_execz .LBB6_8
; %bb.7:
	s_clause 0x1
	flat_load_b64 v[6:7], v[2:3] offset:96
	flat_load_b64 v[4:5], v[2:3] offset:72
	v_mov_b64_e32 v[52:53], 0
	s_wait_loadcnt_dscnt 0x101
	v_lshlrev_b64_e32 v[18:19], 9, v[6:7]
.LBB6_8:
	s_wait_xcnt 0x0
	s_or_b32 exec_lo, exec_lo, s0
	s_trap 2
	ds_load_b64 v[6:7], v0
	s_mov_b32 s1, 0
	s_mov_b32 s2, exec_lo
	s_wait_dscnt 0x0
	v_cmp_ne_u32_e32 vcc_lo, -1, v6
	v_cndmask_b32_e64 v15, 0, 1, vcc_lo
	v_cmp_ne_u32_e32 vcc_lo, -1, v7
	s_delay_alu instid0(VALU_DEP_2) | instskip(NEXT) | instid1(VALU_DEP_1)
	v_add_co_ci_u32_e64 v6, null, 0, v15, vcc_lo
	v_lshlrev_b32_e32 v7, 1, v6
	s_delay_alu instid0(VALU_DEP_1)
	v_cmpx_le_u32_e64 v7, v1
	s_xor_b32 s18, exec_lo, s2
	s_cbranch_execnz .LBB6_9
; %bb.7944:
	s_add_pc_i64 .LBB6_7941-.Lpost_addpc2
.Lpost_addpc2:
.LBB6_9:
	s_clause 0x1
	flat_load_b128 v[10:13], v[2:3] offset:16
	flat_load_b64 v[20:21], v[2:3] offset:104
	s_trap 2
	s_load_b32 s0, s[8:9], 0x0
	s_bfe_u32 s2, ttmp6, 0x4000c
	s_and_b32 s3, ttmp6, 15
	s_add_co_i32 s2, s2, 1
	s_getreg_b32 s4, hwreg(HW_REG_IB_STS2, 6, 4)
	s_mul_i32 s2, ttmp9, s2
	v_dual_mov_b32 v2, 0 :: v_dual_mov_b32 v30, 4
	s_add_co_i32 s3, s3, s2
	s_cmp_eq_u32 s4, 0
	ds_load_b32 v3, v0
	s_cselect_b32 s2, ttmp9, s3
	s_wait_kmcnt 0x0
	s_cmp_lt_u32 s2, s0
	s_cselect_b32 s0, 12, 18
	s_delay_alu instid0(SALU_CYCLE_1)
	s_add_nc_u64 s[0:1], s[8:9], s[0:1]
	global_load_u16 v2, v2, s[0:1]
	s_wait_xcnt 0x0
	s_mov_b32 s1, exec_lo
	s_wait_dscnt 0x0
	v_readfirstlane_b32 s19, v3
	v_cmpx_ge_i32_e64 v0, v15
	s_cbranch_execz .LBB6_19
; %bb.10:
	v_cmp_ge_u32_e64 s0, v0, v6
                                        ; implicit-def: $vgpr30
	s_and_saveexec_b32 s2, s0
	s_delay_alu instid0(SALU_CYCLE_1)
	s_xor_b32 s0, exec_lo, s2
	s_cbranch_execz .LBB6_16
; %bb.11:
	v_cndmask_b32_e64 v3, 0, 1, vcc_lo
	s_mov_b32 s2, exec_lo
	s_delay_alu instid0(VALU_DEP_1) | instskip(NEXT) | instid1(VALU_DEP_1)
	v_sub_nc_u32_e32 v3, v1, v3
	v_cmpx_ge_u32_e64 v0, v3
	s_xor_b32 s2, exec_lo, s2
; %bb.12:
                                        ; implicit-def: $vgpr6
; %bb.13:
	s_delay_alu instid0(SALU_CYCLE_1)
	s_or_saveexec_b32 s2, s2
	v_mov_b32_e32 v30, 16
	s_xor_b32 exec_lo, exec_lo, s2
; %bb.14:
	v_sub_nc_u32_e32 v3, v1, v6
	s_delay_alu instid0(VALU_DEP_1)
	v_cmp_lt_i32_e32 vcc_lo, v0, v3
	v_cndmask_b32_e64 v30, 32, 0, vcc_lo
; %bb.15:
	s_or_b32 exec_lo, exec_lo, s2
.LBB6_16:
	s_and_not1_saveexec_b32 s0, s0
; %bb.17:
	v_mov_b32_e32 v30, 8
; %bb.18:
	s_or_b32 exec_lo, exec_lo, s0
.LBB6_19:
	s_delay_alu instid0(SALU_CYCLE_1) | instskip(NEXT) | instid1(VALU_DEP_1)
	s_or_b32 exec_lo, exec_lo, s1
	v_and_b32_e32 v3, 36, v30
	s_delay_alu instid0(VALU_DEP_1)
	v_cmp_ne_u32_e32 vcc_lo, 0, v3
	v_mov_b32_e32 v3, -1
	s_and_saveexec_b32 s0, vcc_lo
	s_cbranch_execz .LBB6_21
; %bb.20:
	s_trap 2
	ds_load_b32 v3, v0
.LBB6_21:
	s_or_b32 exec_lo, exec_lo, s0
	v_and_b32_e32 v6, 24, v30
	s_mov_b32 s1, exec_lo
	s_delay_alu instid0(VALU_DEP_1)
	v_cmpx_ne_u32_e32 0, v6
	s_cbranch_execz .LBB6_23
; %bb.22:
	s_trap 2
	s_wait_dscnt 0x0
	ds_load_b32 v3, v0
.LBB6_23:
	s_or_b32 exec_lo, exec_lo, s1
	s_wait_loadcnt 0x4
	v_lshrrev_b64 v[6:7], 31, v[16:17]
	v_mov_b64_e32 v[86:87], 0
                                        ; implicit-def: $vgpr70_vgpr71
                                        ; implicit-def: $vgpr68_vgpr69
                                        ; implicit-def: $vgpr64_vgpr65
	s_delay_alu instid0(VALU_DEP_2) | instskip(SKIP_1) | instid1(VALU_DEP_2)
	v_and_b32_e32 v8, 3, v6
	v_mov_b64_e32 v[6:7], 0
	v_and_b32_e32 v17, 0xffff, v8
                                        ; implicit-def: $vgpr8_vgpr9
                                        ; kill: killed $vgpr8_vgpr9
                                        ; implicit-def: $vgpr8
	scratch_store_b64 off, v[8:9], s33 offset:188 ; 8-byte Folded Spill
	s_wait_xcnt 0x0
	s_and_saveexec_b32 s0, vcc_lo
	s_cbranch_execz .LBB6_33
; %bb.24:
	s_trap 2
	ds_load_b64 v[6:7], v0
	s_wait_dscnt 0x0
	v_readfirstlane_b32 s2, v6
	v_readfirstlane_b32 s3, v7
	flat_load_b64 v[6:7], v3, s[2:3] scale_offset
	s_wait_loadcnt_dscnt 0x0
	v_mad_nc_u64_u32 v[22:23], 0xa8, v17, v[6:7]
	flat_load_b32 v6, v[22:23] offset:640
	s_wait_loadcnt_dscnt 0x0
	v_cmp_eq_u32_e32 vcc_lo, 1, v6
                                        ; implicit-def: $vgpr6_vgpr7
                                        ; kill: killed $vgpr6_vgpr7
	s_wait_xcnt 0x0
	s_and_saveexec_b32 s1, vcc_lo
	s_cbranch_execz .LBB6_26
; %bb.25:
	flat_load_b64 v[8:9], v[22:23] offset:648
	v_or_b32_e32 v30, 0x2000, v30
	s_wait_loadcnt_dscnt 0x0
	flat_load_b64 v[6:7], v[8:9]
	s_trap 2
	scratch_store_b64 off, v[8:9], s33 offset:200 ; 8-byte Folded Spill
	s_wait_loadcnt_dscnt 0x0
	ds_store_b64 v0, v[6:7]
	flat_load_b64 v[6:7], v[8:9] offset:8
	s_wait_loadcnt_dscnt 0x0
	ds_store_b64 v0, v[6:7]
	flat_load_b64 v[6:7], v[8:9] offset:16
	s_wait_loadcnt_dscnt 0x0
	ds_store_b64 v0, v[6:7]
.LBB6_26:
	s_wait_xcnt 0x0
	s_or_b32 exec_lo, exec_lo, s1
	flat_load_b64 v[8:9], v[22:23] offset:608
	v_and_b32_e32 v6, 32, v30
	s_mov_b32 s1, exec_lo
                                        ; implicit-def: $vgpr64_vgpr65
	s_wait_xcnt 0x0
	s_delay_alu instid0(VALU_DEP_1)
	v_cmpx_ne_u32_e32 0, v6
	s_cbranch_execz .LBB6_28
; %bb.27:
	flat_load_b64 v[64:65], v[22:23] offset:560
	global_wb scope:SCOPE_SYS
	s_wait_storecnt 0x0
	s_wait_xcnt 0x0
	s_wait_loadcnt_dscnt 0x0
	flat_store_b64 v[64:65], v[8:9] scope:SCOPE_SYS
.LBB6_28:
	s_wait_xcnt 0x0
	s_or_b32 exec_lo, exec_lo, s1
	v_add_nc_u64_e32 v[86:87], 0x1f8, v[22:23]
	v_mov_b64_e32 v[6:7], 0
	v_and_b32_e32 v19, 4, v30
	s_mov_b32 s1, exec_lo
                                        ; implicit-def: $vgpr26
	scratch_store_b64 off, v[26:27], s33 offset:188 ; 8-byte Folded Spill
                                        ; implicit-def: $vgpr70_vgpr71
                                        ; implicit-def: $vgpr68_vgpr69
	s_wait_xcnt 0x0
	v_cmpx_ne_u32_e32 0, v19
	s_cbranch_execz .LBB6_32
; %bb.29:
	v_and_b32_e32 v6, 0x800, v30
	s_mov_b32 s2, exec_lo
	s_delay_alu instid0(VALU_DEP_1)
	v_cmpx_eq_u32_e32 0, v6
	s_cbranch_execz .LBB6_31
; %bb.30:
	s_trap 2
	ds_store_b64 v0, v[86:87]
.LBB6_31:
	s_or_b32 exec_lo, exec_lo, s2
	flat_load_b64 v[64:65], v[22:23] offset:552
	v_or_b32_e32 v19, 0x100, v30
                                        ; kill: killed $vgpr22_vgpr23
	s_wait_loadcnt_dscnt 0x0
	flat_load_b64 v[70:71], v[64:65] scope:SCOPE_SYS
	s_clause 0x2
	flat_load_b64 v[6:7], v[22:23] offset:600
	flat_load_b32 v26, v[22:23] offset:576
	flat_load_b64 v[68:69], v[22:23] offset:520
	s_wait_loadcnt_dscnt 0x202
	v_cmp_eq_u64_e32 vcc_lo, 0, v[6:7]
	s_wait_loadcnt_dscnt 0x101
	scratch_store_b64 off, v[26:27], s33 offset:188 ; 8-byte Folded Spill
	v_cndmask_b32_e32 v30, v19, v30, vcc_lo
.LBB6_32:
	s_wait_xcnt 0x0
	s_or_b32 exec_lo, exec_lo, s1
.LBB6_33:
	s_delay_alu instid0(SALU_CYCLE_1) | instskip(NEXT) | instid1(VALU_DEP_1)
	s_or_b32 exec_lo, exec_lo, s0
	v_and_b32_e32 v19, 24, v30
	s_mov_b32 s0, exec_lo
                                        ; implicit-def: $vgpr84_vgpr85
	s_delay_alu instid0(VALU_DEP_1)
	v_cmpx_ne_u32_e32 0, v19
	s_cbranch_execz .LBB6_41
; %bb.34:
	s_trap 2
	ds_load_b64 v[6:7], v0
	s_mov_b32 s1, exec_lo
                                        ; implicit-def: $vgpr84_vgpr85
	s_wait_dscnt 0x0
	v_readfirstlane_b32 s2, v6
	v_readfirstlane_b32 s3, v7
	flat_load_b64 v[6:7], v3, s[2:3] scale_offset
	s_wait_xcnt 0x0
	v_or_b32_e32 v3, 0x100, v30
	s_wait_loadcnt_dscnt 0x0
	v_mad_nc_u64_u32 v[86:87], 0xa8, v17, v[6:7]
	flat_load_b128 v[6:9], v[86:87] offset:96
	s_wait_loadcnt_dscnt 0x0
	v_cmp_eq_u64_e32 vcc_lo, 0, v[6:7]
	v_cndmask_b32_e32 v30, v3, v30, vcc_lo
	s_delay_alu instid0(VALU_DEP_1) | instskip(SKIP_1) | instid1(VALU_DEP_1)
	v_and_b32_e32 v3, 16, v30
	s_wait_xcnt 0x0
	v_cmpx_ne_u32_e32 0, v3
	s_cbranch_execz .LBB6_36
; %bb.35:
	s_clause 0x2
	flat_load_b64 v[64:65], v[86:87] offset:48
	flat_load_b64 v[84:85], v[86:87] offset:120
	;; [unrolled: 1-line block ×3, first 2 shown]
.LBB6_36:
	s_wait_xcnt 0x0
	s_or_b32 exec_lo, exec_lo, s1
	v_and_b32_e32 v3, 8, v30
	s_mov_b32 s1, exec_lo
	s_delay_alu instid0(VALU_DEP_1)
	v_cmpx_ne_u32_e32 0, v3
	s_cbranch_execz .LBB6_40
; %bb.37:
	v_and_b32_e32 v3, 0x800, v30
	s_mov_b32 s2, exec_lo
	s_delay_alu instid0(VALU_DEP_1)
	v_cmpx_eq_u32_e32 0, v3
	s_cbranch_execz .LBB6_39
; %bb.38:
	s_trap 2
	ds_store_b64 v0, v[86:87]
.LBB6_39:
	s_or_b32 exec_lo, exec_lo, s2
	s_wait_loadcnt_dscnt 0x202
	flat_load_b64 v[64:65], v[86:87] offset:56
	s_wait_loadcnt_dscnt 0x0
	flat_load_b64 v[70:71], v[64:65] scope:SCOPE_SYS
	s_clause 0x1
	flat_load_b32 v22, v[86:87] offset:72
	flat_load_b64 v[68:69], v[86:87] offset:16
	s_wait_loadcnt_dscnt 0x101
	scratch_store_b64 off, v[22:23], s33 offset:188 ; 8-byte Folded Spill
.LBB6_40:
	s_wait_xcnt 0x0
	s_or_b32 exec_lo, exec_lo, s1
.LBB6_41:
	s_delay_alu instid0(SALU_CYCLE_1)
	s_or_b32 exec_lo, exec_lo, s0
	v_cmp_eq_u32_e64 s0, 0, v0
	s_and_saveexec_b32 s1, s0
	s_cbranch_execz .LBB6_43
; %bb.42:
	v_mov_b64_e32 v[22:23], 0
	s_wait_loadcnt 0x2
	ds_store_2addr_b64 v0, v[12:13], v[10:11] offset1:1
	s_trap 2
	ds_store_b64 v0, v[22:23]
	s_wait_loadcnt 0x1
	ds_store_b64 v0, v[20:21]
.LBB6_43:
	s_or_b32 exec_lo, exec_lo, s1
	s_wait_dscnt 0x0
	v_bfe_u32 v3, v16, 1, 30
	v_and_b32_e32 v82, 0x3ffffe00, v18
	v_mov_b32_e32 v83, 0
	s_wait_loadcnt 0x0
	v_and_b32_e32 v10, 0xffff, v2
                                        ; implicit-def: $vgpr80_vgpr81
	s_mov_b32 s1, exec_lo
	v_cmpx_ne_u32_e64 v24, v3
	s_xor_b32 s20, exec_lo, s1
	s_cbranch_execnz .LBB6_44
; %bb.7946:
	s_add_pc_i64 .LBB6_7733-.Lpost_addpc3
.Lpost_addpc3:
.LBB6_44:
                                        ; implicit-def: $vgpr80_vgpr81
	s_mov_b32 s1, exec_lo
	v_cmpx_ne_u32_e64 v14, v3
	s_xor_b32 s13, exec_lo, s1
	s_cbranch_execz .LBB6_3894
; %bb.45:
	v_mov_b64_e32 v[80:81], 0
	s_mov_b32 s21, exec_lo
	v_cmpx_ne_u64_e32 0, v[4:5]
	s_cbranch_execz .LBB6_3893
; %bb.46:
	scratch_load_b64 v[12:13], off, s33 offset:188 ; 8-byte Folded Reload
	v_dual_ashrrev_i32 v2, 31, v0 :: v_dual_bitop2_b32 v3, 31, v66 bitop3:0x40
	v_cmp_ne_u32_e64 s3, v1, v10
	s_ashr_i32 s4, s19, 31
	v_cmp_eq_u32_e32 vcc_lo, 32, v1
	s_lshr_b32 s4, s4, 24
	v_cmp_eq_u64_e64 s7, 0, v[84:85]
	s_add_co_i32 s10, s19, s4
	v_cmp_eq_u32_e64 s4, 0, v3
	v_mov_b64_e32 v[116:117], 0
	v_mov_b64_e32 v[80:81], 0
	v_cmp_ge_i32_e64 s1, v0, v1
	v_cmp_ne_u32_e64 s2, 32, v1
	v_and_b32_e32 v98, 0x1fe0, v1
	v_mov_b32_e32 v46, 0x90
	v_bfrev_b32_e32 v77, 1
	s_mov_b64 s[14:15], 0xffffffffffffff
	s_mov_b64 s[16:17], 0x100000000000000
	s_ashr_i32 s23, s10, 8
	s_mov_b32 s22, 0
	s_xor_b32 s24, vcc_lo, -1
	v_lshrrev_b32_e32 v2, 27, v2
	s_clause 0x1
	scratch_store_b32 off, v10, s33 offset:216
	scratch_store_b32 off, v66, s33 offset:196
	v_dual_mov_b32 v113, 1 :: v_dual_add_nc_u32 v2, v0, v2
	s_wait_loadcnt 0x0
	v_ashrrev_i32_e32 v13, 31, v12
	s_clause 0x1
	scratch_store_b64 off, v[12:13], s33 offset:188
	scratch_store_b64 off, v[86:87], s33 offset:208
	s_wait_xcnt 0x0
	v_dual_mov_b32 v97, 0 :: v_dual_lshrrev_b32 v86, 5, v1
	v_ashrrev_i32_e32 v112, 5, v2
	v_and_b32_e32 v10, 0xffffffe0, v2
	s_delay_alu instid0(VALU_DEP_3) | instskip(NEXT) | instid1(VALU_DEP_2)
	v_dual_mov_b32 v101, v97 :: v_dual_lshlrev_b32 v102, 9, v86
	v_dual_mov_b32 v87, v97 :: v_dual_sub_nc_u32 v3, v0, v10
	s_delay_alu instid0(VALU_DEP_4) | instskip(SKIP_1) | instid1(VALU_DEP_3)
	v_dual_lshlrev_b32 v2, 11, v112 :: v_dual_lshlrev_b32 v100, 11, v86
	v_dual_mov_b32 v103, v97 :: v_dual_lshlrev_b32 v114, 10, v86
	v_cmp_le_i32_e64 s5, v3, v15
	s_delay_alu instid0(VALU_DEP_3)
	v_lshl_add_u32 v2, v3, 4, v2
	v_mov_b32_e32 v115, v97
	scratch_store_b32 off, v3, s33 offset:224 ; 4-byte Folded Spill
	v_cmp_lt_i32_e64 s6, v3, v15
	s_wait_xcnt 0x0
	v_dual_mov_b32 v99, v97 :: v_dual_ashrrev_i32 v3, 31, v2
	scratch_store_b64 off, v[2:3], s33 offset:232 ; 8-byte Folded Spill
	s_trap 2
	scratch_store_b32 off, v112, s33 offset:220 ; 4-byte Folded Spill
	s_branch .LBB6_49
.LBB6_47:                               ;   in Loop: Header=BB6_49 Depth=1
	s_wait_xcnt 0x0
	s_or_b32 exec_lo, exec_lo, s10
.LBB6_48:                               ;   in Loop: Header=BB6_49 Depth=1
	s_delay_alu instid0(SALU_CYCLE_1) | instskip(SKIP_1) | instid1(VALU_DEP_1)
	s_or_b32 exec_lo, exec_lo, s11
	v_add_nc_u64_e32 v[116:117], v[116:117], v[82:83]
	v_cmp_ge_u64_e32 vcc_lo, v[116:117], v[4:5]
	s_or_b32 s22, vcc_lo, s22
	s_delay_alu instid0(SALU_CYCLE_1)
	s_and_not1_b32 exec_lo, exec_lo, s22
	s_cbranch_execz .LBB6_3892
.LBB6_49:                               ; =>This Loop Header: Depth=1
                                        ;     Child Loop BB6_58 Depth 2
                                        ;     Child Loop BB6_86 Depth 2
	;; [unrolled: 1-line block ×10, first 2 shown]
	s_wait_xcnt 0x1
	v_sub_nc_u64_e32 v[2:3], v[4:5], v[116:117]
	s_delay_alu instid0(VALU_DEP_1) | instskip(NEXT) | instid1(VALU_DEP_1)
	v_min_u64 v[118:119], v[82:83], v[2:3]
	v_add_nc_u32_e32 v2, 15, v118
	s_delay_alu instid0(VALU_DEP_2) | instskip(NEXT) | instid1(VALU_DEP_2)
	v_cmp_eq_u64_e32 vcc_lo, 0, v[118:119]
	v_and_b32_e32 v2, 0x7ffffff0, v2
	s_or_b32 s25, s1, vcc_lo
	s_delay_alu instid0(SALU_CYCLE_1) | instskip(NEXT) | instid1(VALU_DEP_1)
	s_xor_b32 s10, s25, -1
	v_dual_mov_b32 v2, v97 :: v_dual_max_i32 v40, s23, v2
	s_wait_xcnt 0x0
	s_and_saveexec_b32 s26, s10
	s_cbranch_execz .LBB6_3840
; %bb.50:                               ;   in Loop: Header=BB6_49 Depth=1
	s_and_saveexec_b32 s10, s0
	s_cbranch_execz .LBB6_52
; %bb.51:                               ;   in Loop: Header=BB6_49 Depth=1
	s_trap 2
	ds_load_b64 v[2:3], v0
	v_mov_b64_e32 v[10:11], 0
	s_wait_dscnt 0x0
	v_add_nc_u64_e32 v[2:3], v[2:3], v[52:53]
	s_delay_alu instid0(VALU_DEP_1)
	v_add_nc_u64_e32 v[2:3], v[2:3], v[116:117]
	ds_store_b64 v0, v[2:3]
	ds_store_b64 v0, v[10:11]
.LBB6_52:                               ;   in Loop: Header=BB6_49 Depth=1
	s_or_b32 exec_lo, exec_lo, s10
	v_and_b32_e32 v2, 12, v30
	v_min_u32_e32 v40, v40, v118
	s_mov_b32 s11, exec_lo
	s_delay_alu instid0(VALU_DEP_2)
	v_cmpx_ne_u32_e32 0, v2
	s_cbranch_execz .LBB6_78
; %bb.53:                               ;   in Loop: Header=BB6_49 Depth=1
	v_and_b32_e32 v96, 8, v30
	v_add_nc_u64_e32 v[10:11], 1, v[8:9]
	s_mov_b32 s12, exec_lo
	s_wait_loadcnt 0x0
	s_delay_alu instid0(VALU_DEP_2) | instskip(NEXT) | instid1(VALU_DEP_1)
	v_add_nc_u64_e32 v[2:3], v[70:71], v[96:97]
	v_cmpx_lt_u64_e64 v[2:3], v[10:11]
	s_cbranch_execz .LBB6_65
; %bb.54:                               ;   in Loop: Header=BB6_49 Depth=1
	v_and_b32_e32 v2, 64, v30
	s_mov_b32 s27, 0
	s_mov_b32 s41, 0
                                        ; implicit-def: $sgpr28
                                        ; implicit-def: $sgpr29
                                        ; implicit-def: $sgpr40
	s_delay_alu instid0(VALU_DEP_1)
	v_cmp_eq_u32_e32 vcc_lo, 0, v2
	s_branch .LBB6_58
.LBB6_55:                               ;   in Loop: Header=BB6_58 Depth=2
	s_wait_loadcnt_dscnt 0x0
	v_add_nc_u64_e32 v[12:13], v[70:71], v[96:97]
	s_or_b32 s44, s44, exec_lo
	s_delay_alu instid0(VALU_DEP_1)
	v_cmp_ge_u64_e64 s10, v[12:13], v[10:11]
	s_or_not1_b32 s43, s10, exec_lo
.LBB6_56:                               ;   in Loop: Header=BB6_58 Depth=2
	s_or_b32 exec_lo, exec_lo, s46
	s_delay_alu instid0(SALU_CYCLE_1)
	s_and_not1_b32 s10, s40, exec_lo
	s_and_b32 s40, s44, exec_lo
	s_and_not1_b32 s29, s29, exec_lo
	s_and_b32 s43, s43, exec_lo
	s_or_b32 s40, s10, s40
	s_or_b32 s29, s29, s43
.LBB6_57:                               ;   in Loop: Header=BB6_58 Depth=2
	s_or_b32 exec_lo, exec_lo, s42
	s_delay_alu instid0(SALU_CYCLE_1) | instskip(NEXT) | instid1(SALU_CYCLE_1)
	s_and_b32 s10, exec_lo, s29
	s_or_b32 s27, s10, s27
	s_and_not1_b32 s10, s28, exec_lo
	s_and_b32 s28, s40, exec_lo
	s_delay_alu instid0(SALU_CYCLE_1)
	s_or_b32 s28, s10, s28
	s_and_not1_b32 exec_lo, exec_lo, s27
	s_cbranch_execz .LBB6_62
.LBB6_58:                               ;   Parent Loop BB6_49 Depth=1
                                        ; =>  This Inner Loop Header: Depth=2
	s_sleep 1
	s_wait_loadcnt_dscnt 0x0
	flat_load_b64 v[70:71], v[64:65] scope:SCOPE_SYS
	s_or_b32 s40, s40, exec_lo
	s_or_b32 s29, s29, exec_lo
                                        ; implicit-def: $vgpr2
	s_wait_xcnt 0x0
	s_and_saveexec_b32 s42, vcc_lo
	s_cbranch_execz .LBB6_57
; %bb.59:                               ;   in Loop: Header=BB6_58 Depth=2
	s_cmp_lt_i32 s41, 0x270f
	s_mov_b32 s43, -1
	s_cselect_b32 s45, -1, 0
	s_cmp_gt_i32 s41, 0x270e
	s_cbranch_scc0 .LBB6_61
; %bb.60:                               ;   in Loop: Header=BB6_58 Depth=2
	s_trap 2
	ds_load_b64 v[2:3], v0
	s_and_not1_b32 s41, s45, exec_lo
	s_mov_b32 s44, 0
	s_wait_storecnt 0x0
	s_wait_loadcnt_dscnt 0x0
	flat_load_b32 v2, v[2:3] scope:SCOPE_SYS
	s_wait_loadcnt_dscnt 0x0
	global_inv scope:SCOPE_SYS
	v_cmp_eq_u32_e64 s10, 0, v2
	s_and_b32 s10, s10, exec_lo
	s_delay_alu instid0(SALU_CYCLE_1)
	s_or_b32 s45, s41, s10
	s_mov_b32 s41, 0
	s_wait_xcnt 0x0
	s_and_saveexec_b32 s46, s45
	s_cbranch_execz .LBB6_56
	s_branch .LBB6_55
.LBB6_61:                               ;   in Loop: Header=BB6_58 Depth=2
	s_add_co_i32 s41, s41, 1
	s_mov_b32 s44, -1
                                        ; implicit-def: $vgpr2
	s_and_saveexec_b32 s46, s45
	s_cbranch_execz .LBB6_56
	s_branch .LBB6_55
.LBB6_62:                               ;   in Loop: Header=BB6_49 Depth=1
	s_or_b32 exec_lo, exec_lo, s27
	s_xor_b32 s10, s28, -1
	s_delay_alu instid0(SALU_CYCLE_1) | instskip(NEXT) | instid1(SALU_CYCLE_1)
	s_and_saveexec_b32 s27, s10
	s_xor_b32 s10, exec_lo, s27
	s_cbranch_execz .LBB6_64
; %bb.63:                               ;   in Loop: Header=BB6_49 Depth=1
	v_or_b32_e32 v30, 64, v30
	s_wait_storecnt 0x0
	s_wait_loadcnt_dscnt 0x0
	ds_store_b32 v0, v2
	s_trap 2
.LBB6_64:                               ;   in Loop: Header=BB6_49 Depth=1
	s_or_b32 exec_lo, exec_lo, s10
.LBB6_65:                               ;   in Loop: Header=BB6_49 Depth=1
	s_delay_alu instid0(SALU_CYCLE_1) | instskip(SKIP_4) | instid1(VALU_DEP_2)
	s_or_b32 exec_lo, exec_lo, s12
	v_and_b32_e32 v2, 0x108, v30
	v_and_b32_e32 v8, 7, v8
	s_mov_b32 s10, exec_lo
	;;#ASMSTART
	s_wakeup
	;;#ASMEND
	v_cmpx_ne_u32_e32 0x108, v2
	s_xor_b32 s10, exec_lo, s10
; %bb.66:                               ;   in Loop: Header=BB6_49 Depth=1
	v_mov_b32_e32 v9, v97
; %bb.67:                               ;   in Loop: Header=BB6_49 Depth=1
	s_and_not1_saveexec_b32 s10, s10
	s_cbranch_execz .LBB6_69
; %bb.68:                               ;   in Loop: Header=BB6_49 Depth=1
	v_mad_nc_u64_u32 v[2:3], v8, 24, v[6:7]
	v_dual_mov_b32 v41, v97 :: v_dual_mov_b32 v9, v97
	flat_store_b64 v[2:3], v[40:41] offset:8
.LBB6_69:                               ;   in Loop: Header=BB6_49 Depth=1
	s_wait_xcnt 0x0
	s_or_b32 exec_lo, exec_lo, s10
	v_and_b32_e32 v2, 0x100, v30
	s_mov_b32 s10, -1
	s_mov_b32 s12, exec_lo
                                        ; implicit-def: $vgpr12_vgpr13
	s_delay_alu instid0(VALU_DEP_1)
	v_cmpx_ne_u32_e32 0, v2
	s_cbranch_execz .LBB6_73
; %bb.70:                               ;   in Loop: Header=BB6_49 Depth=1
	v_mad_nc_u64_u32 v[14:15], v8, 24, v[6:7]
	s_mov_b32 s27, exec_lo
                                        ; implicit-def: $vgpr12_vgpr13
	s_delay_alu instid0(VALU_DEP_1)
	v_mad_u32 v15, v9, 24, v15
	flat_load_b32 v2, v[14:15]
	s_wait_loadcnt_dscnt 0x0
	v_cmp_ne_u32_e32 vcc_lo, 1, v2
	s_wait_xcnt 0x0
	v_cmpx_eq_u32_e32 1, v2
	s_cbranch_execz .LBB6_72
; %bb.71:                               ;   in Loop: Header=BB6_49 Depth=1
	flat_load_b32 v12, v[14:15] offset:4 scope:SCOPE_SYS
	s_wait_loadcnt_dscnt 0x0
	v_ashrrev_i32_e32 v13, 31, v12
.LBB6_72:                               ;   in Loop: Header=BB6_49 Depth=1
	s_wait_xcnt 0x0
	s_or_b32 exec_lo, exec_lo, s27
	s_delay_alu instid0(SALU_CYCLE_1)
	s_or_not1_b32 s10, vcc_lo, exec_lo
.LBB6_73:                               ;   in Loop: Header=BB6_49 Depth=1
	s_or_b32 exec_lo, exec_lo, s12
	s_and_saveexec_b32 s12, s10
	s_cbranch_execz .LBB6_75
; %bb.74:                               ;   in Loop: Header=BB6_49 Depth=1
	scratch_load_b64 v[2:3], off, s33 offset:188 ; 8-byte Folded Reload
	s_wait_loadcnt 0x0
	v_mul_u64_e32 v[12:13], v[8:9], v[2:3]
.LBB6_75:                               ;   in Loop: Header=BB6_49 Depth=1
	s_wait_xcnt 0x0
	s_or_b32 exec_lo, exec_lo, s12
	v_cmp_eq_u32_e32 vcc_lo, 0, v96
	s_delay_alu instid0(VALU_DEP_2) | instskip(SKIP_3) | instid1(VALU_DEP_1)
	v_add_nc_u64_e32 v[2:3], v[68:69], v[12:13]
	v_and_b32_e32 v9, 0x2000, v30
	s_mov_b32 s10, exec_lo
	v_cndmask_b32_e32 v8, 0xc8, v46, vcc_lo
	v_add_nc_u32_e32 v8, v0, v8
	ds_store_b64 v8, v[2:3] offset:584
	v_cmpx_ne_u32_e32 0, v9
	s_cbranch_execz .LBB6_77
; %bb.76:                               ;   in Loop: Header=BB6_49 Depth=1
	ds_load_b64 v[2:3], v0 offset:872
	s_wait_dscnt 0x0
	v_add_nc_u64_e32 v[2:3], 1, v[2:3]
	ds_store_b64 v0, v[2:3] offset:872
.LBB6_77:                               ;   in Loop: Header=BB6_49 Depth=1
	s_or_b32 exec_lo, exec_lo, s10
	v_mov_b64_e32 v[8:9], v[10:11]
.LBB6_78:                               ;   in Loop: Header=BB6_49 Depth=1
	s_or_b32 exec_lo, exec_lo, s11
	s_and_saveexec_b32 s10, s2
	s_cbranch_execz .LBB6_97
; %bb.79:                               ;   in Loop: Header=BB6_49 Depth=1
	s_and_saveexec_b32 s11, s3
	s_delay_alu instid0(SALU_CYCLE_1)
	s_xor_b32 s11, exec_lo, s11
	s_cbranch_execz .LBB6_94
; %bb.80:                               ;   in Loop: Header=BB6_49 Depth=1
	s_and_saveexec_b32 s12, s4
	s_cbranch_execz .LBB6_93
; %bb.81:                               ;   in Loop: Header=BB6_49 Depth=1
	s_mov_b32 s28, exec_lo
	s_mov_b32 s27, exec_lo
	v_mbcnt_lo_u32_b32 v2, s28, 0
	global_wb scope:SCOPE_DEV
	s_wait_storecnt 0x0
	s_wait_loadcnt_dscnt 0x0
	global_inv scope:SCOPE_DEV
	v_cmpx_eq_u32_e32 0, v2
	s_cbranch_execz .LBB6_83
; %bb.82:                               ;   in Loop: Header=BB6_49 Depth=1
	s_bcnt1_i32_b32 s28, s28
	s_delay_alu instid0(SALU_CYCLE_1)
	v_mov_b32_e32 v96, s28
	s_wait_loadcnt 0x0
	ds_add_u64 v0, v[96:97]
	s_trap 2
.LBB6_83:                               ;   in Loop: Header=BB6_49 Depth=1
	s_or_b32 exec_lo, exec_lo, s27
	s_trap 2
	ds_load_b64 v[2:3], v0
	s_wait_dscnt 0x0
	v_add_nc_u64_e32 v[80:81], v[80:81], v[86:87]
	s_mov_b32 s27, exec_lo
	s_delay_alu instid0(VALU_DEP_1)
	v_cmpx_lt_u64_e64 v[2:3], v[80:81]
	s_cbranch_execz .LBB6_92
; %bb.84:                               ;   in Loop: Header=BB6_49 Depth=1
	s_mov_b32 s28, 0
	s_mov_b32 s41, 0
                                        ; implicit-def: $sgpr29
                                        ; implicit-def: $sgpr40
	s_branch .LBB6_86
.LBB6_85:                               ;   in Loop: Header=BB6_86 Depth=2
	s_or_b32 exec_lo, exec_lo, s43
	s_delay_alu instid0(SALU_CYCLE_1) | instskip(NEXT) | instid1(SALU_CYCLE_1)
	s_and_b32 s42, exec_lo, s44
	s_or_b32 s28, s42, s28
	s_and_not1_b32 s29, s29, exec_lo
	s_and_b32 s42, s40, exec_lo
	s_delay_alu instid0(SALU_CYCLE_1)
	s_or_b32 s29, s29, s42
	s_and_not1_b32 exec_lo, exec_lo, s28
	s_cbranch_execz .LBB6_90
.LBB6_86:                               ;   Parent Loop BB6_49 Depth=1
                                        ; =>  This Inner Loop Header: Depth=2
	s_add_co_i32 s41, s41, 1
	s_delay_alu instid0(SALU_CYCLE_1) | instskip(SKIP_1) | instid1(SALU_CYCLE_1)
	s_cmp_lg_u32 s41, 0x2710
	s_cselect_b32 s42, -1, 0
	s_and_b32 vcc_lo, exec_lo, s42
	s_cbranch_vccz .LBB6_88
; %bb.87:                               ;   in Loop: Header=BB6_86 Depth=2
	s_mov_b32 s44, -1
	s_or_b32 s40, s40, exec_lo
	s_and_saveexec_b32 s43, s42
	s_cbranch_execz .LBB6_85
	s_branch .LBB6_89
.LBB6_88:                               ;   in Loop: Header=BB6_86 Depth=2
	s_trap 2
	ds_load_b64 v[2:3], v0
	s_and_not1_b32 s42, s42, exec_lo
	s_mov_b32 s41, 0
	s_wait_loadcnt_dscnt 0x0
	flat_load_b32 v2, v[2:3] scope:SCOPE_SYS
	s_wait_loadcnt_dscnt 0x0
	global_inv scope:SCOPE_SYS
	v_cmp_eq_u32_e32 vcc_lo, 0, v2
	s_and_b32 s43, vcc_lo, exec_lo
	s_delay_alu instid0(SALU_CYCLE_1)
	s_or_b32 s42, s42, s43
	s_mov_b32 s44, -1
	s_or_b32 s40, s40, exec_lo
	s_wait_xcnt 0x0
	s_and_saveexec_b32 s43, s42
	s_cbranch_execz .LBB6_85
.LBB6_89:                               ;   in Loop: Header=BB6_86 Depth=2
	s_sleep 1
	s_trap 2
	ds_load_b64 v[2:3], v0
	s_wait_dscnt 0x0
	s_and_not1_b32 s40, s40, exec_lo
	v_cmp_ge_u64_e32 vcc_lo, v[2:3], v[80:81]
	s_or_not1_b32 s44, vcc_lo, exec_lo
	s_branch .LBB6_85
.LBB6_90:                               ;   in Loop: Header=BB6_49 Depth=1
	s_or_b32 exec_lo, exec_lo, s28
	s_and_saveexec_b32 s28, s29
	s_delay_alu instid0(SALU_CYCLE_1)
	s_xor_b32 s28, exec_lo, s28
	s_cbranch_execz .LBB6_92
; %bb.91:                               ;   in Loop: Header=BB6_49 Depth=1
	ds_store_b32 v0, v113
	s_trap 2
.LBB6_92:                               ;   in Loop: Header=BB6_49 Depth=1
	s_or_b32 exec_lo, exec_lo, s27
	;;#ASMSTART
	s_wakeup
	;;#ASMEND
.LBB6_93:                               ;   in Loop: Header=BB6_49 Depth=1
	s_or_b32 exec_lo, exec_lo, s12
.LBB6_94:                               ;   in Loop: Header=BB6_49 Depth=1
	s_and_not1_saveexec_b32 s11, s11
	s_cbranch_execz .LBB6_96
; %bb.95:                               ;   in Loop: Header=BB6_49 Depth=1
	global_wb scope:SCOPE_DEV
	s_wait_storecnt 0x0
	s_wait_loadcnt_dscnt 0x0
	global_inv scope:SCOPE_DEV
	s_barrier_signal -1
	s_barrier_wait -1
.LBB6_96:                               ;   in Loop: Header=BB6_49 Depth=1
	s_or_b32 exec_lo, exec_lo, s11
.LBB6_97:                               ;   in Loop: Header=BB6_49 Depth=1
	s_delay_alu instid0(SALU_CYCLE_1) | instskip(SKIP_3) | instid1(VALU_DEP_1)
	s_or_b32 exec_lo, exec_lo, s10
	s_trap 2
	ds_load_b32 v2, v0
	v_and_b32_e32 v3, 0x4000, v30
	v_cmp_ne_u32_e32 vcc_lo, 0, v3
	s_and_b32 s11, s24, vcc_lo
	s_delay_alu instid0(SALU_CYCLE_1)
	s_and_saveexec_b32 s10, s11
	s_cbranch_execz .LBB6_116
; %bb.98:                               ;   in Loop: Header=BB6_49 Depth=1
	s_and_saveexec_b32 s11, s3
	s_delay_alu instid0(SALU_CYCLE_1)
	s_xor_b32 s11, exec_lo, s11
	s_cbranch_execz .LBB6_113
; %bb.99:                               ;   in Loop: Header=BB6_49 Depth=1
	s_and_saveexec_b32 s12, s4
	s_cbranch_execz .LBB6_112
; %bb.100:                              ;   in Loop: Header=BB6_49 Depth=1
	s_mov_b32 s28, exec_lo
	s_mov_b32 s27, exec_lo
	v_mbcnt_lo_u32_b32 v3, s28, 0
	global_wb scope:SCOPE_DEV
	s_wait_storecnt 0x0
	s_wait_loadcnt_dscnt 0x0
	global_inv scope:SCOPE_DEV
	v_cmpx_eq_u32_e32 0, v3
	s_cbranch_execz .LBB6_102
; %bb.101:                              ;   in Loop: Header=BB6_49 Depth=1
	s_bcnt1_i32_b32 s28, s28
	s_delay_alu instid0(SALU_CYCLE_1)
	v_mov_b32_e32 v96, s28
	s_wait_loadcnt 0x0
	ds_add_u64 v0, v[96:97]
	s_trap 2
.LBB6_102:                              ;   in Loop: Header=BB6_49 Depth=1
	s_or_b32 exec_lo, exec_lo, s27
	s_trap 2
	ds_load_b64 v[10:11], v0
	s_wait_dscnt 0x0
	v_add_nc_u64_e32 v[80:81], v[80:81], v[86:87]
	s_mov_b32 s27, exec_lo
	s_delay_alu instid0(VALU_DEP_1)
	v_cmpx_lt_u64_e64 v[10:11], v[80:81]
	s_cbranch_execz .LBB6_111
; %bb.103:                              ;   in Loop: Header=BB6_49 Depth=1
	s_mov_b32 s28, 0
	s_mov_b32 s41, 0
                                        ; implicit-def: $sgpr29
                                        ; implicit-def: $sgpr40
	s_branch .LBB6_105
.LBB6_104:                              ;   in Loop: Header=BB6_105 Depth=2
	s_or_b32 exec_lo, exec_lo, s43
	s_delay_alu instid0(SALU_CYCLE_1) | instskip(NEXT) | instid1(SALU_CYCLE_1)
	s_and_b32 s42, exec_lo, s44
	s_or_b32 s28, s42, s28
	s_and_not1_b32 s29, s29, exec_lo
	s_and_b32 s42, s40, exec_lo
	s_delay_alu instid0(SALU_CYCLE_1)
	s_or_b32 s29, s29, s42
	s_and_not1_b32 exec_lo, exec_lo, s28
	s_cbranch_execz .LBB6_109
.LBB6_105:                              ;   Parent Loop BB6_49 Depth=1
                                        ; =>  This Inner Loop Header: Depth=2
	s_add_co_i32 s41, s41, 1
	s_delay_alu instid0(SALU_CYCLE_1) | instskip(SKIP_1) | instid1(SALU_CYCLE_1)
	s_cmp_lg_u32 s41, 0x2710
	s_cselect_b32 s42, -1, 0
	s_and_b32 vcc_lo, exec_lo, s42
	s_cbranch_vccz .LBB6_107
; %bb.106:                              ;   in Loop: Header=BB6_105 Depth=2
	s_mov_b32 s44, -1
	s_or_b32 s40, s40, exec_lo
	s_and_saveexec_b32 s43, s42
	s_cbranch_execz .LBB6_104
	s_branch .LBB6_108
.LBB6_107:                              ;   in Loop: Header=BB6_105 Depth=2
	s_trap 2
	ds_load_b64 v[10:11], v0
	s_and_not1_b32 s42, s42, exec_lo
	s_mov_b32 s41, 0
	s_wait_loadcnt_dscnt 0x0
	flat_load_b32 v3, v[10:11] scope:SCOPE_SYS
	s_wait_loadcnt_dscnt 0x0
	global_inv scope:SCOPE_SYS
	v_cmp_eq_u32_e32 vcc_lo, 0, v3
	s_and_b32 s43, vcc_lo, exec_lo
	s_delay_alu instid0(SALU_CYCLE_1)
	s_or_b32 s42, s42, s43
	s_mov_b32 s44, -1
	s_or_b32 s40, s40, exec_lo
	s_wait_xcnt 0x0
	s_and_saveexec_b32 s43, s42
	s_cbranch_execz .LBB6_104
.LBB6_108:                              ;   in Loop: Header=BB6_105 Depth=2
	s_sleep 1
	s_trap 2
	ds_load_b64 v[10:11], v0
	s_wait_dscnt 0x0
	s_and_not1_b32 s40, s40, exec_lo
	v_cmp_ge_u64_e32 vcc_lo, v[10:11], v[80:81]
	s_or_not1_b32 s44, vcc_lo, exec_lo
	s_branch .LBB6_104
.LBB6_109:                              ;   in Loop: Header=BB6_49 Depth=1
	s_or_b32 exec_lo, exec_lo, s28
	s_and_saveexec_b32 s28, s29
	s_delay_alu instid0(SALU_CYCLE_1)
	s_xor_b32 s28, exec_lo, s28
	s_cbranch_execz .LBB6_111
; %bb.110:                              ;   in Loop: Header=BB6_49 Depth=1
	ds_store_b32 v0, v113
	s_trap 2
.LBB6_111:                              ;   in Loop: Header=BB6_49 Depth=1
	s_or_b32 exec_lo, exec_lo, s27
	;;#ASMSTART
	s_wakeup
	;;#ASMEND
.LBB6_112:                              ;   in Loop: Header=BB6_49 Depth=1
	s_or_b32 exec_lo, exec_lo, s12
.LBB6_113:                              ;   in Loop: Header=BB6_49 Depth=1
	s_and_not1_saveexec_b32 s11, s11
	s_cbranch_execz .LBB6_115
; %bb.114:                              ;   in Loop: Header=BB6_49 Depth=1
	global_wb scope:SCOPE_DEV
	s_wait_storecnt 0x0
	s_wait_loadcnt_dscnt 0x0
	global_inv scope:SCOPE_DEV
	s_barrier_signal -1
	s_barrier_wait -1
.LBB6_115:                              ;   in Loop: Header=BB6_49 Depth=1
	s_or_b32 exec_lo, exec_lo, s11
.LBB6_116:                              ;   in Loop: Header=BB6_49 Depth=1
	s_delay_alu instid0(SALU_CYCLE_1)
	s_or_b32 exec_lo, exec_lo, s10
	s_trap 2
	ds_load_b64 v[42:43], v0
	s_wait_dscnt 0x0
	v_cmp_eq_u64_e32 vcc_lo, 0, v[42:43]
	s_cbranch_vccnz .LBB6_124
; %bb.117:                              ;   in Loop: Header=BB6_49 Depth=1
	s_trap 2
	ds_load_b64 v[44:45], v0
	s_wait_dscnt 0x0
	v_cmp_eq_u64_e32 vcc_lo, 0, v[44:45]
	s_cbranch_vccnz .LBB6_124
; %bb.118:                              ;   in Loop: Header=BB6_49 Depth=1
	s_mov_b32 s10, -1
	s_and_saveexec_b32 s11, s5
	s_cbranch_execz .LBB6_120
; %bb.119:                              ;   in Loop: Header=BB6_49 Depth=1
	ds_load_b32 v3, v0 offset:720
	s_wait_dscnt 0x0
	v_and_b32_e32 v3, 15, v3
	s_delay_alu instid0(VALU_DEP_1)
	v_cmp_eq_u32_e32 vcc_lo, 0, v3
	s_or_not1_b32 s10, vcc_lo, exec_lo
.LBB6_120:                              ;   in Loop: Header=BB6_49 Depth=1
	s_or_b32 exec_lo, exec_lo, s11
	s_and_saveexec_b32 s11, s6
	s_cbranch_execz .LBB6_122
; %bb.121:                              ;   in Loop: Header=BB6_49 Depth=1
	ds_load_b32 v3, v0 offset:784
	s_wait_dscnt 0x0
	v_and_b32_e32 v3, 15, v3
	s_delay_alu instid0(VALU_DEP_1) | instskip(SKIP_3) | instid1(SALU_CYCLE_1)
	v_cmp_eq_u32_e32 vcc_lo, 0, v3
	s_and_b32 s12, s10, vcc_lo
	s_and_not1_b32 s10, s10, exec_lo
	s_and_b32 s12, s12, exec_lo
	s_or_b32 s10, s10, s12
.LBB6_122:                              ;   in Loop: Header=BB6_49 Depth=1
	s_or_b32 exec_lo, exec_lo, s11
	v_cmp_eq_u32_e32 vcc_lo, 0, v2
	s_xor_b32 s10, s10, -1
	s_wait_loadcnt 0x0
	v_mov_b32_e32 v10, v112
	v_cndmask_b32_e64 v3, 0, 1, s10
	s_mov_b32 s10, -1
	v_dual_cndmask_b32 v119, 0, v40 :: v_dual_mov_b32 v20, 0
	v_mov_b32_e32 v22, v0
	s_delay_alu instid0(VALU_DEP_3) | instskip(NEXT) | instid1(VALU_DEP_3)
	v_cmp_ne_u32_e32 vcc_lo, 0, v3
	v_mov_b32_e32 v21, v119
	s_cbranch_vccz .LBB6_125
; %bb.123:                              ;   in Loop: Header=BB6_49 Depth=1
	s_and_saveexec_b32 s11, s10
	s_cbranch_execnz .LBB6_2618
	s_branch .LBB6_3814
.LBB6_124:                              ;   in Loop: Header=BB6_49 Depth=1
	s_mov_b32 s10, 0
	s_and_saveexec_b32 s11, s2
	s_cbranch_execnz .LBB6_3815
	s_branch .LBB6_3833
.LBB6_125:                              ;   in Loop: Header=BB6_49 Depth=1
	v_lshrrev_b32_e32 v2, 11, v119
	s_mov_b32 s11, exec_lo
	s_delay_alu instid0(VALU_DEP_1) | instskip(NEXT) | instid1(VALU_DEP_1)
	v_sub_nc_u32_e32 v41, v2, v112
	v_cmpx_lt_i32_e32 0, v41
	s_cbranch_execz .LBB6_2113
; %bb.126:                              ;   in Loop: Header=BB6_49 Depth=1
	s_trap 2
	scratch_load_b64 v[10:11], off, s33 offset:232 ; 8-byte Folded Reload
	ds_load_b64 v[2:3], v0
	s_mov_b32 s12, 0
	s_wait_loadcnt 0x0
	v_add_nc_u64_e32 v[46:47], v[42:43], v[10:11]
	s_wait_dscnt 0x0
	v_add_nc_u64_e32 v[56:57], v[2:3], v[10:11]
	v_add_nc_u64_e32 v[58:59], v[44:45], v[10:11]
	s_branch .LBB6_128
.LBB6_127:                              ;   in Loop: Header=BB6_128 Depth=2
	s_or_b32 exec_lo, exec_lo, s10
	v_lshl_or_b32 v11, v123, 8, v122
	v_dual_lshlrev_b32 v12, 16, v26 :: v_dual_lshlrev_b32 v13, 24, v27
	v_lshl_or_b32 v15, v35, 8, v34
	v_dual_lshlrev_b32 v16, 16, v120 :: v_dual_lshlrev_b32 v22, 24, v22
	v_lshlrev_b32_e32 v3, 16, v3
	s_delay_alu instid0(VALU_DEP_4)
	v_or3_b32 v27, v11, v12, v13
	v_lshlrev_b32_e32 v11, 24, v121
	v_lshl_or_b32 v2, v2, 8, v126
	v_lshl_or_b32 v12, v29, 8, v28
	v_dual_lshlrev_b32 v13, 16, v124 :: v_dual_lshlrev_b32 v17, 24, v125
	v_lshl_or_b32 v31, v107, 8, v106
	v_dual_lshlrev_b32 v34, 16, v36 :: v_dual_lshlrev_b32 v35, 24, v37
	;; [unrolled: 2-line block ×3, first 2 shown]
	v_or3_b32 v26, v15, v16, v11
	v_or3_b32 v29, v2, v3, v22
	v_lshl_or_b32 v2, v39, 8, v38
	v_dual_lshlrev_b32 v3, 16, v108 :: v_dual_lshlrev_b32 v11, 24, v109
	v_or3_b32 v28, v12, v13, v17
	v_dual_lshlrev_b32 v12, 24, v33 :: v_dual_lshlrev_b32 v13, 16, v32
	v_lshl_or_b32 v15, v111, 8, v110
	v_lshl_or_b32 v16, v91, 8, v90
	v_dual_lshlrev_b32 v17, 16, v60 :: v_dual_lshlrev_b32 v22, 24, v61
	v_or3_b32 v35, v31, v34, v35
	v_or3_b32 v34, v36, v37, v50
	v_lshl_or_b32 v31, v79, 8, v78
	v_dual_lshlrev_b32 v32, 16, v88 :: v_dual_lshlrev_b32 v33, 24, v89
	v_lshl_or_b32 v38, v63, 8, v62
	v_dual_lshlrev_b32 v39, 16, v92 :: v_dual_lshlrev_b32 v50, 24, v93
	v_or3_b32 v36, v2, v3, v11
	v_dual_lshlrev_b32 v2, 24, v49 :: v_dual_lshlrev_b32 v3, 16, v48
	v_lshl_or_b32 v11, v95, 8, v94
	v_or3_b32 v37, v15, v13, v12
	v_or3_b32 v61, v16, v17, v22
	v_lshl_or_b32 v12, v113, 8, v112
	v_dual_lshlrev_b32 v13, 16, v18 :: v_dual_lshlrev_b32 v15, 24, v19
	v_lshl_or_b32 v16, v24, 8, v23
	v_dual_lshlrev_b32 v17, 16, v25 :: v_dual_lshlrev_b32 v18, 24, v74
	v_lshl_or_b32 v19, v21, 8, v20
	v_dual_lshlrev_b32 v20, 16, v72 :: v_dual_lshlrev_b32 v22, 24, v10
	v_dual_lshlrev_b32 v21, 24, v76 :: v_dual_lshlrev_b32 v14, 16, v14
	v_lshl_or_b32 v23, v73, 8, v75
	v_or3_b32 v60, v31, v32, v33
	v_or3_b32 v62, v38, v39, v50
	;; [unrolled: 1-line block ×3, first 2 shown]
	v_sub_nc_u32_e32 v41, v41, v86
	v_or3_b32 v11, v12, v13, v15
	v_or3_b32 v10, v16, v17, v18
	;; [unrolled: 1-line block ×4, first 2 shown]
	s_clause 0x3
	global_store_b128 v[58:59], v[60:63], off th:TH_STORE_NT
	global_store_b128 v[58:59], v[34:37], off offset:512 th:TH_STORE_NT
	global_store_b128 v[58:59], v[26:29], off offset:1024 th:TH_STORE_NT
	;; [unrolled: 1-line block ×3, first 2 shown]
	v_add_nc_u64_e32 v[46:47], v[46:47], v[100:101]
	v_add_nc_u64_e32 v[56:57], v[56:57], v[100:101]
	v_cmp_gt_i32_e32 vcc_lo, 1, v41
	s_wait_xcnt 0x0
	v_add_nc_u64_e32 v[58:59], v[58:59], v[100:101]
	s_or_b32 s12, vcc_lo, s12
	s_delay_alu instid0(SALU_CYCLE_1)
	s_and_not1_b32 exec_lo, exec_lo, s12
	s_cbranch_execz .LBB6_2112
.LBB6_128:                              ;   Parent Loop BB6_49 Depth=1
                                        ; =>  This Inner Loop Header: Depth=2
	s_clause 0x3
	global_load_b128 v[48:51], v[46:47], off th:TH_LOAD_NT
	global_load_b128 v[32:35], v[46:47], off offset:512 th:TH_LOAD_NT
	global_load_b128 v[22:25], v[46:47], off offset:1024 th:TH_LOAD_NT
	;; [unrolled: 1-line block ×3, first 2 shown]
	s_clause 0x3
	global_load_b128 v[36:39], v[56:57], off th:TH_LOAD_NT
	global_load_b128 v[26:29], v[56:57], off offset:512 th:TH_LOAD_NT
	global_load_b128 v[18:21], v[56:57], off offset:1024 th:TH_LOAD_NT
	;; [unrolled: 1-line block ×3, first 2 shown]
	v_dual_mov_b32 v2, 0 :: v_dual_mov_b32 v3, 0
	s_mov_b32 s10, exec_lo
	s_wait_loadcnt 0x7
	v_and_b32_e32 v31, 0xff, v48
	s_wait_xcnt 0x0
	s_delay_alu instid0(VALU_DEP_1)
	v_cmpx_ne_u16_e32 0, v31
	s_cbranch_execz .LBB6_134
; %bb.129:                              ;   in Loop: Header=BB6_128 Depth=2
	v_bfrev_b32_e32 v3, 1
	s_mov_b32 s27, exec_lo
	v_cmpx_ne_u16_e32 0x80, v31
	s_cbranch_execz .LBB6_133
; %bb.130:                              ;   in Loop: Header=BB6_128 Depth=2
	v_and_b32_e32 v31, 0x7f, v48
	v_mov_b32_e32 v3, 0x7f800001
	s_mov_b32 s28, exec_lo
	s_delay_alu instid0(VALU_DEP_2)
	v_cmpx_ne_u32_e32 0x7f, v31
	s_cbranch_execz .LBB6_132
; %bb.131:                              ;   in Loop: Header=BB6_128 Depth=2
	v_dual_lshrrev_b32 v54, 3, v31 :: v_dual_bitop2_b32 v3, 7, v48 bitop3:0x40
	v_cmp_gt_u32_e32 vcc_lo, 8, v31
	s_delay_alu instid0(VALU_DEP_2) | instskip(NEXT) | instid1(VALU_DEP_1)
	v_clz_i32_u32_e32 v3, v3
	v_min_u32_e32 v3, 32, v3
	s_delay_alu instid0(VALU_DEP_1) | instskip(SKIP_1) | instid1(VALU_DEP_2)
	v_subrev_nc_u32_e32 v55, 28, v3
	v_sub_nc_u32_e32 v3, 29, v3
	v_cndmask_b32_e32 v31, 0, v55, vcc_lo
	s_delay_alu instid0(VALU_DEP_2) | instskip(NEXT) | instid1(VALU_DEP_2)
	v_cndmask_b32_e32 v3, v54, v3, vcc_lo
	v_lshlrev_b64_e32 v[54:55], v31, v[48:49]
	v_lshlrev_b32_e32 v31, 24, v48
	s_delay_alu instid0(VALU_DEP_1) | instskip(NEXT) | instid1(VALU_DEP_3)
	v_and_b32_e32 v31, 0x80000000, v31
	v_lshlrev_b32_e32 v54, 20, v54
	v_lshl_add_u32 v3, v3, 23, 0x3c000000
	s_delay_alu instid0(VALU_DEP_2) | instskip(NEXT) | instid1(VALU_DEP_1)
	v_and_b32_e32 v54, 0x700000, v54
	v_or3_b32 v3, v54, v31, v3
.LBB6_132:                              ;   in Loop: Header=BB6_128 Depth=2
	s_or_b32 exec_lo, exec_lo, s28
.LBB6_133:                              ;   in Loop: Header=BB6_128 Depth=2
	s_delay_alu instid0(SALU_CYCLE_1)
	s_or_b32 exec_lo, exec_lo, s27
.LBB6_134:                              ;   in Loop: Header=BB6_128 Depth=2
	s_delay_alu instid0(SALU_CYCLE_1) | instskip(SKIP_3) | instid1(VALU_DEP_1)
	s_or_b32 exec_lo, exec_lo, s10
	s_wait_loadcnt 0x3
	v_and_b32_e32 v31, 0xff, v36
	s_mov_b32 s10, exec_lo
	v_cmpx_ne_u16_e32 0, v31
	s_cbranch_execz .LBB6_140
; %bb.135:                              ;   in Loop: Header=BB6_128 Depth=2
	v_bfrev_b32_e32 v2, 1
	s_mov_b32 s27, exec_lo
	v_cmpx_ne_u16_e32 0x80, v31
	s_cbranch_execz .LBB6_139
; %bb.136:                              ;   in Loop: Header=BB6_128 Depth=2
	v_and_b32_e32 v31, 0x7f, v36
	v_mov_b32_e32 v2, 0x7f800001
	s_mov_b32 s28, exec_lo
	s_delay_alu instid0(VALU_DEP_2)
	v_cmpx_ne_u32_e32 0x7f, v31
	s_cbranch_execz .LBB6_138
; %bb.137:                              ;   in Loop: Header=BB6_128 Depth=2
	v_dual_lshrrev_b32 v54, 3, v31 :: v_dual_bitop2_b32 v2, 7, v36 bitop3:0x40
	v_cmp_gt_u32_e32 vcc_lo, 8, v31
	s_delay_alu instid0(VALU_DEP_2) | instskip(NEXT) | instid1(VALU_DEP_1)
	v_clz_i32_u32_e32 v2, v2
	v_min_u32_e32 v2, 32, v2
	s_delay_alu instid0(VALU_DEP_1) | instskip(NEXT) | instid1(VALU_DEP_1)
	v_subrev_nc_u32_e32 v55, 28, v2
	v_dual_cndmask_b32 v31, 0, v55 :: v_dual_sub_nc_u32 v2, 29, v2
	s_delay_alu instid0(VALU_DEP_1) | instskip(NEXT) | instid1(VALU_DEP_2)
	v_cndmask_b32_e32 v2, v54, v2, vcc_lo
	v_lshlrev_b64_e32 v[54:55], v31, v[36:37]
	v_lshlrev_b32_e32 v31, 24, v36
	s_delay_alu instid0(VALU_DEP_3) | instskip(NEXT) | instid1(VALU_DEP_2)
	v_lshl_add_u32 v2, v2, 23, 0x3c000000
	v_and_b32_e32 v31, 0x80000000, v31
	s_delay_alu instid0(VALU_DEP_4) | instskip(NEXT) | instid1(VALU_DEP_1)
	v_lshlrev_b32_e32 v54, 20, v54
	v_and_b32_e32 v54, 0x700000, v54
	s_delay_alu instid0(VALU_DEP_1)
	v_or3_b32 v2, v54, v31, v2
.LBB6_138:                              ;   in Loop: Header=BB6_128 Depth=2
	s_or_b32 exec_lo, exec_lo, s28
.LBB6_139:                              ;   in Loop: Header=BB6_128 Depth=2
	s_delay_alu instid0(SALU_CYCLE_1)
	s_or_b32 exec_lo, exec_lo, s27
.LBB6_140:                              ;   in Loop: Header=BB6_128 Depth=2
	s_delay_alu instid0(SALU_CYCLE_1) | instskip(NEXT) | instid1(VALU_DEP_1)
	s_or_b32 exec_lo, exec_lo, s10
	v_mul_f32_e32 v3, v3, v2
                                        ; implicit-def: $vgpr78
	s_mov_b32 s10, exec_lo
	s_delay_alu instid0(VALU_DEP_1) | instskip(SKIP_1) | instid1(VALU_DEP_2)
	v_and_b32_e32 v96, 0x7f800000, v3
	v_lshrrev_b32_e32 v2, 24, v3
	v_cmpx_ne_u64_e32 0x7f800000, v[96:97]
	s_xor_b32 s27, exec_lo, s10
	s_cbranch_execz .LBB6_154
; %bb.141:                              ;   in Loop: Header=BB6_128 Depth=2
	v_and_b32_e32 v96, 0x7fffffff, v3
	v_and_b32_e32 v2, 0x80, v2
                                        ; implicit-def: $vgpr78
	s_mov_b32 s10, exec_lo
	s_delay_alu instid0(VALU_DEP_2)
	v_cmpx_gt_u64_e32 0x43e00001, v[96:97]
	s_xor_b32 s28, exec_lo, s10
	s_cbranch_execz .LBB6_151
; %bb.142:                              ;   in Loop: Header=BB6_128 Depth=2
	v_mov_b32_e32 v78, 0
	s_mov_b32 s29, exec_lo
	v_cmpx_ne_u32_e32 0, v3
	s_cbranch_execz .LBB6_150
; %bb.143:                              ;   in Loop: Header=BB6_128 Depth=2
	v_bfe_u32 v31, v3, 23, 8
	v_and_b32_e32 v3, 0x7fffff, v3
	s_delay_alu instid0(VALU_DEP_2) | instskip(SKIP_1) | instid1(VALU_DEP_3)
	v_sub_nc_u32_e32 v54, 0x79, v31
	v_cmp_gt_u32_e32 vcc_lo, 0x7a, v31
	v_or_b32_e32 v66, 0x800000, v3
	s_delay_alu instid0(VALU_DEP_3) | instskip(SKIP_1) | instid1(VALU_DEP_3)
	v_cndmask_b32_e32 v54, 0, v54, vcc_lo
	v_cmp_eq_u32_e32 vcc_lo, 0, v31
	v_cndmask_b32_e32 v96, v66, v3, vcc_lo
	s_delay_alu instid0(VALU_DEP_3) | instskip(NEXT) | instid1(VALU_DEP_1)
	v_cndmask_b32_e64 v54, v54, 0x78, vcc_lo
	v_add_nc_u32_e32 v55, 20, v54
	s_delay_alu instid0(VALU_DEP_3) | instskip(NEXT) | instid1(VALU_DEP_2)
	v_lshrrev_b64 v[60:61], v54, v[96:97]
	v_lshlrev_b64_e64 v[112:113], v55, -1
	v_add_nc_u32_e32 v55, 19, v54
	s_delay_alu instid0(VALU_DEP_1) | instskip(NEXT) | instid1(VALU_DEP_3)
	v_lshlrev_b64_e64 v[62:63], v55, 1
	v_bfi_b32 v113, v113, 0, 0
	s_delay_alu instid0(VALU_DEP_4) | instskip(NEXT) | instid1(VALU_DEP_1)
	v_bfi_b32 v112, v112, 0, v96
	v_cmp_eq_u64_e64 s10, v[112:113], v[62:63]
	v_mov_b64_e32 v[62:63], v[60:61]
	s_and_saveexec_b32 s40, s10
; %bb.144:                              ;   in Loop: Header=BB6_128 Depth=2
	v_bfe_u32 v96, v60, 20, 1
	s_delay_alu instid0(VALU_DEP_1) | instskip(NEXT) | instid1(VALU_DEP_1)
	v_add_nc_u64_e32 v[112:113], v[60:61], v[96:97]
	v_add_nc_u64_e32 v[62:63], -1, v[112:113]
; %bb.145:                              ;   in Loop: Header=BB6_128 Depth=2
	s_or_b32 exec_lo, exec_lo, s40
	v_add_nc_u32_e32 v3, 0xffffff81, v31
	v_lshrrev_b32_e32 v31, 23, v60
	s_mov_b32 s10, exec_lo
	s_delay_alu instid0(VALU_DEP_2) | instskip(NEXT) | instid1(VALU_DEP_1)
	v_cndmask_b32_e64 v3, v3, 0xffffff82, vcc_lo
	v_add3_u32 v31, v54, v3, v31
	v_and_b32_e32 v3, 0xfffff, v62
	s_delay_alu instid0(VALU_DEP_1) | instskip(NEXT) | instid1(VALU_DEP_1)
	v_dual_add_nc_u32 v54, 6, v31 :: v_dual_add_nc_u32 v96, v3, v60
                                        ; implicit-def: $vgpr60_vgpr61
                                        ; implicit-def: $vgpr3
	v_cmpx_ne_u32_e32 0, v54
	s_xor_b32 s10, exec_lo, s10
; %bb.146:                              ;   in Loop: Header=BB6_128 Depth=2
	s_delay_alu instid0(VALU_DEP_2) | instskip(SKIP_2) | instid1(VALU_DEP_2)
	v_cmp_lt_u64_e32 vcc_lo, 0xffffff, v[96:97]
	v_add_nc_u32_e32 v3, 7, v31
	v_cndmask_b32_e64 v31, 0, 1, vcc_lo
	v_cndmask_b32_e32 v3, v54, v3, vcc_lo
	s_delay_alu instid0(VALU_DEP_2)
	v_lshrrev_b64 v[60:61], v31, v[96:97]
; %bb.147:                              ;   in Loop: Header=BB6_128 Depth=2
	s_and_not1_saveexec_b32 s10, s10
; %bb.148:                              ;   in Loop: Header=BB6_128 Depth=2
	v_mov_b64_e32 v[60:61], v[96:97]
	v_bfe_u32 v3, v96, 23, 1
; %bb.149:                              ;   in Loop: Header=BB6_128 Depth=2
	s_or_b32 exec_lo, exec_lo, s10
	s_delay_alu instid0(VALU_DEP_2) | instskip(NEXT) | instid1(VALU_DEP_2)
	v_lshrrev_b64 v[54:55], 20, v[60:61]
	v_cmp_gt_i32_e32 vcc_lo, 16, v3
	v_min_i32_e32 v31, 15, v3
	v_cmp_eq_u32_e64 s10, 0, v3
	s_delay_alu instid0(VALU_DEP_2) | instskip(SKIP_1) | instid1(VALU_DEP_2)
	v_dual_cndmask_b32 v54, 7, v54 :: v_dual_lshlrev_b32 v31, 3, v31
	v_cndmask_b32_e32 v55, 0, v55, vcc_lo
	v_and_b32_e32 v31, 0xf8, v31
	s_delay_alu instid0(VALU_DEP_2) | instskip(NEXT) | instid1(VALU_DEP_2)
	v_cmp_eq_u64_e32 vcc_lo, 0, v[54:55]
	v_and_or_b32 v3, v54, 7, v31
	s_and_b32 s10, s10, vcc_lo
	s_delay_alu instid0(VALU_DEP_1) | instid1(SALU_CYCLE_1)
	v_cndmask_b32_e64 v3, v3, 0, s10
	s_delay_alu instid0(VALU_DEP_1)
	v_or_b32_e32 v78, v3, v2
.LBB6_150:                              ;   in Loop: Header=BB6_128 Depth=2
	s_or_b32 exec_lo, exec_lo, s29
                                        ; implicit-def: $vgpr2
.LBB6_151:                              ;   in Loop: Header=BB6_128 Depth=2
	s_and_not1_saveexec_b32 s10, s28
; %bb.152:                              ;   in Loop: Header=BB6_128 Depth=2
	v_or_b32_e32 v78, 0x7e, v2
; %bb.153:                              ;   in Loop: Header=BB6_128 Depth=2
	s_or_b32 exec_lo, exec_lo, s10
                                        ; implicit-def: $vgpr2
.LBB6_154:                              ;   in Loop: Header=BB6_128 Depth=2
	s_and_not1_saveexec_b32 s10, s27
; %bb.155:                              ;   in Loop: Header=BB6_128 Depth=2
	v_or_b32_e32 v78, 0x7f, v2
; %bb.156:                              ;   in Loop: Header=BB6_128 Depth=2
	s_or_b32 exec_lo, exec_lo, s10
	v_lshrrev_b16 v31, 8, v48
	v_dual_mov_b32 v2, 0 :: v_dual_mov_b32 v3, 0
	s_mov_b32 s10, exec_lo
	s_delay_alu instid0(VALU_DEP_2)
	v_cmpx_ne_u16_e32 0, v31
	s_cbranch_execz .LBB6_164
; %bb.157:                              ;   in Loop: Header=BB6_128 Depth=2
	v_bfrev_b32_e32 v3, 1
	s_mov_b32 s27, exec_lo
	v_cmpx_ne_u16_e32 0x80, v31
	s_cbranch_execz .LBB6_163
; %bb.158:                              ;   in Loop: Header=BB6_128 Depth=2
	v_and_b32_e32 v54, 0xffff, v31
	v_mov_b32_e32 v3, 0x7f800001
	s_mov_b32 s28, exec_lo
	s_delay_alu instid0(VALU_DEP_2) | instskip(NEXT) | instid1(VALU_DEP_1)
	v_and_b32_e32 v31, 0x7f, v54
	v_cmpx_ne_u32_e32 0x7f, v31
	s_cbranch_execz .LBB6_162
; %bb.159:                              ;   in Loop: Header=BB6_128 Depth=2
	v_dual_lshrrev_b32 v3, 3, v31 :: v_dual_bitop2_b32 v96, 7, v54 bitop3:0x40
	s_mov_b32 s29, exec_lo
	v_cmpx_gt_u32_e32 8, v31
; %bb.160:                              ;   in Loop: Header=BB6_128 Depth=2
	s_delay_alu instid0(VALU_DEP_2) | instskip(NEXT) | instid1(VALU_DEP_1)
	v_clz_i32_u32_e32 v3, v96
	v_min_u32_e32 v3, 32, v3
	s_delay_alu instid0(VALU_DEP_1) | instskip(NEXT) | instid1(VALU_DEP_1)
	v_subrev_nc_u32_e32 v31, 28, v3
	v_lshlrev_b64_e32 v[54:55], v31, v[96:97]
	s_delay_alu instid0(VALU_DEP_1)
	v_dual_sub_nc_u32 v3, 29, v3 :: v_dual_bitop2_b32 v96, 7, v54 bitop3:0x40
; %bb.161:                              ;   in Loop: Header=BB6_128 Depth=2
	s_or_b32 exec_lo, exec_lo, s29
	v_lshlrev_b32_e32 v31, 16, v48
	s_delay_alu instid0(VALU_DEP_2) | instskip(NEXT) | instid1(VALU_DEP_3)
	v_lshlrev_b32_e32 v54, 20, v96
	v_lshl_add_u32 v3, v3, 23, 0x3c000000
	s_delay_alu instid0(VALU_DEP_3) | instskip(NEXT) | instid1(VALU_DEP_1)
	v_and_b32_e32 v31, 0x80000000, v31
	v_or3_b32 v3, v54, v31, v3
.LBB6_162:                              ;   in Loop: Header=BB6_128 Depth=2
	s_or_b32 exec_lo, exec_lo, s28
.LBB6_163:                              ;   in Loop: Header=BB6_128 Depth=2
	s_delay_alu instid0(SALU_CYCLE_1)
	s_or_b32 exec_lo, exec_lo, s27
.LBB6_164:                              ;   in Loop: Header=BB6_128 Depth=2
	s_delay_alu instid0(SALU_CYCLE_1) | instskip(SKIP_2) | instid1(VALU_DEP_1)
	s_or_b32 exec_lo, exec_lo, s10
	v_lshrrev_b16 v31, 8, v36
	s_mov_b32 s10, exec_lo
	v_cmpx_ne_u16_e32 0, v31
	s_cbranch_execz .LBB6_172
; %bb.165:                              ;   in Loop: Header=BB6_128 Depth=2
	v_bfrev_b32_e32 v2, 1
	s_mov_b32 s27, exec_lo
	v_cmpx_ne_u16_e32 0x80, v31
	s_cbranch_execz .LBB6_171
; %bb.166:                              ;   in Loop: Header=BB6_128 Depth=2
	v_and_b32_e32 v54, 0xffff, v31
	v_mov_b32_e32 v2, 0x7f800001
	s_mov_b32 s28, exec_lo
	s_delay_alu instid0(VALU_DEP_2) | instskip(NEXT) | instid1(VALU_DEP_1)
	v_and_b32_e32 v31, 0x7f, v54
	v_cmpx_ne_u32_e32 0x7f, v31
	s_cbranch_execz .LBB6_170
; %bb.167:                              ;   in Loop: Header=BB6_128 Depth=2
	v_dual_lshrrev_b32 v2, 3, v31 :: v_dual_bitop2_b32 v96, 7, v54 bitop3:0x40
	s_mov_b32 s29, exec_lo
	v_cmpx_gt_u32_e32 8, v31
; %bb.168:                              ;   in Loop: Header=BB6_128 Depth=2
	s_delay_alu instid0(VALU_DEP_2) | instskip(NEXT) | instid1(VALU_DEP_1)
	v_clz_i32_u32_e32 v2, v96
	v_min_u32_e32 v2, 32, v2
	s_delay_alu instid0(VALU_DEP_1) | instskip(SKIP_1) | instid1(VALU_DEP_2)
	v_subrev_nc_u32_e32 v31, 28, v2
	v_sub_nc_u32_e32 v2, 29, v2
	v_lshlrev_b64_e32 v[54:55], v31, v[96:97]
	s_delay_alu instid0(VALU_DEP_1)
	v_and_b32_e32 v96, 7, v54
; %bb.169:                              ;   in Loop: Header=BB6_128 Depth=2
	s_or_b32 exec_lo, exec_lo, s29
	v_lshlrev_b32_e32 v31, 16, v36
	s_delay_alu instid0(VALU_DEP_2) | instskip(SKIP_1) | instid1(VALU_DEP_3)
	v_lshlrev_b32_e32 v54, 20, v96
	v_lshl_add_u32 v2, v2, 23, 0x3c000000
	v_and_b32_e32 v31, 0x80000000, v31
	s_delay_alu instid0(VALU_DEP_1)
	v_or3_b32 v2, v54, v31, v2
.LBB6_170:                              ;   in Loop: Header=BB6_128 Depth=2
	s_or_b32 exec_lo, exec_lo, s28
.LBB6_171:                              ;   in Loop: Header=BB6_128 Depth=2
	s_delay_alu instid0(SALU_CYCLE_1)
	s_or_b32 exec_lo, exec_lo, s27
.LBB6_172:                              ;   in Loop: Header=BB6_128 Depth=2
	s_delay_alu instid0(SALU_CYCLE_1) | instskip(NEXT) | instid1(VALU_DEP_1)
	s_or_b32 exec_lo, exec_lo, s10
	v_mul_f32_e32 v3, v3, v2
                                        ; implicit-def: $vgpr79
	s_mov_b32 s10, exec_lo
	s_delay_alu instid0(VALU_DEP_1) | instskip(SKIP_1) | instid1(VALU_DEP_2)
	v_and_b32_e32 v96, 0x7f800000, v3
	v_lshrrev_b32_e32 v2, 24, v3
	v_cmpx_ne_u64_e32 0x7f800000, v[96:97]
	s_xor_b32 s27, exec_lo, s10
	s_cbranch_execz .LBB6_186
; %bb.173:                              ;   in Loop: Header=BB6_128 Depth=2
	v_and_b32_e32 v96, 0x7fffffff, v3
	v_and_b32_e32 v2, 0x80, v2
                                        ; implicit-def: $vgpr79
	s_mov_b32 s10, exec_lo
	s_delay_alu instid0(VALU_DEP_2)
	v_cmpx_gt_u64_e32 0x43e00001, v[96:97]
	s_xor_b32 s28, exec_lo, s10
	s_cbranch_execz .LBB6_183
; %bb.174:                              ;   in Loop: Header=BB6_128 Depth=2
	v_mov_b32_e32 v79, 0
	s_mov_b32 s29, exec_lo
	v_cmpx_ne_u32_e32 0, v3
	s_cbranch_execz .LBB6_182
; %bb.175:                              ;   in Loop: Header=BB6_128 Depth=2
	v_bfe_u32 v31, v3, 23, 8
	v_and_b32_e32 v3, 0x7fffff, v3
	s_delay_alu instid0(VALU_DEP_2) | instskip(SKIP_1) | instid1(VALU_DEP_3)
	v_sub_nc_u32_e32 v54, 0x79, v31
	v_cmp_gt_u32_e32 vcc_lo, 0x7a, v31
	v_or_b32_e32 v66, 0x800000, v3
	s_delay_alu instid0(VALU_DEP_3) | instskip(SKIP_1) | instid1(VALU_DEP_3)
	v_cndmask_b32_e32 v54, 0, v54, vcc_lo
	v_cmp_eq_u32_e32 vcc_lo, 0, v31
	v_cndmask_b32_e32 v96, v66, v3, vcc_lo
	s_delay_alu instid0(VALU_DEP_3) | instskip(NEXT) | instid1(VALU_DEP_1)
	v_cndmask_b32_e64 v54, v54, 0x78, vcc_lo
	v_add_nc_u32_e32 v55, 20, v54
	s_delay_alu instid0(VALU_DEP_3) | instskip(NEXT) | instid1(VALU_DEP_2)
	v_lshrrev_b64 v[60:61], v54, v[96:97]
	v_lshlrev_b64_e64 v[112:113], v55, -1
	v_add_nc_u32_e32 v55, 19, v54
	s_delay_alu instid0(VALU_DEP_1) | instskip(NEXT) | instid1(VALU_DEP_3)
	v_lshlrev_b64_e64 v[62:63], v55, 1
	v_bfi_b32 v113, v113, 0, 0
	s_delay_alu instid0(VALU_DEP_4) | instskip(NEXT) | instid1(VALU_DEP_1)
	v_bfi_b32 v112, v112, 0, v96
	v_cmp_eq_u64_e64 s10, v[112:113], v[62:63]
	v_mov_b64_e32 v[62:63], v[60:61]
	s_and_saveexec_b32 s40, s10
; %bb.176:                              ;   in Loop: Header=BB6_128 Depth=2
	v_bfe_u32 v96, v60, 20, 1
	s_delay_alu instid0(VALU_DEP_1) | instskip(NEXT) | instid1(VALU_DEP_1)
	v_add_nc_u64_e32 v[112:113], v[60:61], v[96:97]
	v_add_nc_u64_e32 v[62:63], -1, v[112:113]
; %bb.177:                              ;   in Loop: Header=BB6_128 Depth=2
	s_or_b32 exec_lo, exec_lo, s40
	v_add_nc_u32_e32 v3, 0xffffff81, v31
	v_lshrrev_b32_e32 v31, 23, v60
	s_mov_b32 s10, exec_lo
	s_delay_alu instid0(VALU_DEP_2) | instskip(NEXT) | instid1(VALU_DEP_1)
	v_cndmask_b32_e64 v3, v3, 0xffffff82, vcc_lo
	v_add3_u32 v31, v54, v3, v31
	v_and_b32_e32 v3, 0xfffff, v62
	s_delay_alu instid0(VALU_DEP_1) | instskip(NEXT) | instid1(VALU_DEP_1)
	v_dual_add_nc_u32 v54, 6, v31 :: v_dual_add_nc_u32 v96, v3, v60
                                        ; implicit-def: $vgpr60_vgpr61
                                        ; implicit-def: $vgpr3
	v_cmpx_ne_u32_e32 0, v54
	s_xor_b32 s10, exec_lo, s10
; %bb.178:                              ;   in Loop: Header=BB6_128 Depth=2
	s_delay_alu instid0(VALU_DEP_2) | instskip(SKIP_2) | instid1(VALU_DEP_2)
	v_cmp_lt_u64_e32 vcc_lo, 0xffffff, v[96:97]
	v_add_nc_u32_e32 v3, 7, v31
	v_cndmask_b32_e64 v31, 0, 1, vcc_lo
	v_cndmask_b32_e32 v3, v54, v3, vcc_lo
	s_delay_alu instid0(VALU_DEP_2)
	v_lshrrev_b64 v[60:61], v31, v[96:97]
; %bb.179:                              ;   in Loop: Header=BB6_128 Depth=2
	s_and_not1_saveexec_b32 s10, s10
; %bb.180:                              ;   in Loop: Header=BB6_128 Depth=2
	v_mov_b64_e32 v[60:61], v[96:97]
	v_bfe_u32 v3, v96, 23, 1
; %bb.181:                              ;   in Loop: Header=BB6_128 Depth=2
	s_or_b32 exec_lo, exec_lo, s10
	s_delay_alu instid0(VALU_DEP_2) | instskip(NEXT) | instid1(VALU_DEP_2)
	v_lshrrev_b64 v[54:55], 20, v[60:61]
	v_cmp_gt_i32_e32 vcc_lo, 16, v3
	v_min_i32_e32 v31, 15, v3
	v_cmp_eq_u32_e64 s10, 0, v3
	s_delay_alu instid0(VALU_DEP_2) | instskip(SKIP_1) | instid1(VALU_DEP_2)
	v_dual_cndmask_b32 v54, 7, v54 :: v_dual_lshlrev_b32 v31, 3, v31
	v_cndmask_b32_e32 v55, 0, v55, vcc_lo
	v_and_b32_e32 v31, 0xf8, v31
	s_delay_alu instid0(VALU_DEP_2) | instskip(NEXT) | instid1(VALU_DEP_2)
	v_cmp_eq_u64_e32 vcc_lo, 0, v[54:55]
	v_and_or_b32 v3, v54, 7, v31
	s_and_b32 s10, s10, vcc_lo
	s_delay_alu instid0(VALU_DEP_1) | instid1(SALU_CYCLE_1)
	v_cndmask_b32_e64 v3, v3, 0, s10
	s_delay_alu instid0(VALU_DEP_1)
	v_or_b32_e32 v79, v3, v2
.LBB6_182:                              ;   in Loop: Header=BB6_128 Depth=2
	s_or_b32 exec_lo, exec_lo, s29
                                        ; implicit-def: $vgpr2
.LBB6_183:                              ;   in Loop: Header=BB6_128 Depth=2
	s_and_not1_saveexec_b32 s10, s28
; %bb.184:                              ;   in Loop: Header=BB6_128 Depth=2
	v_or_b32_e32 v79, 0x7e, v2
; %bb.185:                              ;   in Loop: Header=BB6_128 Depth=2
	s_or_b32 exec_lo, exec_lo, s10
                                        ; implicit-def: $vgpr2
.LBB6_186:                              ;   in Loop: Header=BB6_128 Depth=2
	s_and_not1_saveexec_b32 s10, s27
; %bb.187:                              ;   in Loop: Header=BB6_128 Depth=2
	v_or_b32_e32 v79, 0x7f, v2
; %bb.188:                              ;   in Loop: Header=BB6_128 Depth=2
	s_or_b32 exec_lo, exec_lo, s10
	v_dual_mov_b32 v2, 0 :: v_dual_lshrrev_b32 v31, 16, v48
	v_mov_b32_e32 v3, 0
	s_mov_b32 s10, exec_lo
	s_delay_alu instid0(VALU_DEP_2) | instskip(NEXT) | instid1(VALU_DEP_1)
	v_and_b32_e32 v54, 0xff, v31
	v_cmpx_ne_u16_e32 0, v54
	s_cbranch_execz .LBB6_196
; %bb.189:                              ;   in Loop: Header=BB6_128 Depth=2
	v_bfrev_b32_e32 v3, 1
	s_mov_b32 s27, exec_lo
	v_cmpx_ne_u16_e32 0x80, v54
	s_cbranch_execz .LBB6_195
; %bb.190:                              ;   in Loop: Header=BB6_128 Depth=2
	v_bfe_u32 v54, v48, 16, 7
	v_mov_b32_e32 v3, 0x7f800001
	s_mov_b32 s28, exec_lo
	s_delay_alu instid0(VALU_DEP_2)
	v_cmpx_ne_u32_e32 0x7f, v54
	s_cbranch_execz .LBB6_194
; %bb.191:                              ;   in Loop: Header=BB6_128 Depth=2
	v_dual_lshrrev_b32 v3, 3, v54 :: v_dual_bitop2_b32 v96, 7, v31 bitop3:0x40
	s_mov_b32 s29, exec_lo
	v_cmpx_gt_u32_e32 8, v54
; %bb.192:                              ;   in Loop: Header=BB6_128 Depth=2
	s_delay_alu instid0(VALU_DEP_2) | instskip(NEXT) | instid1(VALU_DEP_1)
	v_clz_i32_u32_e32 v3, v96
	v_min_u32_e32 v3, 32, v3
	s_delay_alu instid0(VALU_DEP_1) | instskip(NEXT) | instid1(VALU_DEP_1)
	v_subrev_nc_u32_e32 v54, 28, v3
	v_lshlrev_b64_e32 v[54:55], v54, v[96:97]
	s_delay_alu instid0(VALU_DEP_1)
	v_dual_sub_nc_u32 v3, 29, v3 :: v_dual_bitop2_b32 v96, 7, v54 bitop3:0x40
; %bb.193:                              ;   in Loop: Header=BB6_128 Depth=2
	s_or_b32 exec_lo, exec_lo, s29
	s_delay_alu instid0(VALU_DEP_1) | instskip(NEXT) | instid1(VALU_DEP_2)
	v_dual_lshlrev_b32 v31, 24, v31 :: v_dual_lshlrev_b32 v54, 20, v96
	v_lshl_add_u32 v3, v3, 23, 0x3c000000
	s_delay_alu instid0(VALU_DEP_2) | instskip(NEXT) | instid1(VALU_DEP_1)
	v_and_b32_e32 v31, 0x80000000, v31
	v_or3_b32 v3, v54, v31, v3
.LBB6_194:                              ;   in Loop: Header=BB6_128 Depth=2
	s_or_b32 exec_lo, exec_lo, s28
.LBB6_195:                              ;   in Loop: Header=BB6_128 Depth=2
	s_delay_alu instid0(SALU_CYCLE_1)
	s_or_b32 exec_lo, exec_lo, s27
.LBB6_196:                              ;   in Loop: Header=BB6_128 Depth=2
	s_delay_alu instid0(SALU_CYCLE_1) | instskip(SKIP_2) | instid1(VALU_DEP_1)
	s_or_b32 exec_lo, exec_lo, s10
	v_lshrrev_b32_e32 v31, 16, v36
	s_mov_b32 s10, exec_lo
	v_and_b32_e32 v54, 0xff, v31
	s_delay_alu instid0(VALU_DEP_1)
	v_cmpx_ne_u16_e32 0, v54
	s_cbranch_execz .LBB6_204
; %bb.197:                              ;   in Loop: Header=BB6_128 Depth=2
	v_bfrev_b32_e32 v2, 1
	s_mov_b32 s27, exec_lo
	v_cmpx_ne_u16_e32 0x80, v54
	s_cbranch_execz .LBB6_203
; %bb.198:                              ;   in Loop: Header=BB6_128 Depth=2
	v_bfe_u32 v54, v36, 16, 7
	v_mov_b32_e32 v2, 0x7f800001
	s_mov_b32 s28, exec_lo
	s_delay_alu instid0(VALU_DEP_2)
	v_cmpx_ne_u32_e32 0x7f, v54
	s_cbranch_execz .LBB6_202
; %bb.199:                              ;   in Loop: Header=BB6_128 Depth=2
	v_dual_lshrrev_b32 v2, 3, v54 :: v_dual_bitop2_b32 v96, 7, v31 bitop3:0x40
	s_mov_b32 s29, exec_lo
	v_cmpx_gt_u32_e32 8, v54
; %bb.200:                              ;   in Loop: Header=BB6_128 Depth=2
	s_delay_alu instid0(VALU_DEP_2) | instskip(NEXT) | instid1(VALU_DEP_1)
	v_clz_i32_u32_e32 v2, v96
	v_min_u32_e32 v2, 32, v2
	s_delay_alu instid0(VALU_DEP_1) | instskip(SKIP_1) | instid1(VALU_DEP_2)
	v_subrev_nc_u32_e32 v31, 28, v2
	v_sub_nc_u32_e32 v2, 29, v2
	v_lshlrev_b64_e32 v[54:55], v31, v[96:97]
	s_delay_alu instid0(VALU_DEP_1)
	v_and_b32_e32 v96, 7, v54
; %bb.201:                              ;   in Loop: Header=BB6_128 Depth=2
	s_or_b32 exec_lo, exec_lo, s29
	v_lshlrev_b32_e32 v31, 8, v36
	s_delay_alu instid0(VALU_DEP_2) | instskip(SKIP_1) | instid1(VALU_DEP_3)
	v_lshlrev_b32_e32 v54, 20, v96
	v_lshl_add_u32 v2, v2, 23, 0x3c000000
	v_and_b32_e32 v31, 0x80000000, v31
	s_delay_alu instid0(VALU_DEP_1)
	v_or3_b32 v2, v54, v31, v2
.LBB6_202:                              ;   in Loop: Header=BB6_128 Depth=2
	s_or_b32 exec_lo, exec_lo, s28
.LBB6_203:                              ;   in Loop: Header=BB6_128 Depth=2
	s_delay_alu instid0(SALU_CYCLE_1)
	s_or_b32 exec_lo, exec_lo, s27
.LBB6_204:                              ;   in Loop: Header=BB6_128 Depth=2
	s_delay_alu instid0(SALU_CYCLE_1) | instskip(NEXT) | instid1(VALU_DEP_1)
	s_or_b32 exec_lo, exec_lo, s10
	v_mul_f32_e32 v3, v3, v2
                                        ; implicit-def: $vgpr88
	s_mov_b32 s10, exec_lo
	s_delay_alu instid0(VALU_DEP_1) | instskip(SKIP_1) | instid1(VALU_DEP_2)
	v_and_b32_e32 v96, 0x7f800000, v3
	v_lshrrev_b32_e32 v2, 24, v3
	v_cmpx_ne_u64_e32 0x7f800000, v[96:97]
	s_xor_b32 s27, exec_lo, s10
	s_cbranch_execz .LBB6_218
; %bb.205:                              ;   in Loop: Header=BB6_128 Depth=2
	v_and_b32_e32 v96, 0x7fffffff, v3
	v_and_b32_e32 v2, 0x80, v2
                                        ; implicit-def: $vgpr88
	s_mov_b32 s10, exec_lo
	s_delay_alu instid0(VALU_DEP_2)
	v_cmpx_gt_u64_e32 0x43e00001, v[96:97]
	s_xor_b32 s28, exec_lo, s10
	s_cbranch_execz .LBB6_215
; %bb.206:                              ;   in Loop: Header=BB6_128 Depth=2
	v_mov_b32_e32 v88, 0
	s_mov_b32 s29, exec_lo
	v_cmpx_ne_u32_e32 0, v3
	s_cbranch_execz .LBB6_214
; %bb.207:                              ;   in Loop: Header=BB6_128 Depth=2
	v_bfe_u32 v31, v3, 23, 8
	v_and_b32_e32 v3, 0x7fffff, v3
	s_delay_alu instid0(VALU_DEP_2) | instskip(SKIP_1) | instid1(VALU_DEP_3)
	v_sub_nc_u32_e32 v54, 0x79, v31
	v_cmp_gt_u32_e32 vcc_lo, 0x7a, v31
	v_or_b32_e32 v66, 0x800000, v3
	s_delay_alu instid0(VALU_DEP_3) | instskip(SKIP_1) | instid1(VALU_DEP_3)
	v_cndmask_b32_e32 v54, 0, v54, vcc_lo
	v_cmp_eq_u32_e32 vcc_lo, 0, v31
	v_cndmask_b32_e32 v96, v66, v3, vcc_lo
	s_delay_alu instid0(VALU_DEP_3) | instskip(NEXT) | instid1(VALU_DEP_1)
	v_cndmask_b32_e64 v54, v54, 0x78, vcc_lo
	v_add_nc_u32_e32 v55, 20, v54
	s_delay_alu instid0(VALU_DEP_3) | instskip(NEXT) | instid1(VALU_DEP_2)
	v_lshrrev_b64 v[60:61], v54, v[96:97]
	v_lshlrev_b64_e64 v[112:113], v55, -1
	v_add_nc_u32_e32 v55, 19, v54
	s_delay_alu instid0(VALU_DEP_1) | instskip(NEXT) | instid1(VALU_DEP_3)
	v_lshlrev_b64_e64 v[62:63], v55, 1
	v_bfi_b32 v113, v113, 0, 0
	s_delay_alu instid0(VALU_DEP_4) | instskip(NEXT) | instid1(VALU_DEP_1)
	v_bfi_b32 v112, v112, 0, v96
	v_cmp_eq_u64_e64 s10, v[112:113], v[62:63]
	v_mov_b64_e32 v[62:63], v[60:61]
	s_and_saveexec_b32 s40, s10
; %bb.208:                              ;   in Loop: Header=BB6_128 Depth=2
	v_bfe_u32 v96, v60, 20, 1
	s_delay_alu instid0(VALU_DEP_1) | instskip(NEXT) | instid1(VALU_DEP_1)
	v_add_nc_u64_e32 v[112:113], v[60:61], v[96:97]
	v_add_nc_u64_e32 v[62:63], -1, v[112:113]
; %bb.209:                              ;   in Loop: Header=BB6_128 Depth=2
	s_or_b32 exec_lo, exec_lo, s40
	v_add_nc_u32_e32 v3, 0xffffff81, v31
	v_lshrrev_b32_e32 v31, 23, v60
	s_mov_b32 s10, exec_lo
	s_delay_alu instid0(VALU_DEP_2) | instskip(NEXT) | instid1(VALU_DEP_1)
	v_cndmask_b32_e64 v3, v3, 0xffffff82, vcc_lo
	v_add3_u32 v31, v54, v3, v31
	v_and_b32_e32 v3, 0xfffff, v62
	s_delay_alu instid0(VALU_DEP_1) | instskip(NEXT) | instid1(VALU_DEP_1)
	v_dual_add_nc_u32 v54, 6, v31 :: v_dual_add_nc_u32 v96, v3, v60
                                        ; implicit-def: $vgpr60_vgpr61
                                        ; implicit-def: $vgpr3
	v_cmpx_ne_u32_e32 0, v54
	s_xor_b32 s10, exec_lo, s10
; %bb.210:                              ;   in Loop: Header=BB6_128 Depth=2
	s_delay_alu instid0(VALU_DEP_2) | instskip(SKIP_2) | instid1(VALU_DEP_2)
	v_cmp_lt_u64_e32 vcc_lo, 0xffffff, v[96:97]
	v_add_nc_u32_e32 v3, 7, v31
	v_cndmask_b32_e64 v31, 0, 1, vcc_lo
	v_cndmask_b32_e32 v3, v54, v3, vcc_lo
	s_delay_alu instid0(VALU_DEP_2)
	v_lshrrev_b64 v[60:61], v31, v[96:97]
; %bb.211:                              ;   in Loop: Header=BB6_128 Depth=2
	s_and_not1_saveexec_b32 s10, s10
; %bb.212:                              ;   in Loop: Header=BB6_128 Depth=2
	v_mov_b64_e32 v[60:61], v[96:97]
	v_bfe_u32 v3, v96, 23, 1
; %bb.213:                              ;   in Loop: Header=BB6_128 Depth=2
	s_or_b32 exec_lo, exec_lo, s10
	s_delay_alu instid0(VALU_DEP_2) | instskip(NEXT) | instid1(VALU_DEP_2)
	v_lshrrev_b64 v[54:55], 20, v[60:61]
	v_cmp_gt_i32_e32 vcc_lo, 16, v3
	v_min_i32_e32 v31, 15, v3
	v_cmp_eq_u32_e64 s10, 0, v3
	s_delay_alu instid0(VALU_DEP_2) | instskip(SKIP_1) | instid1(VALU_DEP_2)
	v_dual_cndmask_b32 v54, 7, v54 :: v_dual_lshlrev_b32 v31, 3, v31
	v_cndmask_b32_e32 v55, 0, v55, vcc_lo
	v_and_b32_e32 v31, 0xf8, v31
	s_delay_alu instid0(VALU_DEP_2) | instskip(NEXT) | instid1(VALU_DEP_2)
	v_cmp_eq_u64_e32 vcc_lo, 0, v[54:55]
	v_and_or_b32 v3, v54, 7, v31
	s_and_b32 s10, s10, vcc_lo
	s_delay_alu instid0(VALU_DEP_1) | instid1(SALU_CYCLE_1)
	v_cndmask_b32_e64 v3, v3, 0, s10
	s_delay_alu instid0(VALU_DEP_1)
	v_or_b32_e32 v88, v3, v2
.LBB6_214:                              ;   in Loop: Header=BB6_128 Depth=2
	s_or_b32 exec_lo, exec_lo, s29
                                        ; implicit-def: $vgpr2
.LBB6_215:                              ;   in Loop: Header=BB6_128 Depth=2
	s_and_not1_saveexec_b32 s10, s28
; %bb.216:                              ;   in Loop: Header=BB6_128 Depth=2
	v_or_b32_e32 v88, 0x7e, v2
; %bb.217:                              ;   in Loop: Header=BB6_128 Depth=2
	s_or_b32 exec_lo, exec_lo, s10
                                        ; implicit-def: $vgpr2
.LBB6_218:                              ;   in Loop: Header=BB6_128 Depth=2
	s_and_not1_saveexec_b32 s10, s27
; %bb.219:                              ;   in Loop: Header=BB6_128 Depth=2
	v_or_b32_e32 v88, 0x7f, v2
; %bb.220:                              ;   in Loop: Header=BB6_128 Depth=2
	s_or_b32 exec_lo, exec_lo, s10
	v_dual_mov_b32 v2, 0 :: v_dual_mov_b32 v3, 0
	s_mov_b32 s10, exec_lo
	v_cmpx_lt_u32_e32 0xffffff, v48
	s_cbranch_execz .LBB6_228
; %bb.221:                              ;   in Loop: Header=BB6_128 Depth=2
	v_lshrrev_b32_e32 v31, 24, v48
	v_bfrev_b32_e32 v3, 1
	s_mov_b32 s27, exec_lo
	s_delay_alu instid0(VALU_DEP_2)
	v_cmpx_ne_u32_e32 0x80, v31
	s_cbranch_execz .LBB6_227
; %bb.222:                              ;   in Loop: Header=BB6_128 Depth=2
	v_bfe_u32 v54, v48, 24, 7
	v_mov_b32_e32 v3, 0x7f800001
	s_mov_b32 s28, exec_lo
	s_delay_alu instid0(VALU_DEP_2)
	v_cmpx_ne_u32_e32 0x7f, v54
	s_cbranch_execz .LBB6_226
; %bb.223:                              ;   in Loop: Header=BB6_128 Depth=2
	v_dual_lshrrev_b32 v3, 3, v54 :: v_dual_bitop2_b32 v96, 7, v31 bitop3:0x40
	s_mov_b32 s29, exec_lo
	v_cmpx_gt_u32_e32 8, v54
; %bb.224:                              ;   in Loop: Header=BB6_128 Depth=2
	s_delay_alu instid0(VALU_DEP_2) | instskip(NEXT) | instid1(VALU_DEP_1)
	v_clz_i32_u32_e32 v3, v96
	v_min_u32_e32 v3, 32, v3
	s_delay_alu instid0(VALU_DEP_1) | instskip(NEXT) | instid1(VALU_DEP_1)
	v_subrev_nc_u32_e32 v54, 28, v3
	v_lshlrev_b64_e32 v[54:55], v54, v[96:97]
	s_delay_alu instid0(VALU_DEP_1)
	v_dual_sub_nc_u32 v3, 29, v3 :: v_dual_bitop2_b32 v96, 7, v54 bitop3:0x40
; %bb.225:                              ;   in Loop: Header=BB6_128 Depth=2
	s_or_b32 exec_lo, exec_lo, s29
	s_delay_alu instid0(VALU_DEP_1) | instskip(NEXT) | instid1(VALU_DEP_2)
	v_dual_lshlrev_b32 v31, 24, v31 :: v_dual_lshlrev_b32 v54, 20, v96
	v_lshl_add_u32 v3, v3, 23, 0x3c000000
	s_delay_alu instid0(VALU_DEP_2) | instskip(NEXT) | instid1(VALU_DEP_1)
	v_and_b32_e32 v31, 0x80000000, v31
	v_or3_b32 v3, v54, v31, v3
.LBB6_226:                              ;   in Loop: Header=BB6_128 Depth=2
	s_or_b32 exec_lo, exec_lo, s28
.LBB6_227:                              ;   in Loop: Header=BB6_128 Depth=2
	s_delay_alu instid0(SALU_CYCLE_1)
	s_or_b32 exec_lo, exec_lo, s27
.LBB6_228:                              ;   in Loop: Header=BB6_128 Depth=2
	s_delay_alu instid0(SALU_CYCLE_1) | instskip(NEXT) | instid1(SALU_CYCLE_1)
	s_or_b32 exec_lo, exec_lo, s10
	s_mov_b32 s10, exec_lo
	v_cmpx_lt_u32_e32 0xffffff, v36
	s_cbranch_execz .LBB6_236
; %bb.229:                              ;   in Loop: Header=BB6_128 Depth=2
	v_lshrrev_b32_e32 v31, 24, v36
	v_bfrev_b32_e32 v2, 1
	s_mov_b32 s27, exec_lo
	s_delay_alu instid0(VALU_DEP_2)
	v_cmpx_ne_u32_e32 0x80, v31
	s_cbranch_execz .LBB6_235
; %bb.230:                              ;   in Loop: Header=BB6_128 Depth=2
	v_bfe_u32 v54, v36, 24, 7
	v_mov_b32_e32 v2, 0x7f800001
	s_mov_b32 s28, exec_lo
	s_delay_alu instid0(VALU_DEP_2)
	v_cmpx_ne_u32_e32 0x7f, v54
	s_cbranch_execz .LBB6_234
; %bb.231:                              ;   in Loop: Header=BB6_128 Depth=2
	v_dual_lshrrev_b32 v2, 3, v54 :: v_dual_bitop2_b32 v96, 7, v31 bitop3:0x40
	s_mov_b32 s29, exec_lo
	v_cmpx_gt_u32_e32 8, v54
; %bb.232:                              ;   in Loop: Header=BB6_128 Depth=2
	s_delay_alu instid0(VALU_DEP_2) | instskip(NEXT) | instid1(VALU_DEP_1)
	v_clz_i32_u32_e32 v2, v96
	v_min_u32_e32 v2, 32, v2
	s_delay_alu instid0(VALU_DEP_1) | instskip(SKIP_1) | instid1(VALU_DEP_2)
	v_subrev_nc_u32_e32 v54, 28, v2
	v_sub_nc_u32_e32 v2, 29, v2
	v_lshlrev_b64_e32 v[54:55], v54, v[96:97]
	s_delay_alu instid0(VALU_DEP_1)
	v_and_b32_e32 v96, 7, v54
; %bb.233:                              ;   in Loop: Header=BB6_128 Depth=2
	s_or_b32 exec_lo, exec_lo, s29
	s_delay_alu instid0(VALU_DEP_1) | instskip(SKIP_1) | instid1(VALU_DEP_2)
	v_dual_lshlrev_b32 v31, 24, v31 :: v_dual_lshlrev_b32 v54, 20, v96
	v_lshl_add_u32 v2, v2, 23, 0x3c000000
	v_and_b32_e32 v31, 0x80000000, v31
	s_delay_alu instid0(VALU_DEP_1)
	v_or3_b32 v2, v54, v31, v2
.LBB6_234:                              ;   in Loop: Header=BB6_128 Depth=2
	s_or_b32 exec_lo, exec_lo, s28
.LBB6_235:                              ;   in Loop: Header=BB6_128 Depth=2
	s_delay_alu instid0(SALU_CYCLE_1)
	s_or_b32 exec_lo, exec_lo, s27
.LBB6_236:                              ;   in Loop: Header=BB6_128 Depth=2
	s_delay_alu instid0(SALU_CYCLE_1) | instskip(NEXT) | instid1(VALU_DEP_1)
	s_or_b32 exec_lo, exec_lo, s10
	v_mul_f32_e32 v3, v3, v2
                                        ; implicit-def: $vgpr89
	s_mov_b32 s10, exec_lo
	s_delay_alu instid0(VALU_DEP_1) | instskip(SKIP_1) | instid1(VALU_DEP_2)
	v_and_b32_e32 v96, 0x7f800000, v3
	v_lshrrev_b32_e32 v2, 24, v3
	v_cmpx_ne_u64_e32 0x7f800000, v[96:97]
	s_xor_b32 s27, exec_lo, s10
	s_cbranch_execz .LBB6_250
; %bb.237:                              ;   in Loop: Header=BB6_128 Depth=2
	v_and_b32_e32 v96, 0x7fffffff, v3
	v_and_b32_e32 v2, 0x80, v2
                                        ; implicit-def: $vgpr89
	s_mov_b32 s10, exec_lo
	s_delay_alu instid0(VALU_DEP_2)
	v_cmpx_gt_u64_e32 0x43e00001, v[96:97]
	s_xor_b32 s28, exec_lo, s10
	s_cbranch_execz .LBB6_247
; %bb.238:                              ;   in Loop: Header=BB6_128 Depth=2
	v_mov_b32_e32 v89, 0
	s_mov_b32 s29, exec_lo
	v_cmpx_ne_u32_e32 0, v3
	s_cbranch_execz .LBB6_246
; %bb.239:                              ;   in Loop: Header=BB6_128 Depth=2
	v_bfe_u32 v31, v3, 23, 8
	v_and_b32_e32 v3, 0x7fffff, v3
	s_delay_alu instid0(VALU_DEP_2) | instskip(SKIP_1) | instid1(VALU_DEP_3)
	v_sub_nc_u32_e32 v54, 0x79, v31
	v_cmp_gt_u32_e32 vcc_lo, 0x7a, v31
	v_or_b32_e32 v66, 0x800000, v3
	s_delay_alu instid0(VALU_DEP_3) | instskip(SKIP_1) | instid1(VALU_DEP_3)
	v_cndmask_b32_e32 v54, 0, v54, vcc_lo
	v_cmp_eq_u32_e32 vcc_lo, 0, v31
	v_cndmask_b32_e32 v96, v66, v3, vcc_lo
	s_delay_alu instid0(VALU_DEP_3) | instskip(NEXT) | instid1(VALU_DEP_1)
	v_cndmask_b32_e64 v54, v54, 0x78, vcc_lo
	v_add_nc_u32_e32 v55, 20, v54
	s_delay_alu instid0(VALU_DEP_3) | instskip(NEXT) | instid1(VALU_DEP_2)
	v_lshrrev_b64 v[60:61], v54, v[96:97]
	v_lshlrev_b64_e64 v[112:113], v55, -1
	v_add_nc_u32_e32 v55, 19, v54
	s_delay_alu instid0(VALU_DEP_1) | instskip(NEXT) | instid1(VALU_DEP_3)
	v_lshlrev_b64_e64 v[62:63], v55, 1
	v_bfi_b32 v113, v113, 0, 0
	s_delay_alu instid0(VALU_DEP_4) | instskip(NEXT) | instid1(VALU_DEP_1)
	v_bfi_b32 v112, v112, 0, v96
	v_cmp_eq_u64_e64 s10, v[112:113], v[62:63]
	v_mov_b64_e32 v[62:63], v[60:61]
	s_and_saveexec_b32 s40, s10
; %bb.240:                              ;   in Loop: Header=BB6_128 Depth=2
	v_bfe_u32 v96, v60, 20, 1
	s_delay_alu instid0(VALU_DEP_1) | instskip(NEXT) | instid1(VALU_DEP_1)
	v_add_nc_u64_e32 v[112:113], v[60:61], v[96:97]
	v_add_nc_u64_e32 v[62:63], -1, v[112:113]
; %bb.241:                              ;   in Loop: Header=BB6_128 Depth=2
	s_or_b32 exec_lo, exec_lo, s40
	v_add_nc_u32_e32 v3, 0xffffff81, v31
	v_lshrrev_b32_e32 v31, 23, v60
	s_mov_b32 s10, exec_lo
	s_delay_alu instid0(VALU_DEP_2) | instskip(NEXT) | instid1(VALU_DEP_1)
	v_cndmask_b32_e64 v3, v3, 0xffffff82, vcc_lo
	v_add3_u32 v31, v54, v3, v31
	v_and_b32_e32 v3, 0xfffff, v62
	s_delay_alu instid0(VALU_DEP_1) | instskip(NEXT) | instid1(VALU_DEP_1)
	v_dual_add_nc_u32 v54, 6, v31 :: v_dual_add_nc_u32 v96, v3, v60
                                        ; implicit-def: $vgpr60_vgpr61
                                        ; implicit-def: $vgpr3
	v_cmpx_ne_u32_e32 0, v54
	s_xor_b32 s10, exec_lo, s10
; %bb.242:                              ;   in Loop: Header=BB6_128 Depth=2
	s_delay_alu instid0(VALU_DEP_2) | instskip(SKIP_2) | instid1(VALU_DEP_2)
	v_cmp_lt_u64_e32 vcc_lo, 0xffffff, v[96:97]
	v_add_nc_u32_e32 v3, 7, v31
	v_cndmask_b32_e64 v31, 0, 1, vcc_lo
	v_cndmask_b32_e32 v3, v54, v3, vcc_lo
	s_delay_alu instid0(VALU_DEP_2)
	v_lshrrev_b64 v[60:61], v31, v[96:97]
; %bb.243:                              ;   in Loop: Header=BB6_128 Depth=2
	s_and_not1_saveexec_b32 s10, s10
; %bb.244:                              ;   in Loop: Header=BB6_128 Depth=2
	v_mov_b64_e32 v[60:61], v[96:97]
	v_bfe_u32 v3, v96, 23, 1
; %bb.245:                              ;   in Loop: Header=BB6_128 Depth=2
	s_or_b32 exec_lo, exec_lo, s10
	s_delay_alu instid0(VALU_DEP_2) | instskip(NEXT) | instid1(VALU_DEP_2)
	v_lshrrev_b64 v[54:55], 20, v[60:61]
	v_cmp_gt_i32_e32 vcc_lo, 16, v3
	v_min_i32_e32 v31, 15, v3
	v_cmp_eq_u32_e64 s10, 0, v3
	s_delay_alu instid0(VALU_DEP_2) | instskip(SKIP_1) | instid1(VALU_DEP_2)
	v_dual_cndmask_b32 v54, 7, v54 :: v_dual_lshlrev_b32 v31, 3, v31
	v_cndmask_b32_e32 v55, 0, v55, vcc_lo
	v_and_b32_e32 v31, 0xf8, v31
	s_delay_alu instid0(VALU_DEP_2) | instskip(NEXT) | instid1(VALU_DEP_2)
	v_cmp_eq_u64_e32 vcc_lo, 0, v[54:55]
	v_and_or_b32 v3, v54, 7, v31
	s_and_b32 s10, s10, vcc_lo
	s_delay_alu instid0(VALU_DEP_1) | instid1(SALU_CYCLE_1)
	v_cndmask_b32_e64 v3, v3, 0, s10
	s_delay_alu instid0(VALU_DEP_1)
	v_or_b32_e32 v89, v3, v2
.LBB6_246:                              ;   in Loop: Header=BB6_128 Depth=2
	s_or_b32 exec_lo, exec_lo, s29
                                        ; implicit-def: $vgpr2
.LBB6_247:                              ;   in Loop: Header=BB6_128 Depth=2
	s_and_not1_saveexec_b32 s10, s28
; %bb.248:                              ;   in Loop: Header=BB6_128 Depth=2
	v_or_b32_e32 v89, 0x7e, v2
; %bb.249:                              ;   in Loop: Header=BB6_128 Depth=2
	s_or_b32 exec_lo, exec_lo, s10
                                        ; implicit-def: $vgpr2
.LBB6_250:                              ;   in Loop: Header=BB6_128 Depth=2
	s_and_not1_saveexec_b32 s10, s27
; %bb.251:                              ;   in Loop: Header=BB6_128 Depth=2
	v_or_b32_e32 v89, 0x7f, v2
; %bb.252:                              ;   in Loop: Header=BB6_128 Depth=2
	s_or_b32 exec_lo, exec_lo, s10
	v_and_b32_e32 v31, 0xff, v49
	v_dual_mov_b32 v96, v49 :: v_dual_mov_b32 v3, 0
	v_mov_b32_e32 v2, 0
	s_mov_b32 s10, exec_lo
	s_delay_alu instid0(VALU_DEP_3)
	v_cmpx_ne_u16_e32 0, v31
	s_cbranch_execz .LBB6_258
; %bb.253:                              ;   in Loop: Header=BB6_128 Depth=2
	v_bfrev_b32_e32 v2, 1
	s_mov_b32 s27, exec_lo
	v_cmpx_ne_u16_e32 0x80, v31
	s_cbranch_execz .LBB6_257
; %bb.254:                              ;   in Loop: Header=BB6_128 Depth=2
	v_and_b32_e32 v31, 0x7f, v49
	v_mov_b32_e32 v2, 0x7f800001
	s_mov_b32 s28, exec_lo
	s_delay_alu instid0(VALU_DEP_2)
	v_cmpx_ne_u32_e32 0x7f, v31
	s_cbranch_execz .LBB6_256
; %bb.255:                              ;   in Loop: Header=BB6_128 Depth=2
	v_dual_lshrrev_b32 v54, 3, v31 :: v_dual_bitop2_b32 v2, 7, v49 bitop3:0x40
	v_cmp_gt_u32_e32 vcc_lo, 8, v31
	s_delay_alu instid0(VALU_DEP_2) | instskip(NEXT) | instid1(VALU_DEP_1)
	v_clz_i32_u32_e32 v2, v2
	v_min_u32_e32 v2, 32, v2
	s_delay_alu instid0(VALU_DEP_1) | instskip(NEXT) | instid1(VALU_DEP_1)
	v_subrev_nc_u32_e32 v55, 28, v2
	v_dual_cndmask_b32 v31, 0, v55 :: v_dual_sub_nc_u32 v2, 29, v2
	s_delay_alu instid0(VALU_DEP_1) | instskip(NEXT) | instid1(VALU_DEP_2)
	v_cndmask_b32_e32 v2, v54, v2, vcc_lo
	v_lshlrev_b64_e32 v[54:55], v31, v[96:97]
	v_lshlrev_b32_e32 v31, 24, v96
	s_delay_alu instid0(VALU_DEP_3) | instskip(NEXT) | instid1(VALU_DEP_2)
	v_lshl_add_u32 v2, v2, 23, 0x3c000000
	v_and_b32_e32 v31, 0x80000000, v31
	s_delay_alu instid0(VALU_DEP_4) | instskip(NEXT) | instid1(VALU_DEP_1)
	v_lshlrev_b32_e32 v54, 20, v54
	v_and_b32_e32 v54, 0x700000, v54
	s_delay_alu instid0(VALU_DEP_1)
	v_or3_b32 v2, v54, v31, v2
.LBB6_256:                              ;   in Loop: Header=BB6_128 Depth=2
	s_or_b32 exec_lo, exec_lo, s28
.LBB6_257:                              ;   in Loop: Header=BB6_128 Depth=2
	s_delay_alu instid0(SALU_CYCLE_1)
	s_or_b32 exec_lo, exec_lo, s27
.LBB6_258:                              ;   in Loop: Header=BB6_128 Depth=2
	s_delay_alu instid0(SALU_CYCLE_1) | instskip(SKIP_2) | instid1(VALU_DEP_1)
	s_or_b32 exec_lo, exec_lo, s10
	v_and_b32_e32 v31, 0xff, v37
	s_mov_b32 s10, exec_lo
	v_cmpx_ne_u16_e32 0, v31
	s_cbranch_execz .LBB6_264
; %bb.259:                              ;   in Loop: Header=BB6_128 Depth=2
	v_bfrev_b32_e32 v3, 1
	s_mov_b32 s27, exec_lo
	v_cmpx_ne_u16_e32 0x80, v31
	s_cbranch_execz .LBB6_263
; %bb.260:                              ;   in Loop: Header=BB6_128 Depth=2
	v_and_b32_e32 v31, 0x7f, v37
	v_mov_b32_e32 v3, 0x7f800001
	s_mov_b32 s28, exec_lo
	s_delay_alu instid0(VALU_DEP_2)
	v_cmpx_ne_u32_e32 0x7f, v31
	s_cbranch_execz .LBB6_262
; %bb.261:                              ;   in Loop: Header=BB6_128 Depth=2
	v_dual_lshrrev_b32 v66, 3, v31 :: v_dual_bitop2_b32 v3, 7, v37 bitop3:0x40
	v_cmp_gt_u32_e32 vcc_lo, 8, v31
	v_mov_b32_e32 v54, v37
	s_delay_alu instid0(VALU_DEP_3) | instskip(NEXT) | instid1(VALU_DEP_1)
	v_clz_i32_u32_e32 v3, v3
	v_min_u32_e32 v3, 32, v3
	s_delay_alu instid0(VALU_DEP_1) | instskip(SKIP_1) | instid1(VALU_DEP_2)
	v_sub_nc_u32_e32 v67, 29, v3
	v_subrev_nc_u32_e32 v3, 28, v3
	v_dual_mov_b32 v55, v97 :: v_dual_cndmask_b32 v31, v66, v67, vcc_lo
	s_delay_alu instid0(VALU_DEP_2) | instskip(NEXT) | instid1(VALU_DEP_2)
	v_cndmask_b32_e32 v3, 0, v3, vcc_lo
	v_lshl_add_u32 v31, v31, 23, 0x3c000000
	s_delay_alu instid0(VALU_DEP_2) | instskip(SKIP_1) | instid1(VALU_DEP_1)
	v_lshlrev_b64_e32 v[112:113], v3, v[54:55]
	v_lshlrev_b32_e32 v3, 24, v54
	v_and_b32_e32 v3, 0x80000000, v3
	s_delay_alu instid0(VALU_DEP_3) | instskip(NEXT) | instid1(VALU_DEP_1)
	v_lshlrev_b32_e32 v54, 20, v112
	v_and_b32_e32 v54, 0x700000, v54
	s_delay_alu instid0(VALU_DEP_1)
	v_or3_b32 v3, v54, v3, v31
.LBB6_262:                              ;   in Loop: Header=BB6_128 Depth=2
	s_or_b32 exec_lo, exec_lo, s28
.LBB6_263:                              ;   in Loop: Header=BB6_128 Depth=2
	s_delay_alu instid0(SALU_CYCLE_1)
	s_or_b32 exec_lo, exec_lo, s27
.LBB6_264:                              ;   in Loop: Header=BB6_128 Depth=2
	s_delay_alu instid0(SALU_CYCLE_1) | instskip(NEXT) | instid1(VALU_DEP_1)
	s_or_b32 exec_lo, exec_lo, s10
	v_dual_mul_f32 v3, v2, v3 :: v_dual_mov_b32 v55, v97
                                        ; implicit-def: $vgpr90
	s_mov_b32 s10, exec_lo
	s_delay_alu instid0(VALU_DEP_1) | instskip(SKIP_1) | instid1(VALU_DEP_2)
	v_and_b32_e32 v54, 0x7f800000, v3
	v_lshrrev_b32_e32 v2, 24, v3
	v_cmpx_ne_u64_e32 0x7f800000, v[54:55]
	s_xor_b32 s27, exec_lo, s10
	s_cbranch_execz .LBB6_278
; %bb.265:                              ;   in Loop: Header=BB6_128 Depth=2
	v_and_b32_e32 v54, 0x7fffffff, v3
	v_mov_b32_e32 v55, v97
	v_and_b32_e32 v2, 0x80, v2
                                        ; implicit-def: $vgpr90
	s_mov_b32 s10, exec_lo
	s_delay_alu instid0(VALU_DEP_2)
	v_cmpx_gt_u64_e32 0x43e00001, v[54:55]
	s_xor_b32 s28, exec_lo, s10
	s_cbranch_execz .LBB6_275
; %bb.266:                              ;   in Loop: Header=BB6_128 Depth=2
	v_mov_b32_e32 v90, 0
	s_mov_b32 s29, exec_lo
	v_cmpx_ne_u32_e32 0, v3
	s_cbranch_execz .LBB6_274
; %bb.267:                              ;   in Loop: Header=BB6_128 Depth=2
	v_bfe_u32 v31, v3, 23, 8
	v_and_b32_e32 v3, 0x7fffff, v3
	s_delay_alu instid0(VALU_DEP_2) | instskip(SKIP_1) | instid1(VALU_DEP_3)
	v_dual_mov_b32 v61, v97 :: v_dual_sub_nc_u32 v54, 0x79, v31
	v_cmp_gt_u32_e32 vcc_lo, 0x7a, v31
	v_or_b32_e32 v66, 0x800000, v3
	s_delay_alu instid0(VALU_DEP_3) | instskip(SKIP_1) | instid1(VALU_DEP_3)
	v_cndmask_b32_e32 v54, 0, v54, vcc_lo
	v_cmp_eq_u32_e32 vcc_lo, 0, v31
	v_cndmask_b32_e32 v60, v66, v3, vcc_lo
	s_delay_alu instid0(VALU_DEP_3) | instskip(NEXT) | instid1(VALU_DEP_1)
	v_cndmask_b32_e64 v54, v54, 0x78, vcc_lo
	v_add_nc_u32_e32 v55, 20, v54
	s_delay_alu instid0(VALU_DEP_1) | instskip(SKIP_1) | instid1(VALU_DEP_1)
	v_lshlrev_b64_e64 v[112:113], v55, -1
	v_add_nc_u32_e32 v55, 19, v54
	v_lshlrev_b64_e64 v[62:63], v55, 1
	s_delay_alu instid0(VALU_DEP_3) | instskip(SKIP_2) | instid1(VALU_DEP_1)
	v_bfi_b32 v112, v112, 0, v60
	v_lshrrev_b64 v[60:61], v54, v[60:61]
	v_bfi_b32 v113, v113, 0, 0
	v_cmp_eq_u64_e64 s10, v[112:113], v[62:63]
	s_delay_alu instid0(VALU_DEP_3)
	v_mov_b64_e32 v[62:63], v[60:61]
	s_and_saveexec_b32 s40, s10
; %bb.268:                              ;   in Loop: Header=BB6_128 Depth=2
	v_bfe_u32 v112, v60, 20, 1
	v_mov_b32_e32 v113, v97
	s_delay_alu instid0(VALU_DEP_1) | instskip(NEXT) | instid1(VALU_DEP_1)
	v_add_nc_u64_e32 v[112:113], v[60:61], v[112:113]
	v_add_nc_u64_e32 v[62:63], -1, v[112:113]
; %bb.269:                              ;   in Loop: Header=BB6_128 Depth=2
	s_or_b32 exec_lo, exec_lo, s40
	v_add_nc_u32_e32 v3, 0xffffff81, v31
	v_lshrrev_b32_e32 v31, 23, v60
	s_mov_b32 s10, exec_lo
	v_mov_b32_e32 v61, v97
	s_delay_alu instid0(VALU_DEP_3) | instskip(NEXT) | instid1(VALU_DEP_1)
	v_cndmask_b32_e64 v3, v3, 0xffffff82, vcc_lo
	v_add3_u32 v31, v54, v3, v31
	v_and_b32_e32 v3, 0xfffff, v62
	s_delay_alu instid0(VALU_DEP_1) | instskip(NEXT) | instid1(VALU_DEP_1)
	v_dual_add_nc_u32 v54, 6, v31 :: v_dual_add_nc_u32 v60, v3, v60
                                        ; implicit-def: $vgpr3
	v_cmpx_ne_u32_e32 0, v54
	s_xor_b32 s10, exec_lo, s10
; %bb.270:                              ;   in Loop: Header=BB6_128 Depth=2
	s_delay_alu instid0(VALU_DEP_2) | instskip(SKIP_2) | instid1(VALU_DEP_2)
	v_cmp_lt_u64_e32 vcc_lo, 0xffffff, v[60:61]
	v_add_nc_u32_e32 v3, 7, v31
	v_cndmask_b32_e64 v31, 0, 1, vcc_lo
	v_cndmask_b32_e32 v3, v54, v3, vcc_lo
	s_delay_alu instid0(VALU_DEP_2)
	v_lshrrev_b64 v[60:61], v31, v[60:61]
; %bb.271:                              ;   in Loop: Header=BB6_128 Depth=2
	s_and_not1_saveexec_b32 s10, s10
; %bb.272:                              ;   in Loop: Header=BB6_128 Depth=2
	s_delay_alu instid0(VALU_DEP_1)
	v_bfe_u32 v3, v60, 23, 1
; %bb.273:                              ;   in Loop: Header=BB6_128 Depth=2
	s_or_b32 exec_lo, exec_lo, s10
	s_delay_alu instid0(VALU_DEP_2) | instskip(NEXT) | instid1(VALU_DEP_2)
	v_lshrrev_b64 v[54:55], 20, v[60:61]
	v_cmp_gt_i32_e32 vcc_lo, 16, v3
	v_min_i32_e32 v31, 15, v3
	v_cmp_eq_u32_e64 s10, 0, v3
	s_delay_alu instid0(VALU_DEP_2) | instskip(SKIP_1) | instid1(VALU_DEP_2)
	v_dual_cndmask_b32 v54, 7, v54 :: v_dual_lshlrev_b32 v31, 3, v31
	v_cndmask_b32_e32 v55, 0, v55, vcc_lo
	v_and_b32_e32 v31, 0xf8, v31
	s_delay_alu instid0(VALU_DEP_2) | instskip(NEXT) | instid1(VALU_DEP_2)
	v_cmp_eq_u64_e32 vcc_lo, 0, v[54:55]
	v_and_or_b32 v3, v54, 7, v31
	s_and_b32 s10, s10, vcc_lo
	s_delay_alu instid0(VALU_DEP_1) | instid1(SALU_CYCLE_1)
	v_cndmask_b32_e64 v3, v3, 0, s10
	s_delay_alu instid0(VALU_DEP_1)
	v_or_b32_e32 v90, v3, v2
.LBB6_274:                              ;   in Loop: Header=BB6_128 Depth=2
	s_or_b32 exec_lo, exec_lo, s29
                                        ; implicit-def: $vgpr2
.LBB6_275:                              ;   in Loop: Header=BB6_128 Depth=2
	s_and_not1_saveexec_b32 s10, s28
; %bb.276:                              ;   in Loop: Header=BB6_128 Depth=2
	v_or_b32_e32 v90, 0x7e, v2
; %bb.277:                              ;   in Loop: Header=BB6_128 Depth=2
	s_or_b32 exec_lo, exec_lo, s10
                                        ; implicit-def: $vgpr2
.LBB6_278:                              ;   in Loop: Header=BB6_128 Depth=2
	s_and_not1_saveexec_b32 s10, s27
; %bb.279:                              ;   in Loop: Header=BB6_128 Depth=2
	v_or_b32_e32 v90, 0x7f, v2
; %bb.280:                              ;   in Loop: Header=BB6_128 Depth=2
	s_or_b32 exec_lo, exec_lo, s10
	v_lshrrev_b16 v31, 8, v96
	v_dual_mov_b32 v2, 0 :: v_dual_mov_b32 v3, 0
	s_mov_b32 s10, exec_lo
	s_delay_alu instid0(VALU_DEP_2)
	v_cmpx_ne_u16_e32 0, v31
	s_cbranch_execz .LBB6_288
; %bb.281:                              ;   in Loop: Header=BB6_128 Depth=2
	v_bfrev_b32_e32 v3, 1
	s_mov_b32 s27, exec_lo
	v_cmpx_ne_u16_e32 0x80, v31
	s_cbranch_execz .LBB6_287
; %bb.282:                              ;   in Loop: Header=BB6_128 Depth=2
	v_and_b32_e32 v54, 0xffff, v31
	v_mov_b32_e32 v3, 0x7f800001
	s_mov_b32 s28, exec_lo
	s_delay_alu instid0(VALU_DEP_2) | instskip(NEXT) | instid1(VALU_DEP_1)
	v_and_b32_e32 v31, 0x7f, v54
	v_cmpx_ne_u32_e32 0x7f, v31
	s_cbranch_execz .LBB6_286
; %bb.283:                              ;   in Loop: Header=BB6_128 Depth=2
	v_dual_mov_b32 v61, v97 :: v_dual_bitop2_b32 v60, 7, v54 bitop3:0x40
	v_lshrrev_b32_e32 v3, 3, v31
	s_mov_b32 s29, exec_lo
	v_cmpx_gt_u32_e32 8, v31
; %bb.284:                              ;   in Loop: Header=BB6_128 Depth=2
	s_delay_alu instid0(VALU_DEP_3) | instskip(NEXT) | instid1(VALU_DEP_1)
	v_clz_i32_u32_e32 v3, v60
	v_min_u32_e32 v3, 32, v3
	s_delay_alu instid0(VALU_DEP_1) | instskip(NEXT) | instid1(VALU_DEP_1)
	v_subrev_nc_u32_e32 v31, 28, v3
	v_lshlrev_b64_e32 v[54:55], v31, v[60:61]
	s_delay_alu instid0(VALU_DEP_1)
	v_dual_sub_nc_u32 v3, 29, v3 :: v_dual_bitop2_b32 v60, 7, v54 bitop3:0x40
; %bb.285:                              ;   in Loop: Header=BB6_128 Depth=2
	s_or_b32 exec_lo, exec_lo, s29
	v_lshlrev_b32_e32 v31, 16, v96
	s_delay_alu instid0(VALU_DEP_2) | instskip(NEXT) | instid1(VALU_DEP_3)
	v_lshlrev_b32_e32 v54, 20, v60
	v_lshl_add_u32 v3, v3, 23, 0x3c000000
	s_delay_alu instid0(VALU_DEP_3) | instskip(NEXT) | instid1(VALU_DEP_1)
	v_and_b32_e32 v31, 0x80000000, v31
	v_or3_b32 v3, v54, v31, v3
.LBB6_286:                              ;   in Loop: Header=BB6_128 Depth=2
	s_or_b32 exec_lo, exec_lo, s28
.LBB6_287:                              ;   in Loop: Header=BB6_128 Depth=2
	s_delay_alu instid0(SALU_CYCLE_1)
	s_or_b32 exec_lo, exec_lo, s27
.LBB6_288:                              ;   in Loop: Header=BB6_128 Depth=2
	s_delay_alu instid0(SALU_CYCLE_1) | instskip(SKIP_2) | instid1(VALU_DEP_1)
	s_or_b32 exec_lo, exec_lo, s10
	v_lshrrev_b16 v31, 8, v37
	s_mov_b32 s10, exec_lo
	v_cmpx_ne_u16_e32 0, v31
	s_cbranch_execz .LBB6_296
; %bb.289:                              ;   in Loop: Header=BB6_128 Depth=2
	v_bfrev_b32_e32 v2, 1
	s_mov_b32 s27, exec_lo
	v_cmpx_ne_u16_e32 0x80, v31
	s_cbranch_execz .LBB6_295
; %bb.290:                              ;   in Loop: Header=BB6_128 Depth=2
	v_and_b32_e32 v54, 0xffff, v31
	v_mov_b32_e32 v2, 0x7f800001
	s_mov_b32 s28, exec_lo
	s_delay_alu instid0(VALU_DEP_2) | instskip(NEXT) | instid1(VALU_DEP_1)
	v_and_b32_e32 v31, 0x7f, v54
	v_cmpx_ne_u32_e32 0x7f, v31
	s_cbranch_execz .LBB6_294
; %bb.291:                              ;   in Loop: Header=BB6_128 Depth=2
	v_dual_lshrrev_b32 v2, 3, v31 :: v_dual_bitop2_b32 v96, 7, v54 bitop3:0x40
	s_mov_b32 s29, exec_lo
	v_cmpx_gt_u32_e32 8, v31
; %bb.292:                              ;   in Loop: Header=BB6_128 Depth=2
	s_delay_alu instid0(VALU_DEP_2) | instskip(NEXT) | instid1(VALU_DEP_1)
	v_clz_i32_u32_e32 v2, v96
	v_min_u32_e32 v2, 32, v2
	s_delay_alu instid0(VALU_DEP_1) | instskip(SKIP_1) | instid1(VALU_DEP_2)
	v_subrev_nc_u32_e32 v31, 28, v2
	v_sub_nc_u32_e32 v2, 29, v2
	v_lshlrev_b64_e32 v[54:55], v31, v[96:97]
	s_delay_alu instid0(VALU_DEP_1)
	v_and_b32_e32 v96, 7, v54
; %bb.293:                              ;   in Loop: Header=BB6_128 Depth=2
	s_or_b32 exec_lo, exec_lo, s29
	s_delay_alu instid0(VALU_DEP_1) | instskip(SKIP_1) | instid1(VALU_DEP_2)
	v_dual_lshlrev_b32 v31, 16, v37 :: v_dual_lshlrev_b32 v54, 20, v96
	v_lshl_add_u32 v2, v2, 23, 0x3c000000
	v_and_b32_e32 v31, 0x80000000, v31
	s_delay_alu instid0(VALU_DEP_1)
	v_or3_b32 v2, v54, v31, v2
.LBB6_294:                              ;   in Loop: Header=BB6_128 Depth=2
	s_or_b32 exec_lo, exec_lo, s28
.LBB6_295:                              ;   in Loop: Header=BB6_128 Depth=2
	s_delay_alu instid0(SALU_CYCLE_1)
	s_or_b32 exec_lo, exec_lo, s27
.LBB6_296:                              ;   in Loop: Header=BB6_128 Depth=2
	s_delay_alu instid0(SALU_CYCLE_1) | instskip(NEXT) | instid1(VALU_DEP_1)
	s_or_b32 exec_lo, exec_lo, s10
	v_mul_f32_e32 v3, v3, v2
                                        ; implicit-def: $vgpr91
	s_mov_b32 s10, exec_lo
	s_delay_alu instid0(VALU_DEP_1) | instskip(SKIP_1) | instid1(VALU_DEP_2)
	v_and_b32_e32 v96, 0x7f800000, v3
	v_lshrrev_b32_e32 v2, 24, v3
	v_cmpx_ne_u64_e32 0x7f800000, v[96:97]
	s_xor_b32 s27, exec_lo, s10
	s_cbranch_execz .LBB6_310
; %bb.297:                              ;   in Loop: Header=BB6_128 Depth=2
	v_and_b32_e32 v96, 0x7fffffff, v3
	v_and_b32_e32 v2, 0x80, v2
                                        ; implicit-def: $vgpr91
	s_mov_b32 s10, exec_lo
	s_delay_alu instid0(VALU_DEP_2)
	v_cmpx_gt_u64_e32 0x43e00001, v[96:97]
	s_xor_b32 s28, exec_lo, s10
	s_cbranch_execz .LBB6_307
; %bb.298:                              ;   in Loop: Header=BB6_128 Depth=2
	v_mov_b32_e32 v91, 0
	s_mov_b32 s29, exec_lo
	v_cmpx_ne_u32_e32 0, v3
	s_cbranch_execz .LBB6_306
; %bb.299:                              ;   in Loop: Header=BB6_128 Depth=2
	v_bfe_u32 v31, v3, 23, 8
	v_and_b32_e32 v3, 0x7fffff, v3
	s_delay_alu instid0(VALU_DEP_2) | instskip(SKIP_1) | instid1(VALU_DEP_3)
	v_sub_nc_u32_e32 v54, 0x79, v31
	v_cmp_gt_u32_e32 vcc_lo, 0x7a, v31
	v_or_b32_e32 v66, 0x800000, v3
	s_delay_alu instid0(VALU_DEP_3) | instskip(SKIP_1) | instid1(VALU_DEP_3)
	v_cndmask_b32_e32 v54, 0, v54, vcc_lo
	v_cmp_eq_u32_e32 vcc_lo, 0, v31
	v_cndmask_b32_e32 v96, v66, v3, vcc_lo
	s_delay_alu instid0(VALU_DEP_3) | instskip(NEXT) | instid1(VALU_DEP_1)
	v_cndmask_b32_e64 v54, v54, 0x78, vcc_lo
	v_add_nc_u32_e32 v55, 20, v54
	s_delay_alu instid0(VALU_DEP_3) | instskip(NEXT) | instid1(VALU_DEP_2)
	v_lshrrev_b64 v[60:61], v54, v[96:97]
	v_lshlrev_b64_e64 v[112:113], v55, -1
	v_add_nc_u32_e32 v55, 19, v54
	s_delay_alu instid0(VALU_DEP_1) | instskip(NEXT) | instid1(VALU_DEP_3)
	v_lshlrev_b64_e64 v[62:63], v55, 1
	v_bfi_b32 v113, v113, 0, 0
	s_delay_alu instid0(VALU_DEP_4) | instskip(NEXT) | instid1(VALU_DEP_1)
	v_bfi_b32 v112, v112, 0, v96
	v_cmp_eq_u64_e64 s10, v[112:113], v[62:63]
	v_mov_b64_e32 v[62:63], v[60:61]
	s_and_saveexec_b32 s40, s10
; %bb.300:                              ;   in Loop: Header=BB6_128 Depth=2
	v_bfe_u32 v96, v60, 20, 1
	s_delay_alu instid0(VALU_DEP_1) | instskip(NEXT) | instid1(VALU_DEP_1)
	v_add_nc_u64_e32 v[112:113], v[60:61], v[96:97]
	v_add_nc_u64_e32 v[62:63], -1, v[112:113]
; %bb.301:                              ;   in Loop: Header=BB6_128 Depth=2
	s_or_b32 exec_lo, exec_lo, s40
	v_add_nc_u32_e32 v3, 0xffffff81, v31
	v_lshrrev_b32_e32 v31, 23, v60
	s_mov_b32 s10, exec_lo
	s_delay_alu instid0(VALU_DEP_2) | instskip(NEXT) | instid1(VALU_DEP_1)
	v_cndmask_b32_e64 v3, v3, 0xffffff82, vcc_lo
	v_add3_u32 v31, v54, v3, v31
	v_and_b32_e32 v3, 0xfffff, v62
	s_delay_alu instid0(VALU_DEP_1) | instskip(NEXT) | instid1(VALU_DEP_1)
	v_dual_add_nc_u32 v54, 6, v31 :: v_dual_add_nc_u32 v96, v3, v60
                                        ; implicit-def: $vgpr60_vgpr61
                                        ; implicit-def: $vgpr3
	v_cmpx_ne_u32_e32 0, v54
	s_xor_b32 s10, exec_lo, s10
; %bb.302:                              ;   in Loop: Header=BB6_128 Depth=2
	s_delay_alu instid0(VALU_DEP_2) | instskip(SKIP_2) | instid1(VALU_DEP_2)
	v_cmp_lt_u64_e32 vcc_lo, 0xffffff, v[96:97]
	v_add_nc_u32_e32 v3, 7, v31
	v_cndmask_b32_e64 v31, 0, 1, vcc_lo
	v_cndmask_b32_e32 v3, v54, v3, vcc_lo
	s_delay_alu instid0(VALU_DEP_2)
	v_lshrrev_b64 v[60:61], v31, v[96:97]
; %bb.303:                              ;   in Loop: Header=BB6_128 Depth=2
	s_and_not1_saveexec_b32 s10, s10
; %bb.304:                              ;   in Loop: Header=BB6_128 Depth=2
	v_mov_b64_e32 v[60:61], v[96:97]
	v_bfe_u32 v3, v96, 23, 1
; %bb.305:                              ;   in Loop: Header=BB6_128 Depth=2
	s_or_b32 exec_lo, exec_lo, s10
	s_delay_alu instid0(VALU_DEP_2) | instskip(NEXT) | instid1(VALU_DEP_2)
	v_lshrrev_b64 v[54:55], 20, v[60:61]
	v_cmp_gt_i32_e32 vcc_lo, 16, v3
	v_min_i32_e32 v31, 15, v3
	v_cmp_eq_u32_e64 s10, 0, v3
	s_delay_alu instid0(VALU_DEP_2) | instskip(SKIP_1) | instid1(VALU_DEP_2)
	v_dual_cndmask_b32 v54, 7, v54 :: v_dual_lshlrev_b32 v31, 3, v31
	v_cndmask_b32_e32 v55, 0, v55, vcc_lo
	v_and_b32_e32 v31, 0xf8, v31
	s_delay_alu instid0(VALU_DEP_2) | instskip(NEXT) | instid1(VALU_DEP_2)
	v_cmp_eq_u64_e32 vcc_lo, 0, v[54:55]
	v_and_or_b32 v3, v54, 7, v31
	s_and_b32 s10, s10, vcc_lo
	s_delay_alu instid0(VALU_DEP_1) | instid1(SALU_CYCLE_1)
	v_cndmask_b32_e64 v3, v3, 0, s10
	s_delay_alu instid0(VALU_DEP_1)
	v_or_b32_e32 v91, v3, v2
.LBB6_306:                              ;   in Loop: Header=BB6_128 Depth=2
	s_or_b32 exec_lo, exec_lo, s29
                                        ; implicit-def: $vgpr2
.LBB6_307:                              ;   in Loop: Header=BB6_128 Depth=2
	s_and_not1_saveexec_b32 s10, s28
; %bb.308:                              ;   in Loop: Header=BB6_128 Depth=2
	v_or_b32_e32 v91, 0x7e, v2
; %bb.309:                              ;   in Loop: Header=BB6_128 Depth=2
	s_or_b32 exec_lo, exec_lo, s10
                                        ; implicit-def: $vgpr2
.LBB6_310:                              ;   in Loop: Header=BB6_128 Depth=2
	s_and_not1_saveexec_b32 s10, s27
; %bb.311:                              ;   in Loop: Header=BB6_128 Depth=2
	v_or_b32_e32 v91, 0x7f, v2
; %bb.312:                              ;   in Loop: Header=BB6_128 Depth=2
	s_or_b32 exec_lo, exec_lo, s10
	v_dual_mov_b32 v2, 0 :: v_dual_lshrrev_b32 v31, 16, v49
	v_mov_b32_e32 v3, 0
	s_mov_b32 s10, exec_lo
	s_delay_alu instid0(VALU_DEP_2) | instskip(NEXT) | instid1(VALU_DEP_1)
	v_and_b32_e32 v54, 0xff, v31
	v_cmpx_ne_u16_e32 0, v54
	s_cbranch_execz .LBB6_320
; %bb.313:                              ;   in Loop: Header=BB6_128 Depth=2
	v_bfrev_b32_e32 v3, 1
	s_mov_b32 s27, exec_lo
	v_cmpx_ne_u16_e32 0x80, v54
	s_cbranch_execz .LBB6_319
; %bb.314:                              ;   in Loop: Header=BB6_128 Depth=2
	v_bfe_u32 v54, v49, 16, 7
	v_mov_b32_e32 v3, 0x7f800001
	s_mov_b32 s28, exec_lo
	s_delay_alu instid0(VALU_DEP_2)
	v_cmpx_ne_u32_e32 0x7f, v54
	s_cbranch_execz .LBB6_318
; %bb.315:                              ;   in Loop: Header=BB6_128 Depth=2
	v_dual_lshrrev_b32 v3, 3, v54 :: v_dual_bitop2_b32 v96, 7, v31 bitop3:0x40
	s_mov_b32 s29, exec_lo
	v_cmpx_gt_u32_e32 8, v54
; %bb.316:                              ;   in Loop: Header=BB6_128 Depth=2
	s_delay_alu instid0(VALU_DEP_2) | instskip(NEXT) | instid1(VALU_DEP_1)
	v_clz_i32_u32_e32 v3, v96
	v_min_u32_e32 v3, 32, v3
	s_delay_alu instid0(VALU_DEP_1) | instskip(NEXT) | instid1(VALU_DEP_1)
	v_subrev_nc_u32_e32 v54, 28, v3
	v_lshlrev_b64_e32 v[54:55], v54, v[96:97]
	s_delay_alu instid0(VALU_DEP_1)
	v_dual_sub_nc_u32 v3, 29, v3 :: v_dual_bitop2_b32 v96, 7, v54 bitop3:0x40
; %bb.317:                              ;   in Loop: Header=BB6_128 Depth=2
	s_or_b32 exec_lo, exec_lo, s29
	s_delay_alu instid0(VALU_DEP_1) | instskip(NEXT) | instid1(VALU_DEP_2)
	v_dual_lshlrev_b32 v31, 24, v31 :: v_dual_lshlrev_b32 v54, 20, v96
	v_lshl_add_u32 v3, v3, 23, 0x3c000000
	s_delay_alu instid0(VALU_DEP_2) | instskip(NEXT) | instid1(VALU_DEP_1)
	v_and_b32_e32 v31, 0x80000000, v31
	v_or3_b32 v3, v54, v31, v3
.LBB6_318:                              ;   in Loop: Header=BB6_128 Depth=2
	s_or_b32 exec_lo, exec_lo, s28
.LBB6_319:                              ;   in Loop: Header=BB6_128 Depth=2
	s_delay_alu instid0(SALU_CYCLE_1)
	s_or_b32 exec_lo, exec_lo, s27
.LBB6_320:                              ;   in Loop: Header=BB6_128 Depth=2
	s_delay_alu instid0(SALU_CYCLE_1) | instskip(SKIP_2) | instid1(VALU_DEP_1)
	s_or_b32 exec_lo, exec_lo, s10
	v_lshrrev_b32_e32 v31, 16, v37
	s_mov_b32 s10, exec_lo
	v_and_b32_e32 v54, 0xff, v31
	s_delay_alu instid0(VALU_DEP_1)
	v_cmpx_ne_u16_e32 0, v54
	s_cbranch_execz .LBB6_328
; %bb.321:                              ;   in Loop: Header=BB6_128 Depth=2
	v_bfrev_b32_e32 v2, 1
	s_mov_b32 s27, exec_lo
	v_cmpx_ne_u16_e32 0x80, v54
	s_cbranch_execz .LBB6_327
; %bb.322:                              ;   in Loop: Header=BB6_128 Depth=2
	v_bfe_u32 v54, v37, 16, 7
	v_mov_b32_e32 v2, 0x7f800001
	s_mov_b32 s28, exec_lo
	s_delay_alu instid0(VALU_DEP_2)
	v_cmpx_ne_u32_e32 0x7f, v54
	s_cbranch_execz .LBB6_326
; %bb.323:                              ;   in Loop: Header=BB6_128 Depth=2
	v_dual_lshrrev_b32 v2, 3, v54 :: v_dual_bitop2_b32 v96, 7, v31 bitop3:0x40
	s_mov_b32 s29, exec_lo
	v_cmpx_gt_u32_e32 8, v54
; %bb.324:                              ;   in Loop: Header=BB6_128 Depth=2
	s_delay_alu instid0(VALU_DEP_2) | instskip(NEXT) | instid1(VALU_DEP_1)
	v_clz_i32_u32_e32 v2, v96
	v_min_u32_e32 v2, 32, v2
	s_delay_alu instid0(VALU_DEP_1) | instskip(SKIP_1) | instid1(VALU_DEP_2)
	v_subrev_nc_u32_e32 v31, 28, v2
	v_sub_nc_u32_e32 v2, 29, v2
	v_lshlrev_b64_e32 v[54:55], v31, v[96:97]
	s_delay_alu instid0(VALU_DEP_1)
	v_and_b32_e32 v96, 7, v54
; %bb.325:                              ;   in Loop: Header=BB6_128 Depth=2
	s_or_b32 exec_lo, exec_lo, s29
	s_delay_alu instid0(VALU_DEP_1) | instskip(SKIP_1) | instid1(VALU_DEP_2)
	v_dual_lshlrev_b32 v31, 8, v37 :: v_dual_lshlrev_b32 v54, 20, v96
	v_lshl_add_u32 v2, v2, 23, 0x3c000000
	v_and_b32_e32 v31, 0x80000000, v31
	s_delay_alu instid0(VALU_DEP_1)
	v_or3_b32 v2, v54, v31, v2
.LBB6_326:                              ;   in Loop: Header=BB6_128 Depth=2
	s_or_b32 exec_lo, exec_lo, s28
.LBB6_327:                              ;   in Loop: Header=BB6_128 Depth=2
	s_delay_alu instid0(SALU_CYCLE_1)
	s_or_b32 exec_lo, exec_lo, s27
.LBB6_328:                              ;   in Loop: Header=BB6_128 Depth=2
	s_delay_alu instid0(SALU_CYCLE_1) | instskip(NEXT) | instid1(VALU_DEP_1)
	s_or_b32 exec_lo, exec_lo, s10
	v_mul_f32_e32 v3, v3, v2
                                        ; implicit-def: $vgpr60
	s_mov_b32 s10, exec_lo
	s_delay_alu instid0(VALU_DEP_1) | instskip(SKIP_1) | instid1(VALU_DEP_2)
	v_and_b32_e32 v96, 0x7f800000, v3
	v_lshrrev_b32_e32 v2, 24, v3
	v_cmpx_ne_u64_e32 0x7f800000, v[96:97]
	s_xor_b32 s27, exec_lo, s10
	s_cbranch_execz .LBB6_342
; %bb.329:                              ;   in Loop: Header=BB6_128 Depth=2
	v_and_b32_e32 v96, 0x7fffffff, v3
	v_and_b32_e32 v2, 0x80, v2
                                        ; implicit-def: $vgpr60
	s_mov_b32 s10, exec_lo
	s_delay_alu instid0(VALU_DEP_2)
	v_cmpx_gt_u64_e32 0x43e00001, v[96:97]
	s_xor_b32 s28, exec_lo, s10
	s_cbranch_execz .LBB6_339
; %bb.330:                              ;   in Loop: Header=BB6_128 Depth=2
	v_mov_b32_e32 v60, 0
	s_mov_b32 s29, exec_lo
	v_cmpx_ne_u32_e32 0, v3
	s_cbranch_execz .LBB6_338
; %bb.331:                              ;   in Loop: Header=BB6_128 Depth=2
	v_bfe_u32 v31, v3, 23, 8
	v_and_b32_e32 v3, 0x7fffff, v3
	s_delay_alu instid0(VALU_DEP_2) | instskip(SKIP_1) | instid1(VALU_DEP_3)
	v_sub_nc_u32_e32 v54, 0x79, v31
	v_cmp_gt_u32_e32 vcc_lo, 0x7a, v31
	v_or_b32_e32 v66, 0x800000, v3
	s_delay_alu instid0(VALU_DEP_3) | instskip(SKIP_1) | instid1(VALU_DEP_3)
	v_cndmask_b32_e32 v54, 0, v54, vcc_lo
	v_cmp_eq_u32_e32 vcc_lo, 0, v31
	v_cndmask_b32_e32 v96, v66, v3, vcc_lo
	s_delay_alu instid0(VALU_DEP_3) | instskip(NEXT) | instid1(VALU_DEP_1)
	v_cndmask_b32_e64 v54, v54, 0x78, vcc_lo
	v_add_nc_u32_e32 v55, 20, v54
	s_delay_alu instid0(VALU_DEP_3) | instskip(NEXT) | instid1(VALU_DEP_2)
	v_lshrrev_b64 v[60:61], v54, v[96:97]
	v_lshlrev_b64_e64 v[112:113], v55, -1
	v_add_nc_u32_e32 v55, 19, v54
	s_delay_alu instid0(VALU_DEP_1) | instskip(NEXT) | instid1(VALU_DEP_3)
	v_lshlrev_b64_e64 v[62:63], v55, 1
	v_bfi_b32 v113, v113, 0, 0
	s_delay_alu instid0(VALU_DEP_4) | instskip(NEXT) | instid1(VALU_DEP_1)
	v_bfi_b32 v112, v112, 0, v96
	v_cmp_eq_u64_e64 s10, v[112:113], v[62:63]
	v_mov_b64_e32 v[62:63], v[60:61]
	s_and_saveexec_b32 s40, s10
; %bb.332:                              ;   in Loop: Header=BB6_128 Depth=2
	v_bfe_u32 v96, v60, 20, 1
	s_delay_alu instid0(VALU_DEP_1) | instskip(NEXT) | instid1(VALU_DEP_1)
	v_add_nc_u64_e32 v[112:113], v[60:61], v[96:97]
	v_add_nc_u64_e32 v[62:63], -1, v[112:113]
; %bb.333:                              ;   in Loop: Header=BB6_128 Depth=2
	s_or_b32 exec_lo, exec_lo, s40
	v_add_nc_u32_e32 v3, 0xffffff81, v31
	v_lshrrev_b32_e32 v31, 23, v60
	s_mov_b32 s10, exec_lo
	s_delay_alu instid0(VALU_DEP_2) | instskip(NEXT) | instid1(VALU_DEP_1)
	v_cndmask_b32_e64 v3, v3, 0xffffff82, vcc_lo
	v_add3_u32 v31, v54, v3, v31
	v_and_b32_e32 v3, 0xfffff, v62
	s_delay_alu instid0(VALU_DEP_1) | instskip(NEXT) | instid1(VALU_DEP_1)
	v_dual_add_nc_u32 v54, 6, v31 :: v_dual_add_nc_u32 v96, v3, v60
                                        ; implicit-def: $vgpr60_vgpr61
                                        ; implicit-def: $vgpr3
	v_cmpx_ne_u32_e32 0, v54
	s_xor_b32 s10, exec_lo, s10
; %bb.334:                              ;   in Loop: Header=BB6_128 Depth=2
	s_delay_alu instid0(VALU_DEP_2) | instskip(SKIP_2) | instid1(VALU_DEP_2)
	v_cmp_lt_u64_e32 vcc_lo, 0xffffff, v[96:97]
	v_add_nc_u32_e32 v3, 7, v31
	v_cndmask_b32_e64 v31, 0, 1, vcc_lo
	v_cndmask_b32_e32 v3, v54, v3, vcc_lo
	s_delay_alu instid0(VALU_DEP_2)
	v_lshrrev_b64 v[60:61], v31, v[96:97]
; %bb.335:                              ;   in Loop: Header=BB6_128 Depth=2
	s_and_not1_saveexec_b32 s10, s10
; %bb.336:                              ;   in Loop: Header=BB6_128 Depth=2
	v_mov_b64_e32 v[60:61], v[96:97]
	v_bfe_u32 v3, v96, 23, 1
; %bb.337:                              ;   in Loop: Header=BB6_128 Depth=2
	s_or_b32 exec_lo, exec_lo, s10
	s_delay_alu instid0(VALU_DEP_2) | instskip(NEXT) | instid1(VALU_DEP_2)
	v_lshrrev_b64 v[54:55], 20, v[60:61]
	v_cmp_gt_i32_e32 vcc_lo, 16, v3
	v_min_i32_e32 v31, 15, v3
	v_cmp_eq_u32_e64 s10, 0, v3
	s_delay_alu instid0(VALU_DEP_2) | instskip(SKIP_1) | instid1(VALU_DEP_2)
	v_dual_cndmask_b32 v54, 7, v54 :: v_dual_lshlrev_b32 v31, 3, v31
	v_cndmask_b32_e32 v55, 0, v55, vcc_lo
	v_and_b32_e32 v31, 0xf8, v31
	s_delay_alu instid0(VALU_DEP_2) | instskip(NEXT) | instid1(VALU_DEP_2)
	v_cmp_eq_u64_e32 vcc_lo, 0, v[54:55]
	v_and_or_b32 v3, v54, 7, v31
	s_and_b32 s10, s10, vcc_lo
	s_delay_alu instid0(VALU_DEP_1) | instid1(SALU_CYCLE_1)
	v_cndmask_b32_e64 v3, v3, 0, s10
	s_delay_alu instid0(VALU_DEP_1)
	v_or_b32_e32 v60, v3, v2
.LBB6_338:                              ;   in Loop: Header=BB6_128 Depth=2
	s_or_b32 exec_lo, exec_lo, s29
                                        ; implicit-def: $vgpr2
.LBB6_339:                              ;   in Loop: Header=BB6_128 Depth=2
	s_and_not1_saveexec_b32 s10, s28
; %bb.340:                              ;   in Loop: Header=BB6_128 Depth=2
	v_or_b32_e32 v60, 0x7e, v2
; %bb.341:                              ;   in Loop: Header=BB6_128 Depth=2
	s_or_b32 exec_lo, exec_lo, s10
                                        ; implicit-def: $vgpr2
.LBB6_342:                              ;   in Loop: Header=BB6_128 Depth=2
	s_and_not1_saveexec_b32 s10, s27
; %bb.343:                              ;   in Loop: Header=BB6_128 Depth=2
	v_or_b32_e32 v60, 0x7f, v2
; %bb.344:                              ;   in Loop: Header=BB6_128 Depth=2
	s_or_b32 exec_lo, exec_lo, s10
	v_dual_mov_b32 v2, 0 :: v_dual_mov_b32 v3, 0
	s_mov_b32 s10, exec_lo
	v_cmpx_lt_u64_e64 s[14:15], v[48:49]
	s_cbranch_execz .LBB6_352
; %bb.345:                              ;   in Loop: Header=BB6_128 Depth=2
	v_lshrrev_b32_e32 v31, 24, v49
	v_bfrev_b32_e32 v3, 1
	s_mov_b32 s27, exec_lo
	s_delay_alu instid0(VALU_DEP_2)
	v_cmpx_ne_u32_e32 0x80, v31
	s_cbranch_execz .LBB6_351
; %bb.346:                              ;   in Loop: Header=BB6_128 Depth=2
	v_bfe_u32 v48, v49, 24, 7
	v_mov_b32_e32 v3, 0x7f800001
	s_mov_b32 s28, exec_lo
	s_delay_alu instid0(VALU_DEP_2)
	v_cmpx_ne_u32_e32 0x7f, v48
	s_cbranch_execz .LBB6_350
; %bb.347:                              ;   in Loop: Header=BB6_128 Depth=2
	v_dual_lshrrev_b32 v3, 3, v48 :: v_dual_bitop2_b32 v96, 7, v31 bitop3:0x40
	s_mov_b32 s29, exec_lo
	v_cmpx_gt_u32_e32 8, v48
; %bb.348:                              ;   in Loop: Header=BB6_128 Depth=2
	s_delay_alu instid0(VALU_DEP_2) | instskip(NEXT) | instid1(VALU_DEP_1)
	v_clz_i32_u32_e32 v3, v96
	v_min_u32_e32 v3, 32, v3
	s_delay_alu instid0(VALU_DEP_1) | instskip(NEXT) | instid1(VALU_DEP_1)
	v_subrev_nc_u32_e32 v48, 28, v3
	v_lshlrev_b64_e32 v[48:49], v48, v[96:97]
	s_delay_alu instid0(VALU_DEP_1)
	v_dual_sub_nc_u32 v3, 29, v3 :: v_dual_bitop2_b32 v96, 7, v48 bitop3:0x40
; %bb.349:                              ;   in Loop: Header=BB6_128 Depth=2
	s_or_b32 exec_lo, exec_lo, s29
	s_delay_alu instid0(VALU_DEP_1) | instskip(NEXT) | instid1(VALU_DEP_2)
	v_dual_lshlrev_b32 v31, 24, v31 :: v_dual_lshlrev_b32 v48, 20, v96
	v_lshl_add_u32 v3, v3, 23, 0x3c000000
	s_delay_alu instid0(VALU_DEP_2) | instskip(NEXT) | instid1(VALU_DEP_1)
	v_and_b32_e32 v31, 0x80000000, v31
	v_or3_b32 v3, v48, v31, v3
.LBB6_350:                              ;   in Loop: Header=BB6_128 Depth=2
	s_or_b32 exec_lo, exec_lo, s28
.LBB6_351:                              ;   in Loop: Header=BB6_128 Depth=2
	s_delay_alu instid0(SALU_CYCLE_1)
	s_or_b32 exec_lo, exec_lo, s27
.LBB6_352:                              ;   in Loop: Header=BB6_128 Depth=2
	s_delay_alu instid0(SALU_CYCLE_1) | instskip(NEXT) | instid1(SALU_CYCLE_1)
	s_or_b32 exec_lo, exec_lo, s10
	s_mov_b32 s10, exec_lo
	v_cmpx_lt_u64_e64 s[14:15], v[36:37]
	s_cbranch_execz .LBB6_360
; %bb.353:                              ;   in Loop: Header=BB6_128 Depth=2
	v_lshrrev_b32_e32 v31, 24, v37
	v_bfrev_b32_e32 v2, 1
	s_mov_b32 s27, exec_lo
	s_delay_alu instid0(VALU_DEP_2)
	v_cmpx_ne_u32_e32 0x80, v31
	s_cbranch_execz .LBB6_359
; %bb.354:                              ;   in Loop: Header=BB6_128 Depth=2
	v_bfe_u32 v36, v37, 24, 7
	v_mov_b32_e32 v2, 0x7f800001
	s_mov_b32 s28, exec_lo
	s_delay_alu instid0(VALU_DEP_2)
	v_cmpx_ne_u32_e32 0x7f, v36
	s_cbranch_execz .LBB6_358
; %bb.355:                              ;   in Loop: Header=BB6_128 Depth=2
	v_dual_lshrrev_b32 v2, 3, v36 :: v_dual_bitop2_b32 v96, 7, v31 bitop3:0x40
	s_mov_b32 s29, exec_lo
	v_cmpx_gt_u32_e32 8, v36
; %bb.356:                              ;   in Loop: Header=BB6_128 Depth=2
	s_delay_alu instid0(VALU_DEP_2) | instskip(NEXT) | instid1(VALU_DEP_1)
	v_clz_i32_u32_e32 v2, v96
	v_min_u32_e32 v2, 32, v2
	s_delay_alu instid0(VALU_DEP_1) | instskip(NEXT) | instid1(VALU_DEP_1)
	v_subrev_nc_u32_e32 v36, 28, v2
	v_lshlrev_b64_e32 v[36:37], v36, v[96:97]
	s_delay_alu instid0(VALU_DEP_1)
	v_dual_sub_nc_u32 v2, 29, v2 :: v_dual_bitop2_b32 v96, 7, v36 bitop3:0x40
; %bb.357:                              ;   in Loop: Header=BB6_128 Depth=2
	s_or_b32 exec_lo, exec_lo, s29
	s_delay_alu instid0(VALU_DEP_1) | instskip(NEXT) | instid1(VALU_DEP_2)
	v_dual_lshlrev_b32 v31, 24, v31 :: v_dual_lshlrev_b32 v36, 20, v96
	v_lshl_add_u32 v2, v2, 23, 0x3c000000
	s_delay_alu instid0(VALU_DEP_2) | instskip(NEXT) | instid1(VALU_DEP_1)
	v_and_b32_e32 v31, 0x80000000, v31
	v_or3_b32 v2, v36, v31, v2
.LBB6_358:                              ;   in Loop: Header=BB6_128 Depth=2
	s_or_b32 exec_lo, exec_lo, s28
.LBB6_359:                              ;   in Loop: Header=BB6_128 Depth=2
	s_delay_alu instid0(SALU_CYCLE_1)
	s_or_b32 exec_lo, exec_lo, s27
.LBB6_360:                              ;   in Loop: Header=BB6_128 Depth=2
	s_delay_alu instid0(SALU_CYCLE_1) | instskip(NEXT) | instid1(VALU_DEP_1)
	s_or_b32 exec_lo, exec_lo, s10
	v_mul_f32_e32 v3, v3, v2
                                        ; implicit-def: $vgpr61
	s_mov_b32 s10, exec_lo
	s_delay_alu instid0(VALU_DEP_1) | instskip(SKIP_1) | instid1(VALU_DEP_2)
	v_and_b32_e32 v96, 0x7f800000, v3
	v_lshrrev_b32_e32 v2, 24, v3
	v_cmpx_ne_u64_e32 0x7f800000, v[96:97]
	s_xor_b32 s27, exec_lo, s10
	s_cbranch_execz .LBB6_374
; %bb.361:                              ;   in Loop: Header=BB6_128 Depth=2
	v_and_b32_e32 v96, 0x7fffffff, v3
	v_and_b32_e32 v2, 0x80, v2
                                        ; implicit-def: $vgpr61
	s_mov_b32 s10, exec_lo
	s_delay_alu instid0(VALU_DEP_2)
	v_cmpx_gt_u64_e32 0x43e00001, v[96:97]
	s_xor_b32 s28, exec_lo, s10
	s_cbranch_execz .LBB6_371
; %bb.362:                              ;   in Loop: Header=BB6_128 Depth=2
	v_mov_b32_e32 v61, 0
	s_mov_b32 s29, exec_lo
	v_cmpx_ne_u32_e32 0, v3
	s_cbranch_execz .LBB6_370
; %bb.363:                              ;   in Loop: Header=BB6_128 Depth=2
	v_bfe_u32 v31, v3, 23, 8
	v_and_b32_e32 v3, 0x7fffff, v3
	s_delay_alu instid0(VALU_DEP_2) | instskip(SKIP_1) | instid1(VALU_DEP_3)
	v_sub_nc_u32_e32 v36, 0x79, v31
	v_cmp_gt_u32_e32 vcc_lo, 0x7a, v31
	v_or_b32_e32 v48, 0x800000, v3
	s_delay_alu instid0(VALU_DEP_3) | instskip(SKIP_1) | instid1(VALU_DEP_2)
	v_cndmask_b32_e32 v36, 0, v36, vcc_lo
	v_cmp_eq_u32_e32 vcc_lo, 0, v31
	v_cndmask_b32_e64 v54, v36, 0x78, vcc_lo
	s_delay_alu instid0(VALU_DEP_1) | instskip(SKIP_1) | instid1(VALU_DEP_2)
	v_dual_cndmask_b32 v96, v48, v3, vcc_lo :: v_dual_add_nc_u32 v36, 20, v54
	v_add_nc_u32_e32 v49, 19, v54
	v_lshlrev_b64_e64 v[36:37], v36, -1
	s_delay_alu instid0(VALU_DEP_2) | instskip(NEXT) | instid1(VALU_DEP_2)
	v_lshlrev_b64_e64 v[48:49], v49, 1
	v_bfi_b32 v113, v37, 0, 0
	s_delay_alu instid0(VALU_DEP_3) | instskip(SKIP_1) | instid1(VALU_DEP_2)
	v_bfi_b32 v112, v36, 0, v96
	v_lshrrev_b64 v[36:37], v54, v[96:97]
	v_cmp_eq_u64_e64 s10, v[112:113], v[48:49]
	s_delay_alu instid0(VALU_DEP_2)
	v_mov_b64_e32 v[48:49], v[36:37]
	s_and_saveexec_b32 s40, s10
; %bb.364:                              ;   in Loop: Header=BB6_128 Depth=2
	v_bfe_u32 v96, v36, 20, 1
	s_delay_alu instid0(VALU_DEP_1) | instskip(NEXT) | instid1(VALU_DEP_1)
	v_add_nc_u64_e32 v[48:49], v[36:37], v[96:97]
	v_add_nc_u64_e32 v[48:49], -1, v[48:49]
; %bb.365:                              ;   in Loop: Header=BB6_128 Depth=2
	s_or_b32 exec_lo, exec_lo, s40
	v_add_nc_u32_e32 v3, 0xffffff81, v31
	v_lshrrev_b32_e32 v31, 23, v36
	s_mov_b32 s10, exec_lo
	s_delay_alu instid0(VALU_DEP_2) | instskip(NEXT) | instid1(VALU_DEP_1)
	v_cndmask_b32_e64 v3, v3, 0xffffff82, vcc_lo
	v_add3_u32 v31, v54, v3, v31
	v_and_b32_e32 v3, 0xfffff, v48
	s_delay_alu instid0(VALU_DEP_1) | instskip(NEXT) | instid1(VALU_DEP_1)
	v_dual_add_nc_u32 v48, 6, v31 :: v_dual_add_nc_u32 v96, v3, v36
                                        ; implicit-def: $vgpr36_vgpr37
                                        ; implicit-def: $vgpr3
	v_cmpx_ne_u32_e32 0, v48
	s_xor_b32 s10, exec_lo, s10
; %bb.366:                              ;   in Loop: Header=BB6_128 Depth=2
	s_delay_alu instid0(VALU_DEP_2) | instskip(SKIP_2) | instid1(VALU_DEP_2)
	v_cmp_lt_u64_e32 vcc_lo, 0xffffff, v[96:97]
	v_add_nc_u32_e32 v3, 7, v31
	v_cndmask_b32_e64 v31, 0, 1, vcc_lo
	v_cndmask_b32_e32 v3, v48, v3, vcc_lo
	s_delay_alu instid0(VALU_DEP_2)
	v_lshrrev_b64 v[36:37], v31, v[96:97]
; %bb.367:                              ;   in Loop: Header=BB6_128 Depth=2
	s_and_not1_saveexec_b32 s10, s10
; %bb.368:                              ;   in Loop: Header=BB6_128 Depth=2
	v_mov_b64_e32 v[36:37], v[96:97]
	v_bfe_u32 v3, v96, 23, 1
; %bb.369:                              ;   in Loop: Header=BB6_128 Depth=2
	s_or_b32 exec_lo, exec_lo, s10
	s_delay_alu instid0(VALU_DEP_2) | instskip(NEXT) | instid1(VALU_DEP_2)
	v_lshrrev_b64 v[36:37], 20, v[36:37]
	v_cmp_gt_i32_e32 vcc_lo, 16, v3
	v_min_i32_e32 v31, 15, v3
	v_cmp_eq_u32_e64 s10, 0, v3
	s_delay_alu instid0(VALU_DEP_2) | instskip(SKIP_1) | instid1(VALU_DEP_2)
	v_dual_cndmask_b32 v37, 0, v37, vcc_lo :: v_dual_lshlrev_b32 v31, 3, v31
	v_cndmask_b32_e32 v36, 7, v36, vcc_lo
	v_and_b32_e32 v31, 0xf8, v31
	s_delay_alu instid0(VALU_DEP_2) | instskip(NEXT) | instid1(VALU_DEP_2)
	v_cmp_eq_u64_e32 vcc_lo, 0, v[36:37]
	v_and_or_b32 v3, v36, 7, v31
	s_and_b32 s10, s10, vcc_lo
	s_delay_alu instid0(VALU_DEP_1) | instid1(SALU_CYCLE_1)
	v_cndmask_b32_e64 v3, v3, 0, s10
	s_delay_alu instid0(VALU_DEP_1)
	v_or_b32_e32 v61, v3, v2
.LBB6_370:                              ;   in Loop: Header=BB6_128 Depth=2
	s_or_b32 exec_lo, exec_lo, s29
                                        ; implicit-def: $vgpr2
.LBB6_371:                              ;   in Loop: Header=BB6_128 Depth=2
	s_and_not1_saveexec_b32 s10, s28
; %bb.372:                              ;   in Loop: Header=BB6_128 Depth=2
	v_or_b32_e32 v61, 0x7e, v2
; %bb.373:                              ;   in Loop: Header=BB6_128 Depth=2
	s_or_b32 exec_lo, exec_lo, s10
                                        ; implicit-def: $vgpr2
.LBB6_374:                              ;   in Loop: Header=BB6_128 Depth=2
	s_and_not1_saveexec_b32 s10, s27
; %bb.375:                              ;   in Loop: Header=BB6_128 Depth=2
	v_or_b32_e32 v61, 0x7f, v2
; %bb.376:                              ;   in Loop: Header=BB6_128 Depth=2
	s_or_b32 exec_lo, exec_lo, s10
	v_and_b32_e32 v31, 0xff, v50
	v_dual_mov_b32 v2, 0 :: v_dual_mov_b32 v3, 0
	s_mov_b32 s10, exec_lo
	s_delay_alu instid0(VALU_DEP_2)
	v_cmpx_ne_u16_e32 0, v31
	s_cbranch_execz .LBB6_382
; %bb.377:                              ;   in Loop: Header=BB6_128 Depth=2
	v_bfrev_b32_e32 v3, 1
	s_mov_b32 s27, exec_lo
	v_cmpx_ne_u16_e32 0x80, v31
	s_cbranch_execz .LBB6_381
; %bb.378:                              ;   in Loop: Header=BB6_128 Depth=2
	v_and_b32_e32 v31, 0x7f, v50
	v_mov_b32_e32 v3, 0x7f800001
	s_mov_b32 s28, exec_lo
	s_delay_alu instid0(VALU_DEP_2)
	v_cmpx_ne_u32_e32 0x7f, v31
	s_cbranch_execz .LBB6_380
; %bb.379:                              ;   in Loop: Header=BB6_128 Depth=2
	v_dual_lshrrev_b32 v36, 3, v31 :: v_dual_bitop2_b32 v3, 7, v50 bitop3:0x40
	v_cmp_gt_u32_e32 vcc_lo, 8, v31
	s_delay_alu instid0(VALU_DEP_2) | instskip(NEXT) | instid1(VALU_DEP_1)
	v_clz_i32_u32_e32 v3, v3
	v_min_u32_e32 v3, 32, v3
	s_delay_alu instid0(VALU_DEP_1) | instskip(NEXT) | instid1(VALU_DEP_1)
	v_subrev_nc_u32_e32 v37, 28, v3
	v_dual_sub_nc_u32 v3, 29, v3 :: v_dual_cndmask_b32 v31, 0, v37, vcc_lo
	s_delay_alu instid0(VALU_DEP_1) | instskip(NEXT) | instid1(VALU_DEP_2)
	v_cndmask_b32_e32 v3, v36, v3, vcc_lo
	v_lshlrev_b64_e32 v[36:37], v31, v[50:51]
	v_lshlrev_b32_e32 v31, 24, v50
	s_delay_alu instid0(VALU_DEP_3) | instskip(NEXT) | instid1(VALU_DEP_2)
	v_lshl_add_u32 v3, v3, 23, 0x3c000000
	v_and_b32_e32 v31, 0x80000000, v31
	s_delay_alu instid0(VALU_DEP_4) | instskip(NEXT) | instid1(VALU_DEP_1)
	v_lshlrev_b32_e32 v36, 20, v36
	v_and_b32_e32 v36, 0x700000, v36
	s_delay_alu instid0(VALU_DEP_1)
	v_or3_b32 v3, v36, v31, v3
.LBB6_380:                              ;   in Loop: Header=BB6_128 Depth=2
	s_or_b32 exec_lo, exec_lo, s28
.LBB6_381:                              ;   in Loop: Header=BB6_128 Depth=2
	s_delay_alu instid0(SALU_CYCLE_1)
	s_or_b32 exec_lo, exec_lo, s27
.LBB6_382:                              ;   in Loop: Header=BB6_128 Depth=2
	s_delay_alu instid0(SALU_CYCLE_1) | instskip(SKIP_2) | instid1(VALU_DEP_1)
	s_or_b32 exec_lo, exec_lo, s10
	v_and_b32_e32 v31, 0xff, v38
	s_mov_b32 s10, exec_lo
	v_cmpx_ne_u16_e32 0, v31
	s_cbranch_execz .LBB6_388
; %bb.383:                              ;   in Loop: Header=BB6_128 Depth=2
	v_bfrev_b32_e32 v2, 1
	s_mov_b32 s27, exec_lo
	v_cmpx_ne_u16_e32 0x80, v31
	s_cbranch_execz .LBB6_387
; %bb.384:                              ;   in Loop: Header=BB6_128 Depth=2
	v_and_b32_e32 v31, 0x7f, v38
	v_mov_b32_e32 v2, 0x7f800001
	s_mov_b32 s28, exec_lo
	s_delay_alu instid0(VALU_DEP_2)
	v_cmpx_ne_u32_e32 0x7f, v31
	s_cbranch_execz .LBB6_386
; %bb.385:                              ;   in Loop: Header=BB6_128 Depth=2
	v_dual_lshrrev_b32 v36, 3, v31 :: v_dual_bitop2_b32 v2, 7, v38 bitop3:0x40
	v_cmp_gt_u32_e32 vcc_lo, 8, v31
	s_delay_alu instid0(VALU_DEP_2) | instskip(NEXT) | instid1(VALU_DEP_1)
	v_clz_i32_u32_e32 v2, v2
	v_min_u32_e32 v2, 32, v2
	s_delay_alu instid0(VALU_DEP_1) | instskip(NEXT) | instid1(VALU_DEP_1)
	v_subrev_nc_u32_e32 v37, 28, v2
	v_dual_cndmask_b32 v31, 0, v37 :: v_dual_sub_nc_u32 v2, 29, v2
	s_delay_alu instid0(VALU_DEP_1) | instskip(NEXT) | instid1(VALU_DEP_2)
	v_cndmask_b32_e32 v2, v36, v2, vcc_lo
	v_lshlrev_b64_e32 v[36:37], v31, v[38:39]
	v_lshlrev_b32_e32 v31, 24, v38
	s_delay_alu instid0(VALU_DEP_1) | instskip(NEXT) | instid1(VALU_DEP_3)
	v_and_b32_e32 v31, 0x80000000, v31
	v_lshlrev_b32_e32 v36, 20, v36
	v_lshl_add_u32 v2, v2, 23, 0x3c000000
	s_delay_alu instid0(VALU_DEP_2) | instskip(NEXT) | instid1(VALU_DEP_1)
	v_and_b32_e32 v36, 0x700000, v36
	v_or3_b32 v2, v36, v31, v2
.LBB6_386:                              ;   in Loop: Header=BB6_128 Depth=2
	s_or_b32 exec_lo, exec_lo, s28
.LBB6_387:                              ;   in Loop: Header=BB6_128 Depth=2
	s_delay_alu instid0(SALU_CYCLE_1)
	s_or_b32 exec_lo, exec_lo, s27
.LBB6_388:                              ;   in Loop: Header=BB6_128 Depth=2
	s_delay_alu instid0(SALU_CYCLE_1) | instskip(NEXT) | instid1(VALU_DEP_1)
	s_or_b32 exec_lo, exec_lo, s10
	v_mul_f32_e32 v3, v3, v2
                                        ; implicit-def: $vgpr62
	s_mov_b32 s10, exec_lo
	s_delay_alu instid0(VALU_DEP_1) | instskip(SKIP_1) | instid1(VALU_DEP_2)
	v_and_b32_e32 v96, 0x7f800000, v3
	v_lshrrev_b32_e32 v2, 24, v3
	v_cmpx_ne_u64_e32 0x7f800000, v[96:97]
	s_xor_b32 s27, exec_lo, s10
	s_cbranch_execz .LBB6_402
; %bb.389:                              ;   in Loop: Header=BB6_128 Depth=2
	v_and_b32_e32 v96, 0x7fffffff, v3
	v_and_b32_e32 v2, 0x80, v2
                                        ; implicit-def: $vgpr62
	s_mov_b32 s10, exec_lo
	s_delay_alu instid0(VALU_DEP_2)
	v_cmpx_gt_u64_e32 0x43e00001, v[96:97]
	s_xor_b32 s28, exec_lo, s10
	s_cbranch_execz .LBB6_399
; %bb.390:                              ;   in Loop: Header=BB6_128 Depth=2
	v_mov_b32_e32 v62, 0
	s_mov_b32 s29, exec_lo
	v_cmpx_ne_u32_e32 0, v3
	s_cbranch_execz .LBB6_398
; %bb.391:                              ;   in Loop: Header=BB6_128 Depth=2
	v_bfe_u32 v31, v3, 23, 8
	v_and_b32_e32 v3, 0x7fffff, v3
	s_delay_alu instid0(VALU_DEP_2) | instskip(SKIP_1) | instid1(VALU_DEP_3)
	v_sub_nc_u32_e32 v36, 0x79, v31
	v_cmp_gt_u32_e32 vcc_lo, 0x7a, v31
	v_or_b32_e32 v48, 0x800000, v3
	s_delay_alu instid0(VALU_DEP_3) | instskip(SKIP_1) | instid1(VALU_DEP_2)
	v_cndmask_b32_e32 v36, 0, v36, vcc_lo
	v_cmp_eq_u32_e32 vcc_lo, 0, v31
	v_cndmask_b32_e64 v54, v36, 0x78, vcc_lo
	s_delay_alu instid0(VALU_DEP_1) | instskip(SKIP_1) | instid1(VALU_DEP_2)
	v_dual_cndmask_b32 v96, v48, v3, vcc_lo :: v_dual_add_nc_u32 v36, 20, v54
	v_add_nc_u32_e32 v49, 19, v54
	v_lshlrev_b64_e64 v[36:37], v36, -1
	s_delay_alu instid0(VALU_DEP_2) | instskip(NEXT) | instid1(VALU_DEP_2)
	v_lshlrev_b64_e64 v[48:49], v49, 1
	v_bfi_b32 v113, v37, 0, 0
	s_delay_alu instid0(VALU_DEP_3) | instskip(SKIP_1) | instid1(VALU_DEP_2)
	v_bfi_b32 v112, v36, 0, v96
	v_lshrrev_b64 v[36:37], v54, v[96:97]
	v_cmp_eq_u64_e64 s10, v[112:113], v[48:49]
	s_delay_alu instid0(VALU_DEP_2)
	v_mov_b64_e32 v[48:49], v[36:37]
	s_and_saveexec_b32 s40, s10
; %bb.392:                              ;   in Loop: Header=BB6_128 Depth=2
	v_bfe_u32 v96, v36, 20, 1
	s_delay_alu instid0(VALU_DEP_1) | instskip(NEXT) | instid1(VALU_DEP_1)
	v_add_nc_u64_e32 v[48:49], v[36:37], v[96:97]
	v_add_nc_u64_e32 v[48:49], -1, v[48:49]
; %bb.393:                              ;   in Loop: Header=BB6_128 Depth=2
	s_or_b32 exec_lo, exec_lo, s40
	v_add_nc_u32_e32 v3, 0xffffff81, v31
	v_lshrrev_b32_e32 v31, 23, v36
	s_mov_b32 s10, exec_lo
	s_delay_alu instid0(VALU_DEP_2) | instskip(NEXT) | instid1(VALU_DEP_1)
	v_cndmask_b32_e64 v3, v3, 0xffffff82, vcc_lo
	v_add3_u32 v31, v54, v3, v31
	v_and_b32_e32 v3, 0xfffff, v48
	s_delay_alu instid0(VALU_DEP_1) | instskip(NEXT) | instid1(VALU_DEP_1)
	v_dual_add_nc_u32 v48, 6, v31 :: v_dual_add_nc_u32 v96, v3, v36
                                        ; implicit-def: $vgpr36_vgpr37
                                        ; implicit-def: $vgpr3
	v_cmpx_ne_u32_e32 0, v48
	s_xor_b32 s10, exec_lo, s10
; %bb.394:                              ;   in Loop: Header=BB6_128 Depth=2
	s_delay_alu instid0(VALU_DEP_2) | instskip(SKIP_2) | instid1(VALU_DEP_2)
	v_cmp_lt_u64_e32 vcc_lo, 0xffffff, v[96:97]
	v_add_nc_u32_e32 v3, 7, v31
	v_cndmask_b32_e64 v31, 0, 1, vcc_lo
	v_cndmask_b32_e32 v3, v48, v3, vcc_lo
	s_delay_alu instid0(VALU_DEP_2)
	v_lshrrev_b64 v[36:37], v31, v[96:97]
; %bb.395:                              ;   in Loop: Header=BB6_128 Depth=2
	s_and_not1_saveexec_b32 s10, s10
; %bb.396:                              ;   in Loop: Header=BB6_128 Depth=2
	v_mov_b64_e32 v[36:37], v[96:97]
	v_bfe_u32 v3, v96, 23, 1
; %bb.397:                              ;   in Loop: Header=BB6_128 Depth=2
	s_or_b32 exec_lo, exec_lo, s10
	s_delay_alu instid0(VALU_DEP_2) | instskip(NEXT) | instid1(VALU_DEP_2)
	v_lshrrev_b64 v[36:37], 20, v[36:37]
	v_cmp_gt_i32_e32 vcc_lo, 16, v3
	v_min_i32_e32 v31, 15, v3
	v_cmp_eq_u32_e64 s10, 0, v3
	s_delay_alu instid0(VALU_DEP_2) | instskip(SKIP_1) | instid1(VALU_DEP_2)
	v_dual_cndmask_b32 v37, 0, v37, vcc_lo :: v_dual_lshlrev_b32 v31, 3, v31
	v_cndmask_b32_e32 v36, 7, v36, vcc_lo
	v_and_b32_e32 v31, 0xf8, v31
	s_delay_alu instid0(VALU_DEP_2) | instskip(NEXT) | instid1(VALU_DEP_2)
	v_cmp_eq_u64_e32 vcc_lo, 0, v[36:37]
	v_and_or_b32 v3, v36, 7, v31
	s_and_b32 s10, s10, vcc_lo
	s_delay_alu instid0(VALU_DEP_1) | instid1(SALU_CYCLE_1)
	v_cndmask_b32_e64 v3, v3, 0, s10
	s_delay_alu instid0(VALU_DEP_1)
	v_or_b32_e32 v62, v3, v2
.LBB6_398:                              ;   in Loop: Header=BB6_128 Depth=2
	s_or_b32 exec_lo, exec_lo, s29
                                        ; implicit-def: $vgpr2
.LBB6_399:                              ;   in Loop: Header=BB6_128 Depth=2
	s_and_not1_saveexec_b32 s10, s28
; %bb.400:                              ;   in Loop: Header=BB6_128 Depth=2
	v_or_b32_e32 v62, 0x7e, v2
; %bb.401:                              ;   in Loop: Header=BB6_128 Depth=2
	s_or_b32 exec_lo, exec_lo, s10
                                        ; implicit-def: $vgpr2
.LBB6_402:                              ;   in Loop: Header=BB6_128 Depth=2
	s_and_not1_saveexec_b32 s10, s27
; %bb.403:                              ;   in Loop: Header=BB6_128 Depth=2
	v_or_b32_e32 v62, 0x7f, v2
; %bb.404:                              ;   in Loop: Header=BB6_128 Depth=2
	s_or_b32 exec_lo, exec_lo, s10
	v_lshrrev_b16 v31, 8, v50
	v_dual_mov_b32 v2, 0 :: v_dual_mov_b32 v3, 0
	s_mov_b32 s10, exec_lo
	s_delay_alu instid0(VALU_DEP_2)
	v_cmpx_ne_u16_e32 0, v31
	s_cbranch_execz .LBB6_412
; %bb.405:                              ;   in Loop: Header=BB6_128 Depth=2
	v_bfrev_b32_e32 v3, 1
	s_mov_b32 s27, exec_lo
	v_cmpx_ne_u16_e32 0x80, v31
	s_cbranch_execz .LBB6_411
; %bb.406:                              ;   in Loop: Header=BB6_128 Depth=2
	v_and_b32_e32 v36, 0xffff, v31
	v_mov_b32_e32 v3, 0x7f800001
	s_mov_b32 s28, exec_lo
	s_delay_alu instid0(VALU_DEP_2) | instskip(NEXT) | instid1(VALU_DEP_1)
	v_and_b32_e32 v31, 0x7f, v36
	v_cmpx_ne_u32_e32 0x7f, v31
	s_cbranch_execz .LBB6_410
; %bb.407:                              ;   in Loop: Header=BB6_128 Depth=2
	v_dual_lshrrev_b32 v3, 3, v31 :: v_dual_bitop2_b32 v96, 7, v36 bitop3:0x40
	s_mov_b32 s29, exec_lo
	v_cmpx_gt_u32_e32 8, v31
; %bb.408:                              ;   in Loop: Header=BB6_128 Depth=2
	s_delay_alu instid0(VALU_DEP_2) | instskip(NEXT) | instid1(VALU_DEP_1)
	v_clz_i32_u32_e32 v3, v96
	v_min_u32_e32 v3, 32, v3
	s_delay_alu instid0(VALU_DEP_1) | instskip(NEXT) | instid1(VALU_DEP_1)
	v_subrev_nc_u32_e32 v31, 28, v3
	v_lshlrev_b64_e32 v[36:37], v31, v[96:97]
	s_delay_alu instid0(VALU_DEP_1)
	v_dual_sub_nc_u32 v3, 29, v3 :: v_dual_bitop2_b32 v96, 7, v36 bitop3:0x40
; %bb.409:                              ;   in Loop: Header=BB6_128 Depth=2
	s_or_b32 exec_lo, exec_lo, s29
	s_delay_alu instid0(VALU_DEP_1) | instskip(NEXT) | instid1(VALU_DEP_2)
	v_dual_lshlrev_b32 v31, 16, v50 :: v_dual_lshlrev_b32 v36, 20, v96
	v_lshl_add_u32 v3, v3, 23, 0x3c000000
	s_delay_alu instid0(VALU_DEP_2) | instskip(NEXT) | instid1(VALU_DEP_1)
	v_and_b32_e32 v31, 0x80000000, v31
	v_or3_b32 v3, v36, v31, v3
.LBB6_410:                              ;   in Loop: Header=BB6_128 Depth=2
	s_or_b32 exec_lo, exec_lo, s28
.LBB6_411:                              ;   in Loop: Header=BB6_128 Depth=2
	s_delay_alu instid0(SALU_CYCLE_1)
	s_or_b32 exec_lo, exec_lo, s27
.LBB6_412:                              ;   in Loop: Header=BB6_128 Depth=2
	s_delay_alu instid0(SALU_CYCLE_1) | instskip(SKIP_2) | instid1(VALU_DEP_1)
	s_or_b32 exec_lo, exec_lo, s10
	v_lshrrev_b16 v31, 8, v38
	s_mov_b32 s10, exec_lo
	v_cmpx_ne_u16_e32 0, v31
	s_cbranch_execz .LBB6_420
; %bb.413:                              ;   in Loop: Header=BB6_128 Depth=2
	v_bfrev_b32_e32 v2, 1
	s_mov_b32 s27, exec_lo
	v_cmpx_ne_u16_e32 0x80, v31
	s_cbranch_execz .LBB6_419
; %bb.414:                              ;   in Loop: Header=BB6_128 Depth=2
	v_and_b32_e32 v36, 0xffff, v31
	v_mov_b32_e32 v2, 0x7f800001
	s_mov_b32 s28, exec_lo
	s_delay_alu instid0(VALU_DEP_2) | instskip(NEXT) | instid1(VALU_DEP_1)
	v_and_b32_e32 v31, 0x7f, v36
	v_cmpx_ne_u32_e32 0x7f, v31
	s_cbranch_execz .LBB6_418
; %bb.415:                              ;   in Loop: Header=BB6_128 Depth=2
	v_dual_lshrrev_b32 v2, 3, v31 :: v_dual_bitop2_b32 v96, 7, v36 bitop3:0x40
	s_mov_b32 s29, exec_lo
	v_cmpx_gt_u32_e32 8, v31
; %bb.416:                              ;   in Loop: Header=BB6_128 Depth=2
	s_delay_alu instid0(VALU_DEP_2) | instskip(NEXT) | instid1(VALU_DEP_1)
	v_clz_i32_u32_e32 v2, v96
	v_min_u32_e32 v2, 32, v2
	s_delay_alu instid0(VALU_DEP_1) | instskip(NEXT) | instid1(VALU_DEP_1)
	v_subrev_nc_u32_e32 v31, 28, v2
	v_lshlrev_b64_e32 v[36:37], v31, v[96:97]
	s_delay_alu instid0(VALU_DEP_1)
	v_dual_sub_nc_u32 v2, 29, v2 :: v_dual_bitop2_b32 v96, 7, v36 bitop3:0x40
; %bb.417:                              ;   in Loop: Header=BB6_128 Depth=2
	s_or_b32 exec_lo, exec_lo, s29
	s_delay_alu instid0(VALU_DEP_1) | instskip(NEXT) | instid1(VALU_DEP_2)
	v_dual_lshlrev_b32 v31, 16, v38 :: v_dual_lshlrev_b32 v36, 20, v96
	v_lshl_add_u32 v2, v2, 23, 0x3c000000
	s_delay_alu instid0(VALU_DEP_2) | instskip(NEXT) | instid1(VALU_DEP_1)
	v_and_b32_e32 v31, 0x80000000, v31
	v_or3_b32 v2, v36, v31, v2
.LBB6_418:                              ;   in Loop: Header=BB6_128 Depth=2
	s_or_b32 exec_lo, exec_lo, s28
.LBB6_419:                              ;   in Loop: Header=BB6_128 Depth=2
	s_delay_alu instid0(SALU_CYCLE_1)
	s_or_b32 exec_lo, exec_lo, s27
.LBB6_420:                              ;   in Loop: Header=BB6_128 Depth=2
	s_delay_alu instid0(SALU_CYCLE_1) | instskip(NEXT) | instid1(VALU_DEP_1)
	s_or_b32 exec_lo, exec_lo, s10
	v_mul_f32_e32 v3, v3, v2
                                        ; implicit-def: $vgpr63
	s_mov_b32 s10, exec_lo
	s_delay_alu instid0(VALU_DEP_1) | instskip(SKIP_1) | instid1(VALU_DEP_2)
	v_and_b32_e32 v96, 0x7f800000, v3
	v_lshrrev_b32_e32 v2, 24, v3
	v_cmpx_ne_u64_e32 0x7f800000, v[96:97]
	s_xor_b32 s27, exec_lo, s10
	s_cbranch_execz .LBB6_434
; %bb.421:                              ;   in Loop: Header=BB6_128 Depth=2
	v_and_b32_e32 v96, 0x7fffffff, v3
	v_and_b32_e32 v2, 0x80, v2
                                        ; implicit-def: $vgpr63
	s_mov_b32 s10, exec_lo
	s_delay_alu instid0(VALU_DEP_2)
	v_cmpx_gt_u64_e32 0x43e00001, v[96:97]
	s_xor_b32 s28, exec_lo, s10
	s_cbranch_execz .LBB6_431
; %bb.422:                              ;   in Loop: Header=BB6_128 Depth=2
	v_mov_b32_e32 v63, 0
	s_mov_b32 s29, exec_lo
	v_cmpx_ne_u32_e32 0, v3
	s_cbranch_execz .LBB6_430
; %bb.423:                              ;   in Loop: Header=BB6_128 Depth=2
	v_bfe_u32 v31, v3, 23, 8
	v_and_b32_e32 v3, 0x7fffff, v3
	s_delay_alu instid0(VALU_DEP_2) | instskip(SKIP_1) | instid1(VALU_DEP_3)
	v_sub_nc_u32_e32 v36, 0x79, v31
	v_cmp_gt_u32_e32 vcc_lo, 0x7a, v31
	v_or_b32_e32 v48, 0x800000, v3
	s_delay_alu instid0(VALU_DEP_3) | instskip(SKIP_1) | instid1(VALU_DEP_2)
	v_cndmask_b32_e32 v36, 0, v36, vcc_lo
	v_cmp_eq_u32_e32 vcc_lo, 0, v31
	v_cndmask_b32_e64 v54, v36, 0x78, vcc_lo
	s_delay_alu instid0(VALU_DEP_1) | instskip(SKIP_1) | instid1(VALU_DEP_2)
	v_dual_cndmask_b32 v96, v48, v3, vcc_lo :: v_dual_add_nc_u32 v36, 20, v54
	v_add_nc_u32_e32 v49, 19, v54
	v_lshlrev_b64_e64 v[36:37], v36, -1
	s_delay_alu instid0(VALU_DEP_2) | instskip(NEXT) | instid1(VALU_DEP_2)
	v_lshlrev_b64_e64 v[48:49], v49, 1
	v_bfi_b32 v113, v37, 0, 0
	s_delay_alu instid0(VALU_DEP_3) | instskip(SKIP_1) | instid1(VALU_DEP_2)
	v_bfi_b32 v112, v36, 0, v96
	v_lshrrev_b64 v[36:37], v54, v[96:97]
	v_cmp_eq_u64_e64 s10, v[112:113], v[48:49]
	s_delay_alu instid0(VALU_DEP_2)
	v_mov_b64_e32 v[48:49], v[36:37]
	s_and_saveexec_b32 s40, s10
; %bb.424:                              ;   in Loop: Header=BB6_128 Depth=2
	v_bfe_u32 v96, v36, 20, 1
	s_delay_alu instid0(VALU_DEP_1) | instskip(NEXT) | instid1(VALU_DEP_1)
	v_add_nc_u64_e32 v[48:49], v[36:37], v[96:97]
	v_add_nc_u64_e32 v[48:49], -1, v[48:49]
; %bb.425:                              ;   in Loop: Header=BB6_128 Depth=2
	s_or_b32 exec_lo, exec_lo, s40
	v_add_nc_u32_e32 v3, 0xffffff81, v31
	v_lshrrev_b32_e32 v31, 23, v36
	s_mov_b32 s10, exec_lo
	s_delay_alu instid0(VALU_DEP_2) | instskip(NEXT) | instid1(VALU_DEP_1)
	v_cndmask_b32_e64 v3, v3, 0xffffff82, vcc_lo
	v_add3_u32 v31, v54, v3, v31
	v_and_b32_e32 v3, 0xfffff, v48
	s_delay_alu instid0(VALU_DEP_1) | instskip(NEXT) | instid1(VALU_DEP_1)
	v_dual_add_nc_u32 v48, 6, v31 :: v_dual_add_nc_u32 v96, v3, v36
                                        ; implicit-def: $vgpr36_vgpr37
                                        ; implicit-def: $vgpr3
	v_cmpx_ne_u32_e32 0, v48
	s_xor_b32 s10, exec_lo, s10
; %bb.426:                              ;   in Loop: Header=BB6_128 Depth=2
	s_delay_alu instid0(VALU_DEP_2) | instskip(SKIP_2) | instid1(VALU_DEP_2)
	v_cmp_lt_u64_e32 vcc_lo, 0xffffff, v[96:97]
	v_add_nc_u32_e32 v3, 7, v31
	v_cndmask_b32_e64 v31, 0, 1, vcc_lo
	v_cndmask_b32_e32 v3, v48, v3, vcc_lo
	s_delay_alu instid0(VALU_DEP_2)
	v_lshrrev_b64 v[36:37], v31, v[96:97]
; %bb.427:                              ;   in Loop: Header=BB6_128 Depth=2
	s_and_not1_saveexec_b32 s10, s10
; %bb.428:                              ;   in Loop: Header=BB6_128 Depth=2
	v_mov_b64_e32 v[36:37], v[96:97]
	v_bfe_u32 v3, v96, 23, 1
; %bb.429:                              ;   in Loop: Header=BB6_128 Depth=2
	s_or_b32 exec_lo, exec_lo, s10
	s_delay_alu instid0(VALU_DEP_2) | instskip(NEXT) | instid1(VALU_DEP_2)
	v_lshrrev_b64 v[36:37], 20, v[36:37]
	v_cmp_gt_i32_e32 vcc_lo, 16, v3
	v_min_i32_e32 v31, 15, v3
	v_cmp_eq_u32_e64 s10, 0, v3
	s_delay_alu instid0(VALU_DEP_2) | instskip(SKIP_1) | instid1(VALU_DEP_2)
	v_dual_cndmask_b32 v37, 0, v37, vcc_lo :: v_dual_lshlrev_b32 v31, 3, v31
	v_cndmask_b32_e32 v36, 7, v36, vcc_lo
	v_and_b32_e32 v31, 0xf8, v31
	s_delay_alu instid0(VALU_DEP_2) | instskip(NEXT) | instid1(VALU_DEP_2)
	v_cmp_eq_u64_e32 vcc_lo, 0, v[36:37]
	v_and_or_b32 v3, v36, 7, v31
	s_and_b32 s10, s10, vcc_lo
	s_delay_alu instid0(VALU_DEP_1) | instid1(SALU_CYCLE_1)
	v_cndmask_b32_e64 v3, v3, 0, s10
	s_delay_alu instid0(VALU_DEP_1)
	v_or_b32_e32 v63, v3, v2
.LBB6_430:                              ;   in Loop: Header=BB6_128 Depth=2
	s_or_b32 exec_lo, exec_lo, s29
                                        ; implicit-def: $vgpr2
.LBB6_431:                              ;   in Loop: Header=BB6_128 Depth=2
	s_and_not1_saveexec_b32 s10, s28
; %bb.432:                              ;   in Loop: Header=BB6_128 Depth=2
	v_or_b32_e32 v63, 0x7e, v2
; %bb.433:                              ;   in Loop: Header=BB6_128 Depth=2
	s_or_b32 exec_lo, exec_lo, s10
                                        ; implicit-def: $vgpr2
.LBB6_434:                              ;   in Loop: Header=BB6_128 Depth=2
	s_and_not1_saveexec_b32 s10, s27
; %bb.435:                              ;   in Loop: Header=BB6_128 Depth=2
	v_or_b32_e32 v63, 0x7f, v2
; %bb.436:                              ;   in Loop: Header=BB6_128 Depth=2
	s_or_b32 exec_lo, exec_lo, s10
	v_dual_mov_b32 v2, 0 :: v_dual_lshrrev_b32 v31, 16, v50
	v_mov_b32_e32 v3, 0
	s_mov_b32 s10, exec_lo
	s_delay_alu instid0(VALU_DEP_2) | instskip(NEXT) | instid1(VALU_DEP_1)
	v_and_b32_e32 v36, 0xff, v31
	v_cmpx_ne_u16_e32 0, v36
	s_cbranch_execz .LBB6_444
; %bb.437:                              ;   in Loop: Header=BB6_128 Depth=2
	v_bfrev_b32_e32 v3, 1
	s_mov_b32 s27, exec_lo
	v_cmpx_ne_u16_e32 0x80, v36
	s_cbranch_execz .LBB6_443
; %bb.438:                              ;   in Loop: Header=BB6_128 Depth=2
	v_bfe_u32 v36, v50, 16, 7
	v_mov_b32_e32 v3, 0x7f800001
	s_mov_b32 s28, exec_lo
	s_delay_alu instid0(VALU_DEP_2)
	v_cmpx_ne_u32_e32 0x7f, v36
	s_cbranch_execz .LBB6_442
; %bb.439:                              ;   in Loop: Header=BB6_128 Depth=2
	v_dual_lshrrev_b32 v3, 3, v36 :: v_dual_bitop2_b32 v96, 7, v31 bitop3:0x40
	s_mov_b32 s29, exec_lo
	v_cmpx_gt_u32_e32 8, v36
; %bb.440:                              ;   in Loop: Header=BB6_128 Depth=2
	s_delay_alu instid0(VALU_DEP_2) | instskip(NEXT) | instid1(VALU_DEP_1)
	v_clz_i32_u32_e32 v3, v96
	v_min_u32_e32 v3, 32, v3
	s_delay_alu instid0(VALU_DEP_1) | instskip(NEXT) | instid1(VALU_DEP_1)
	v_subrev_nc_u32_e32 v36, 28, v3
	v_lshlrev_b64_e32 v[36:37], v36, v[96:97]
	s_delay_alu instid0(VALU_DEP_1)
	v_dual_sub_nc_u32 v3, 29, v3 :: v_dual_bitop2_b32 v96, 7, v36 bitop3:0x40
; %bb.441:                              ;   in Loop: Header=BB6_128 Depth=2
	s_or_b32 exec_lo, exec_lo, s29
	s_delay_alu instid0(VALU_DEP_1) | instskip(NEXT) | instid1(VALU_DEP_2)
	v_dual_lshlrev_b32 v31, 24, v31 :: v_dual_lshlrev_b32 v36, 20, v96
	v_lshl_add_u32 v3, v3, 23, 0x3c000000
	s_delay_alu instid0(VALU_DEP_2) | instskip(NEXT) | instid1(VALU_DEP_1)
	v_and_b32_e32 v31, 0x80000000, v31
	v_or3_b32 v3, v36, v31, v3
.LBB6_442:                              ;   in Loop: Header=BB6_128 Depth=2
	s_or_b32 exec_lo, exec_lo, s28
.LBB6_443:                              ;   in Loop: Header=BB6_128 Depth=2
	s_delay_alu instid0(SALU_CYCLE_1)
	s_or_b32 exec_lo, exec_lo, s27
.LBB6_444:                              ;   in Loop: Header=BB6_128 Depth=2
	s_delay_alu instid0(SALU_CYCLE_1) | instskip(SKIP_2) | instid1(VALU_DEP_1)
	s_or_b32 exec_lo, exec_lo, s10
	v_lshrrev_b32_e32 v31, 16, v38
	s_mov_b32 s10, exec_lo
	v_and_b32_e32 v36, 0xff, v31
	s_delay_alu instid0(VALU_DEP_1)
	v_cmpx_ne_u16_e32 0, v36
	s_cbranch_execz .LBB6_452
; %bb.445:                              ;   in Loop: Header=BB6_128 Depth=2
	v_bfrev_b32_e32 v2, 1
	s_mov_b32 s27, exec_lo
	v_cmpx_ne_u16_e32 0x80, v36
	s_cbranch_execz .LBB6_451
; %bb.446:                              ;   in Loop: Header=BB6_128 Depth=2
	v_bfe_u32 v36, v38, 16, 7
	v_mov_b32_e32 v2, 0x7f800001
	s_mov_b32 s28, exec_lo
	s_delay_alu instid0(VALU_DEP_2)
	v_cmpx_ne_u32_e32 0x7f, v36
	s_cbranch_execz .LBB6_450
; %bb.447:                              ;   in Loop: Header=BB6_128 Depth=2
	v_dual_lshrrev_b32 v2, 3, v36 :: v_dual_bitop2_b32 v96, 7, v31 bitop3:0x40
	s_mov_b32 s29, exec_lo
	v_cmpx_gt_u32_e32 8, v36
; %bb.448:                              ;   in Loop: Header=BB6_128 Depth=2
	s_delay_alu instid0(VALU_DEP_2) | instskip(NEXT) | instid1(VALU_DEP_1)
	v_clz_i32_u32_e32 v2, v96
	v_min_u32_e32 v2, 32, v2
	s_delay_alu instid0(VALU_DEP_1) | instskip(NEXT) | instid1(VALU_DEP_1)
	v_subrev_nc_u32_e32 v31, 28, v2
	v_lshlrev_b64_e32 v[36:37], v31, v[96:97]
	s_delay_alu instid0(VALU_DEP_1)
	v_dual_sub_nc_u32 v2, 29, v2 :: v_dual_bitop2_b32 v96, 7, v36 bitop3:0x40
; %bb.449:                              ;   in Loop: Header=BB6_128 Depth=2
	s_or_b32 exec_lo, exec_lo, s29
	s_delay_alu instid0(VALU_DEP_1) | instskip(NEXT) | instid1(VALU_DEP_2)
	v_dual_lshlrev_b32 v31, 8, v38 :: v_dual_lshlrev_b32 v36, 20, v96
	v_lshl_add_u32 v2, v2, 23, 0x3c000000
	s_delay_alu instid0(VALU_DEP_2) | instskip(NEXT) | instid1(VALU_DEP_1)
	v_and_b32_e32 v31, 0x80000000, v31
	v_or3_b32 v2, v36, v31, v2
.LBB6_450:                              ;   in Loop: Header=BB6_128 Depth=2
	s_or_b32 exec_lo, exec_lo, s28
.LBB6_451:                              ;   in Loop: Header=BB6_128 Depth=2
	s_delay_alu instid0(SALU_CYCLE_1)
	s_or_b32 exec_lo, exec_lo, s27
.LBB6_452:                              ;   in Loop: Header=BB6_128 Depth=2
	s_delay_alu instid0(SALU_CYCLE_1) | instskip(NEXT) | instid1(VALU_DEP_1)
	s_or_b32 exec_lo, exec_lo, s10
	v_mul_f32_e32 v3, v3, v2
                                        ; implicit-def: $vgpr92
	s_mov_b32 s10, exec_lo
	s_delay_alu instid0(VALU_DEP_1) | instskip(SKIP_1) | instid1(VALU_DEP_2)
	v_and_b32_e32 v96, 0x7f800000, v3
	v_lshrrev_b32_e32 v2, 24, v3
	v_cmpx_ne_u64_e32 0x7f800000, v[96:97]
	s_xor_b32 s27, exec_lo, s10
	s_cbranch_execz .LBB6_466
; %bb.453:                              ;   in Loop: Header=BB6_128 Depth=2
	v_and_b32_e32 v96, 0x7fffffff, v3
	v_and_b32_e32 v2, 0x80, v2
                                        ; implicit-def: $vgpr92
	s_mov_b32 s10, exec_lo
	s_delay_alu instid0(VALU_DEP_2)
	v_cmpx_gt_u64_e32 0x43e00001, v[96:97]
	s_xor_b32 s28, exec_lo, s10
	s_cbranch_execz .LBB6_463
; %bb.454:                              ;   in Loop: Header=BB6_128 Depth=2
	v_mov_b32_e32 v92, 0
	s_mov_b32 s29, exec_lo
	v_cmpx_ne_u32_e32 0, v3
	s_cbranch_execz .LBB6_462
; %bb.455:                              ;   in Loop: Header=BB6_128 Depth=2
	v_bfe_u32 v31, v3, 23, 8
	v_and_b32_e32 v3, 0x7fffff, v3
	s_delay_alu instid0(VALU_DEP_2) | instskip(SKIP_1) | instid1(VALU_DEP_3)
	v_sub_nc_u32_e32 v36, 0x79, v31
	v_cmp_gt_u32_e32 vcc_lo, 0x7a, v31
	v_or_b32_e32 v48, 0x800000, v3
	s_delay_alu instid0(VALU_DEP_3) | instskip(SKIP_1) | instid1(VALU_DEP_2)
	v_cndmask_b32_e32 v36, 0, v36, vcc_lo
	v_cmp_eq_u32_e32 vcc_lo, 0, v31
	v_cndmask_b32_e64 v54, v36, 0x78, vcc_lo
	s_delay_alu instid0(VALU_DEP_1) | instskip(SKIP_1) | instid1(VALU_DEP_2)
	v_dual_cndmask_b32 v96, v48, v3, vcc_lo :: v_dual_add_nc_u32 v36, 20, v54
	v_add_nc_u32_e32 v49, 19, v54
	v_lshlrev_b64_e64 v[36:37], v36, -1
	s_delay_alu instid0(VALU_DEP_2) | instskip(NEXT) | instid1(VALU_DEP_2)
	v_lshlrev_b64_e64 v[48:49], v49, 1
	v_bfi_b32 v113, v37, 0, 0
	s_delay_alu instid0(VALU_DEP_3) | instskip(SKIP_1) | instid1(VALU_DEP_2)
	v_bfi_b32 v112, v36, 0, v96
	v_lshrrev_b64 v[36:37], v54, v[96:97]
	v_cmp_eq_u64_e64 s10, v[112:113], v[48:49]
	s_delay_alu instid0(VALU_DEP_2)
	v_mov_b64_e32 v[48:49], v[36:37]
	s_and_saveexec_b32 s40, s10
; %bb.456:                              ;   in Loop: Header=BB6_128 Depth=2
	v_bfe_u32 v96, v36, 20, 1
	s_delay_alu instid0(VALU_DEP_1) | instskip(NEXT) | instid1(VALU_DEP_1)
	v_add_nc_u64_e32 v[48:49], v[36:37], v[96:97]
	v_add_nc_u64_e32 v[48:49], -1, v[48:49]
; %bb.457:                              ;   in Loop: Header=BB6_128 Depth=2
	s_or_b32 exec_lo, exec_lo, s40
	v_add_nc_u32_e32 v3, 0xffffff81, v31
	v_lshrrev_b32_e32 v31, 23, v36
	s_mov_b32 s10, exec_lo
	s_delay_alu instid0(VALU_DEP_2) | instskip(NEXT) | instid1(VALU_DEP_1)
	v_cndmask_b32_e64 v3, v3, 0xffffff82, vcc_lo
	v_add3_u32 v31, v54, v3, v31
	v_and_b32_e32 v3, 0xfffff, v48
	s_delay_alu instid0(VALU_DEP_1) | instskip(NEXT) | instid1(VALU_DEP_1)
	v_dual_add_nc_u32 v48, 6, v31 :: v_dual_add_nc_u32 v96, v3, v36
                                        ; implicit-def: $vgpr36_vgpr37
                                        ; implicit-def: $vgpr3
	v_cmpx_ne_u32_e32 0, v48
	s_xor_b32 s10, exec_lo, s10
; %bb.458:                              ;   in Loop: Header=BB6_128 Depth=2
	s_delay_alu instid0(VALU_DEP_2) | instskip(SKIP_2) | instid1(VALU_DEP_2)
	v_cmp_lt_u64_e32 vcc_lo, 0xffffff, v[96:97]
	v_add_nc_u32_e32 v3, 7, v31
	v_cndmask_b32_e64 v31, 0, 1, vcc_lo
	v_cndmask_b32_e32 v3, v48, v3, vcc_lo
	s_delay_alu instid0(VALU_DEP_2)
	v_lshrrev_b64 v[36:37], v31, v[96:97]
; %bb.459:                              ;   in Loop: Header=BB6_128 Depth=2
	s_and_not1_saveexec_b32 s10, s10
; %bb.460:                              ;   in Loop: Header=BB6_128 Depth=2
	v_mov_b64_e32 v[36:37], v[96:97]
	v_bfe_u32 v3, v96, 23, 1
; %bb.461:                              ;   in Loop: Header=BB6_128 Depth=2
	s_or_b32 exec_lo, exec_lo, s10
	s_delay_alu instid0(VALU_DEP_2) | instskip(NEXT) | instid1(VALU_DEP_2)
	v_lshrrev_b64 v[36:37], 20, v[36:37]
	v_cmp_gt_i32_e32 vcc_lo, 16, v3
	v_min_i32_e32 v31, 15, v3
	v_cmp_eq_u32_e64 s10, 0, v3
	s_delay_alu instid0(VALU_DEP_2) | instskip(SKIP_1) | instid1(VALU_DEP_2)
	v_dual_cndmask_b32 v37, 0, v37, vcc_lo :: v_dual_lshlrev_b32 v31, 3, v31
	v_cndmask_b32_e32 v36, 7, v36, vcc_lo
	v_and_b32_e32 v31, 0xf8, v31
	s_delay_alu instid0(VALU_DEP_2) | instskip(NEXT) | instid1(VALU_DEP_2)
	v_cmp_eq_u64_e32 vcc_lo, 0, v[36:37]
	v_and_or_b32 v3, v36, 7, v31
	s_and_b32 s10, s10, vcc_lo
	s_delay_alu instid0(VALU_DEP_1) | instid1(SALU_CYCLE_1)
	v_cndmask_b32_e64 v3, v3, 0, s10
	s_delay_alu instid0(VALU_DEP_1)
	v_or_b32_e32 v92, v3, v2
.LBB6_462:                              ;   in Loop: Header=BB6_128 Depth=2
	s_or_b32 exec_lo, exec_lo, s29
                                        ; implicit-def: $vgpr2
.LBB6_463:                              ;   in Loop: Header=BB6_128 Depth=2
	s_and_not1_saveexec_b32 s10, s28
; %bb.464:                              ;   in Loop: Header=BB6_128 Depth=2
	v_or_b32_e32 v92, 0x7e, v2
; %bb.465:                              ;   in Loop: Header=BB6_128 Depth=2
	s_or_b32 exec_lo, exec_lo, s10
                                        ; implicit-def: $vgpr2
.LBB6_466:                              ;   in Loop: Header=BB6_128 Depth=2
	s_and_not1_saveexec_b32 s10, s27
; %bb.467:                              ;   in Loop: Header=BB6_128 Depth=2
	v_or_b32_e32 v92, 0x7f, v2
; %bb.468:                              ;   in Loop: Header=BB6_128 Depth=2
	s_or_b32 exec_lo, exec_lo, s10
	v_dual_mov_b32 v2, 0 :: v_dual_mov_b32 v3, 0
	s_mov_b32 s10, exec_lo
	v_cmpx_lt_u32_e32 0xffffff, v50
	s_cbranch_execz .LBB6_476
; %bb.469:                              ;   in Loop: Header=BB6_128 Depth=2
	v_lshrrev_b32_e32 v31, 24, v50
	v_bfrev_b32_e32 v3, 1
	s_mov_b32 s27, exec_lo
	s_delay_alu instid0(VALU_DEP_2)
	v_cmpx_ne_u32_e32 0x80, v31
	s_cbranch_execz .LBB6_475
; %bb.470:                              ;   in Loop: Header=BB6_128 Depth=2
	v_bfe_u32 v36, v50, 24, 7
	v_mov_b32_e32 v3, 0x7f800001
	s_mov_b32 s28, exec_lo
	s_delay_alu instid0(VALU_DEP_2)
	v_cmpx_ne_u32_e32 0x7f, v36
	s_cbranch_execz .LBB6_474
; %bb.471:                              ;   in Loop: Header=BB6_128 Depth=2
	v_dual_lshrrev_b32 v3, 3, v36 :: v_dual_bitop2_b32 v96, 7, v31 bitop3:0x40
	s_mov_b32 s29, exec_lo
	v_cmpx_gt_u32_e32 8, v36
; %bb.472:                              ;   in Loop: Header=BB6_128 Depth=2
	s_delay_alu instid0(VALU_DEP_2) | instskip(NEXT) | instid1(VALU_DEP_1)
	v_clz_i32_u32_e32 v3, v96
	v_min_u32_e32 v3, 32, v3
	s_delay_alu instid0(VALU_DEP_1) | instskip(NEXT) | instid1(VALU_DEP_1)
	v_subrev_nc_u32_e32 v36, 28, v3
	v_lshlrev_b64_e32 v[36:37], v36, v[96:97]
	s_delay_alu instid0(VALU_DEP_1)
	v_dual_sub_nc_u32 v3, 29, v3 :: v_dual_bitop2_b32 v96, 7, v36 bitop3:0x40
; %bb.473:                              ;   in Loop: Header=BB6_128 Depth=2
	s_or_b32 exec_lo, exec_lo, s29
	s_delay_alu instid0(VALU_DEP_1) | instskip(NEXT) | instid1(VALU_DEP_2)
	v_dual_lshlrev_b32 v31, 24, v31 :: v_dual_lshlrev_b32 v36, 20, v96
	v_lshl_add_u32 v3, v3, 23, 0x3c000000
	s_delay_alu instid0(VALU_DEP_2) | instskip(NEXT) | instid1(VALU_DEP_1)
	v_and_b32_e32 v31, 0x80000000, v31
	v_or3_b32 v3, v36, v31, v3
.LBB6_474:                              ;   in Loop: Header=BB6_128 Depth=2
	s_or_b32 exec_lo, exec_lo, s28
.LBB6_475:                              ;   in Loop: Header=BB6_128 Depth=2
	s_delay_alu instid0(SALU_CYCLE_1)
	s_or_b32 exec_lo, exec_lo, s27
.LBB6_476:                              ;   in Loop: Header=BB6_128 Depth=2
	s_delay_alu instid0(SALU_CYCLE_1) | instskip(NEXT) | instid1(SALU_CYCLE_1)
	s_or_b32 exec_lo, exec_lo, s10
	s_mov_b32 s10, exec_lo
	v_cmpx_lt_u32_e32 0xffffff, v38
	s_cbranch_execz .LBB6_484
; %bb.477:                              ;   in Loop: Header=BB6_128 Depth=2
	v_lshrrev_b32_e32 v31, 24, v38
	v_bfrev_b32_e32 v2, 1
	s_mov_b32 s27, exec_lo
	s_delay_alu instid0(VALU_DEP_2)
	v_cmpx_ne_u32_e32 0x80, v31
	s_cbranch_execz .LBB6_483
; %bb.478:                              ;   in Loop: Header=BB6_128 Depth=2
	v_bfe_u32 v36, v38, 24, 7
	v_mov_b32_e32 v2, 0x7f800001
	s_mov_b32 s28, exec_lo
	s_delay_alu instid0(VALU_DEP_2)
	v_cmpx_ne_u32_e32 0x7f, v36
	s_cbranch_execz .LBB6_482
; %bb.479:                              ;   in Loop: Header=BB6_128 Depth=2
	v_dual_lshrrev_b32 v2, 3, v36 :: v_dual_bitop2_b32 v96, 7, v31 bitop3:0x40
	s_mov_b32 s29, exec_lo
	v_cmpx_gt_u32_e32 8, v36
; %bb.480:                              ;   in Loop: Header=BB6_128 Depth=2
	s_delay_alu instid0(VALU_DEP_2) | instskip(NEXT) | instid1(VALU_DEP_1)
	v_clz_i32_u32_e32 v2, v96
	v_min_u32_e32 v2, 32, v2
	s_delay_alu instid0(VALU_DEP_1) | instskip(NEXT) | instid1(VALU_DEP_1)
	v_subrev_nc_u32_e32 v36, 28, v2
	v_lshlrev_b64_e32 v[36:37], v36, v[96:97]
	s_delay_alu instid0(VALU_DEP_1)
	v_dual_sub_nc_u32 v2, 29, v2 :: v_dual_bitop2_b32 v96, 7, v36 bitop3:0x40
; %bb.481:                              ;   in Loop: Header=BB6_128 Depth=2
	s_or_b32 exec_lo, exec_lo, s29
	s_delay_alu instid0(VALU_DEP_1) | instskip(NEXT) | instid1(VALU_DEP_2)
	v_dual_lshlrev_b32 v31, 24, v31 :: v_dual_lshlrev_b32 v36, 20, v96
	v_lshl_add_u32 v2, v2, 23, 0x3c000000
	s_delay_alu instid0(VALU_DEP_2) | instskip(NEXT) | instid1(VALU_DEP_1)
	v_and_b32_e32 v31, 0x80000000, v31
	v_or3_b32 v2, v36, v31, v2
.LBB6_482:                              ;   in Loop: Header=BB6_128 Depth=2
	s_or_b32 exec_lo, exec_lo, s28
.LBB6_483:                              ;   in Loop: Header=BB6_128 Depth=2
	s_delay_alu instid0(SALU_CYCLE_1)
	s_or_b32 exec_lo, exec_lo, s27
.LBB6_484:                              ;   in Loop: Header=BB6_128 Depth=2
	s_delay_alu instid0(SALU_CYCLE_1) | instskip(NEXT) | instid1(VALU_DEP_1)
	s_or_b32 exec_lo, exec_lo, s10
	v_mul_f32_e32 v3, v3, v2
                                        ; implicit-def: $vgpr93
	s_mov_b32 s10, exec_lo
	s_delay_alu instid0(VALU_DEP_1) | instskip(SKIP_1) | instid1(VALU_DEP_2)
	v_and_b32_e32 v96, 0x7f800000, v3
	v_lshrrev_b32_e32 v2, 24, v3
	v_cmpx_ne_u64_e32 0x7f800000, v[96:97]
	s_xor_b32 s27, exec_lo, s10
	s_cbranch_execz .LBB6_498
; %bb.485:                              ;   in Loop: Header=BB6_128 Depth=2
	v_and_b32_e32 v96, 0x7fffffff, v3
	v_and_b32_e32 v2, 0x80, v2
                                        ; implicit-def: $vgpr93
	s_mov_b32 s10, exec_lo
	s_delay_alu instid0(VALU_DEP_2)
	v_cmpx_gt_u64_e32 0x43e00001, v[96:97]
	s_xor_b32 s28, exec_lo, s10
	s_cbranch_execz .LBB6_495
; %bb.486:                              ;   in Loop: Header=BB6_128 Depth=2
	v_mov_b32_e32 v93, 0
	s_mov_b32 s29, exec_lo
	v_cmpx_ne_u32_e32 0, v3
	s_cbranch_execz .LBB6_494
; %bb.487:                              ;   in Loop: Header=BB6_128 Depth=2
	v_bfe_u32 v31, v3, 23, 8
	v_and_b32_e32 v3, 0x7fffff, v3
	s_delay_alu instid0(VALU_DEP_2) | instskip(SKIP_1) | instid1(VALU_DEP_3)
	v_sub_nc_u32_e32 v36, 0x79, v31
	v_cmp_gt_u32_e32 vcc_lo, 0x7a, v31
	v_or_b32_e32 v48, 0x800000, v3
	s_delay_alu instid0(VALU_DEP_3) | instskip(SKIP_1) | instid1(VALU_DEP_2)
	v_cndmask_b32_e32 v36, 0, v36, vcc_lo
	v_cmp_eq_u32_e32 vcc_lo, 0, v31
	v_cndmask_b32_e64 v54, v36, 0x78, vcc_lo
	s_delay_alu instid0(VALU_DEP_1) | instskip(SKIP_1) | instid1(VALU_DEP_2)
	v_dual_cndmask_b32 v96, v48, v3, vcc_lo :: v_dual_add_nc_u32 v36, 20, v54
	v_add_nc_u32_e32 v49, 19, v54
	v_lshlrev_b64_e64 v[36:37], v36, -1
	s_delay_alu instid0(VALU_DEP_2) | instskip(NEXT) | instid1(VALU_DEP_2)
	v_lshlrev_b64_e64 v[48:49], v49, 1
	v_bfi_b32 v113, v37, 0, 0
	s_delay_alu instid0(VALU_DEP_3) | instskip(SKIP_1) | instid1(VALU_DEP_2)
	v_bfi_b32 v112, v36, 0, v96
	v_lshrrev_b64 v[36:37], v54, v[96:97]
	v_cmp_eq_u64_e64 s10, v[112:113], v[48:49]
	s_delay_alu instid0(VALU_DEP_2)
	v_mov_b64_e32 v[48:49], v[36:37]
	s_and_saveexec_b32 s40, s10
; %bb.488:                              ;   in Loop: Header=BB6_128 Depth=2
	v_bfe_u32 v96, v36, 20, 1
	s_delay_alu instid0(VALU_DEP_1) | instskip(NEXT) | instid1(VALU_DEP_1)
	v_add_nc_u64_e32 v[48:49], v[36:37], v[96:97]
	v_add_nc_u64_e32 v[48:49], -1, v[48:49]
; %bb.489:                              ;   in Loop: Header=BB6_128 Depth=2
	s_or_b32 exec_lo, exec_lo, s40
	v_add_nc_u32_e32 v3, 0xffffff81, v31
	v_lshrrev_b32_e32 v31, 23, v36
	s_mov_b32 s10, exec_lo
	s_delay_alu instid0(VALU_DEP_2) | instskip(NEXT) | instid1(VALU_DEP_1)
	v_cndmask_b32_e64 v3, v3, 0xffffff82, vcc_lo
	v_add3_u32 v31, v54, v3, v31
	v_and_b32_e32 v3, 0xfffff, v48
	s_delay_alu instid0(VALU_DEP_1) | instskip(NEXT) | instid1(VALU_DEP_1)
	v_dual_add_nc_u32 v48, 6, v31 :: v_dual_add_nc_u32 v96, v3, v36
                                        ; implicit-def: $vgpr36_vgpr37
                                        ; implicit-def: $vgpr3
	v_cmpx_ne_u32_e32 0, v48
	s_xor_b32 s10, exec_lo, s10
; %bb.490:                              ;   in Loop: Header=BB6_128 Depth=2
	s_delay_alu instid0(VALU_DEP_2) | instskip(SKIP_2) | instid1(VALU_DEP_2)
	v_cmp_lt_u64_e32 vcc_lo, 0xffffff, v[96:97]
	v_add_nc_u32_e32 v3, 7, v31
	v_cndmask_b32_e64 v31, 0, 1, vcc_lo
	v_cndmask_b32_e32 v3, v48, v3, vcc_lo
	s_delay_alu instid0(VALU_DEP_2)
	v_lshrrev_b64 v[36:37], v31, v[96:97]
; %bb.491:                              ;   in Loop: Header=BB6_128 Depth=2
	s_and_not1_saveexec_b32 s10, s10
; %bb.492:                              ;   in Loop: Header=BB6_128 Depth=2
	v_mov_b64_e32 v[36:37], v[96:97]
	v_bfe_u32 v3, v96, 23, 1
; %bb.493:                              ;   in Loop: Header=BB6_128 Depth=2
	s_or_b32 exec_lo, exec_lo, s10
	s_delay_alu instid0(VALU_DEP_2) | instskip(NEXT) | instid1(VALU_DEP_2)
	v_lshrrev_b64 v[36:37], 20, v[36:37]
	v_cmp_gt_i32_e32 vcc_lo, 16, v3
	v_min_i32_e32 v31, 15, v3
	v_cmp_eq_u32_e64 s10, 0, v3
	s_delay_alu instid0(VALU_DEP_2) | instskip(SKIP_1) | instid1(VALU_DEP_2)
	v_dual_cndmask_b32 v37, 0, v37, vcc_lo :: v_dual_lshlrev_b32 v31, 3, v31
	v_cndmask_b32_e32 v36, 7, v36, vcc_lo
	v_and_b32_e32 v31, 0xf8, v31
	s_delay_alu instid0(VALU_DEP_2) | instskip(NEXT) | instid1(VALU_DEP_2)
	v_cmp_eq_u64_e32 vcc_lo, 0, v[36:37]
	v_and_or_b32 v3, v36, 7, v31
	s_and_b32 s10, s10, vcc_lo
	s_delay_alu instid0(VALU_DEP_1) | instid1(SALU_CYCLE_1)
	v_cndmask_b32_e64 v3, v3, 0, s10
	s_delay_alu instid0(VALU_DEP_1)
	v_or_b32_e32 v93, v3, v2
.LBB6_494:                              ;   in Loop: Header=BB6_128 Depth=2
	s_or_b32 exec_lo, exec_lo, s29
                                        ; implicit-def: $vgpr2
.LBB6_495:                              ;   in Loop: Header=BB6_128 Depth=2
	s_and_not1_saveexec_b32 s10, s28
; %bb.496:                              ;   in Loop: Header=BB6_128 Depth=2
	v_or_b32_e32 v93, 0x7e, v2
; %bb.497:                              ;   in Loop: Header=BB6_128 Depth=2
	s_or_b32 exec_lo, exec_lo, s10
                                        ; implicit-def: $vgpr2
.LBB6_498:                              ;   in Loop: Header=BB6_128 Depth=2
	s_and_not1_saveexec_b32 s10, s27
; %bb.499:                              ;   in Loop: Header=BB6_128 Depth=2
	v_or_b32_e32 v93, 0x7f, v2
; %bb.500:                              ;   in Loop: Header=BB6_128 Depth=2
	s_or_b32 exec_lo, exec_lo, s10
	v_and_b32_e32 v31, 0xff, v51
	v_dual_mov_b32 v96, v51 :: v_dual_mov_b32 v3, 0
	v_mov_b32_e32 v2, 0
	s_mov_b32 s10, exec_lo
	s_delay_alu instid0(VALU_DEP_3)
	v_cmpx_ne_u16_e32 0, v31
	s_cbranch_execz .LBB6_506
; %bb.501:                              ;   in Loop: Header=BB6_128 Depth=2
	v_bfrev_b32_e32 v2, 1
	s_mov_b32 s27, exec_lo
	v_cmpx_ne_u16_e32 0x80, v31
	s_cbranch_execz .LBB6_505
; %bb.502:                              ;   in Loop: Header=BB6_128 Depth=2
	v_and_b32_e32 v31, 0x7f, v51
	v_mov_b32_e32 v2, 0x7f800001
	s_mov_b32 s28, exec_lo
	s_delay_alu instid0(VALU_DEP_2)
	v_cmpx_ne_u32_e32 0x7f, v31
	s_cbranch_execz .LBB6_504
; %bb.503:                              ;   in Loop: Header=BB6_128 Depth=2
	v_cmp_gt_u32_e32 vcc_lo, 8, v31
	v_and_b32_e32 v2, 7, v51
	s_delay_alu instid0(VALU_DEP_1) | instskip(NEXT) | instid1(VALU_DEP_1)
	v_clz_i32_u32_e32 v2, v2
	v_min_u32_e32 v2, 32, v2
	v_lshrrev_b32_e32 v36, 3, v31
	s_delay_alu instid0(VALU_DEP_2) | instskip(NEXT) | instid1(VALU_DEP_1)
	v_subrev_nc_u32_e32 v37, 28, v2
	v_dual_cndmask_b32 v31, 0, v37 :: v_dual_sub_nc_u32 v2, 29, v2
	s_delay_alu instid0(VALU_DEP_1) | instskip(NEXT) | instid1(VALU_DEP_2)
	v_cndmask_b32_e32 v2, v36, v2, vcc_lo
	v_lshlrev_b64_e32 v[36:37], v31, v[96:97]
	v_lshlrev_b32_e32 v31, 24, v96
	s_delay_alu instid0(VALU_DEP_3) | instskip(NEXT) | instid1(VALU_DEP_2)
	v_lshl_add_u32 v2, v2, 23, 0x3c000000
	v_and_b32_e32 v31, 0x80000000, v31
	s_delay_alu instid0(VALU_DEP_4) | instskip(NEXT) | instid1(VALU_DEP_1)
	v_lshlrev_b32_e32 v36, 20, v36
	v_and_b32_e32 v36, 0x700000, v36
	s_delay_alu instid0(VALU_DEP_1)
	v_or3_b32 v2, v36, v31, v2
.LBB6_504:                              ;   in Loop: Header=BB6_128 Depth=2
	s_or_b32 exec_lo, exec_lo, s28
.LBB6_505:                              ;   in Loop: Header=BB6_128 Depth=2
	s_delay_alu instid0(SALU_CYCLE_1)
	s_or_b32 exec_lo, exec_lo, s27
.LBB6_506:                              ;   in Loop: Header=BB6_128 Depth=2
	s_delay_alu instid0(SALU_CYCLE_1) | instskip(SKIP_2) | instid1(VALU_DEP_1)
	s_or_b32 exec_lo, exec_lo, s10
	v_and_b32_e32 v31, 0xff, v39
	s_mov_b32 s10, exec_lo
	v_cmpx_ne_u16_e32 0, v31
	s_cbranch_execz .LBB6_512
; %bb.507:                              ;   in Loop: Header=BB6_128 Depth=2
	v_bfrev_b32_e32 v3, 1
	s_mov_b32 s27, exec_lo
	v_cmpx_ne_u16_e32 0x80, v31
	s_cbranch_execz .LBB6_511
; %bb.508:                              ;   in Loop: Header=BB6_128 Depth=2
	v_and_b32_e32 v31, 0x7f, v39
	v_mov_b32_e32 v3, 0x7f800001
	s_mov_b32 s28, exec_lo
	s_delay_alu instid0(VALU_DEP_2)
	v_cmpx_ne_u32_e32 0x7f, v31
	s_cbranch_execz .LBB6_510
; %bb.509:                              ;   in Loop: Header=BB6_128 Depth=2
	v_dual_mov_b32 v36, v39 :: v_dual_bitop2_b32 v3, 7, v39 bitop3:0x40
	v_cmp_gt_u32_e32 vcc_lo, 8, v31
	v_dual_mov_b32 v37, v97 :: v_dual_lshrrev_b32 v48, 3, v31
	s_delay_alu instid0(VALU_DEP_3) | instskip(NEXT) | instid1(VALU_DEP_1)
	v_clz_i32_u32_e32 v3, v3
	v_min_u32_e32 v3, 32, v3
	s_delay_alu instid0(VALU_DEP_1) | instskip(SKIP_1) | instid1(VALU_DEP_1)
	v_sub_nc_u32_e32 v49, 29, v3
	v_subrev_nc_u32_e32 v3, 28, v3
	v_dual_cndmask_b32 v3, 0, v3, vcc_lo :: v_dual_cndmask_b32 v31, v48, v49, vcc_lo
	s_delay_alu instid0(VALU_DEP_1) | instskip(SKIP_1) | instid1(VALU_DEP_3)
	v_lshlrev_b64_e32 v[48:49], v3, v[36:37]
	v_lshlrev_b32_e32 v3, 24, v36
	v_lshl_add_u32 v31, v31, 23, 0x3c000000
	s_delay_alu instid0(VALU_DEP_2) | instskip(NEXT) | instid1(VALU_DEP_4)
	v_and_b32_e32 v3, 0x80000000, v3
	v_lshlrev_b32_e32 v36, 20, v48
	s_delay_alu instid0(VALU_DEP_1) | instskip(NEXT) | instid1(VALU_DEP_1)
	v_and_b32_e32 v36, 0x700000, v36
	v_or3_b32 v3, v36, v3, v31
.LBB6_510:                              ;   in Loop: Header=BB6_128 Depth=2
	s_or_b32 exec_lo, exec_lo, s28
.LBB6_511:                              ;   in Loop: Header=BB6_128 Depth=2
	s_delay_alu instid0(SALU_CYCLE_1)
	s_or_b32 exec_lo, exec_lo, s27
.LBB6_512:                              ;   in Loop: Header=BB6_128 Depth=2
	s_delay_alu instid0(SALU_CYCLE_1) | instskip(NEXT) | instid1(VALU_DEP_1)
	s_or_b32 exec_lo, exec_lo, s10
	v_dual_mul_f32 v3, v2, v3 :: v_dual_mov_b32 v37, v97
                                        ; implicit-def: $vgpr94
	s_mov_b32 s10, exec_lo
	s_delay_alu instid0(VALU_DEP_1) | instskip(SKIP_1) | instid1(VALU_DEP_2)
	v_and_b32_e32 v36, 0x7f800000, v3
	v_lshrrev_b32_e32 v2, 24, v3
	v_cmpx_ne_u64_e32 0x7f800000, v[36:37]
	s_xor_b32 s27, exec_lo, s10
	s_cbranch_execz .LBB6_526
; %bb.513:                              ;   in Loop: Header=BB6_128 Depth=2
	v_and_b32_e32 v36, 0x7fffffff, v3
	v_mov_b32_e32 v37, v97
	v_and_b32_e32 v2, 0x80, v2
                                        ; implicit-def: $vgpr94
	s_mov_b32 s10, exec_lo
	s_delay_alu instid0(VALU_DEP_2)
	v_cmpx_gt_u64_e32 0x43e00001, v[36:37]
	s_xor_b32 s28, exec_lo, s10
	s_cbranch_execz .LBB6_523
; %bb.514:                              ;   in Loop: Header=BB6_128 Depth=2
	v_mov_b32_e32 v94, 0
	s_mov_b32 s29, exec_lo
	v_cmpx_ne_u32_e32 0, v3
	s_cbranch_execz .LBB6_522
; %bb.515:                              ;   in Loop: Header=BB6_128 Depth=2
	v_bfe_u32 v31, v3, 23, 8
	v_and_b32_e32 v3, 0x7fffff, v3
	s_mov_b32 s40, exec_lo
	s_delay_alu instid0(VALU_DEP_2) | instskip(SKIP_1) | instid1(VALU_DEP_3)
	v_dual_mov_b32 v49, v97 :: v_dual_sub_nc_u32 v36, 0x79, v31
	v_cmp_gt_u32_e32 vcc_lo, 0x7a, v31
	v_or_b32_e32 v48, 0x800000, v3
	s_delay_alu instid0(VALU_DEP_3) | instskip(SKIP_1) | instid1(VALU_DEP_2)
	v_cndmask_b32_e32 v36, 0, v36, vcc_lo
	v_cmp_eq_u32_e32 vcc_lo, 0, v31
	v_cndmask_b32_e64 v54, v36, 0x78, vcc_lo
	s_delay_alu instid0(VALU_DEP_1) | instskip(SKIP_1) | instid1(VALU_DEP_2)
	v_dual_cndmask_b32 v48, v48, v3, vcc_lo :: v_dual_add_nc_u32 v36, 20, v54
	v_add_nc_u32_e32 v55, 19, v54
	v_lshlrev_b64_e64 v[36:37], v36, -1
	s_delay_alu instid0(VALU_DEP_2) | instskip(NEXT) | instid1(VALU_DEP_2)
	v_lshlrev_b64_e64 v[112:113], v55, 1
	v_bfi_b32 v73, v37, 0, 0
	s_delay_alu instid0(VALU_DEP_3) | instskip(SKIP_1) | instid1(VALU_DEP_1)
	v_bfi_b32 v72, v36, 0, v48
	v_lshrrev_b64 v[36:37], v54, v[48:49]
	v_mov_b64_e32 v[48:49], v[36:37]
	s_delay_alu instid0(VALU_DEP_3)
	v_cmpx_eq_u64_e64 v[72:73], v[112:113]
; %bb.516:                              ;   in Loop: Header=BB6_128 Depth=2
	v_bfe_u32 v48, v36, 20, 1
	v_mov_b32_e32 v49, v97
	s_delay_alu instid0(VALU_DEP_1) | instskip(NEXT) | instid1(VALU_DEP_1)
	v_add_nc_u64_e32 v[48:49], v[36:37], v[48:49]
	v_add_nc_u64_e32 v[48:49], -1, v[48:49]
; %bb.517:                              ;   in Loop: Header=BB6_128 Depth=2
	s_or_b32 exec_lo, exec_lo, s40
	v_add_nc_u32_e32 v3, 0xffffff81, v31
	v_lshrrev_b32_e32 v31, 23, v36
	s_mov_b32 s10, exec_lo
	v_mov_b32_e32 v37, v97
	s_delay_alu instid0(VALU_DEP_3) | instskip(NEXT) | instid1(VALU_DEP_1)
	v_cndmask_b32_e64 v3, v3, 0xffffff82, vcc_lo
	v_add3_u32 v31, v54, v3, v31
	v_and_b32_e32 v3, 0xfffff, v48
	s_delay_alu instid0(VALU_DEP_1) | instskip(NEXT) | instid1(VALU_DEP_1)
	v_dual_add_nc_u32 v48, 6, v31 :: v_dual_add_nc_u32 v36, v3, v36
                                        ; implicit-def: $vgpr3
	v_cmpx_ne_u32_e32 0, v48
	s_xor_b32 s10, exec_lo, s10
; %bb.518:                              ;   in Loop: Header=BB6_128 Depth=2
	s_delay_alu instid0(VALU_DEP_2) | instskip(SKIP_2) | instid1(VALU_DEP_2)
	v_cmp_lt_u64_e32 vcc_lo, 0xffffff, v[36:37]
	v_add_nc_u32_e32 v3, 7, v31
	v_cndmask_b32_e64 v31, 0, 1, vcc_lo
	v_cndmask_b32_e32 v3, v48, v3, vcc_lo
	s_delay_alu instid0(VALU_DEP_2)
	v_lshrrev_b64 v[36:37], v31, v[36:37]
; %bb.519:                              ;   in Loop: Header=BB6_128 Depth=2
	s_and_not1_saveexec_b32 s10, s10
; %bb.520:                              ;   in Loop: Header=BB6_128 Depth=2
	s_delay_alu instid0(VALU_DEP_1)
	v_bfe_u32 v3, v36, 23, 1
; %bb.521:                              ;   in Loop: Header=BB6_128 Depth=2
	s_or_b32 exec_lo, exec_lo, s10
	s_delay_alu instid0(VALU_DEP_2) | instskip(NEXT) | instid1(VALU_DEP_2)
	v_lshrrev_b64 v[36:37], 20, v[36:37]
	v_cmp_gt_i32_e32 vcc_lo, 16, v3
	v_min_i32_e32 v31, 15, v3
	v_cmp_eq_u32_e64 s10, 0, v3
	s_delay_alu instid0(VALU_DEP_2) | instskip(SKIP_1) | instid1(VALU_DEP_2)
	v_dual_cndmask_b32 v37, 0, v37, vcc_lo :: v_dual_lshlrev_b32 v31, 3, v31
	v_cndmask_b32_e32 v36, 7, v36, vcc_lo
	v_and_b32_e32 v31, 0xf8, v31
	s_delay_alu instid0(VALU_DEP_2) | instskip(NEXT) | instid1(VALU_DEP_2)
	v_cmp_eq_u64_e32 vcc_lo, 0, v[36:37]
	v_and_or_b32 v3, v36, 7, v31
	s_and_b32 s10, s10, vcc_lo
	s_delay_alu instid0(VALU_DEP_1) | instid1(SALU_CYCLE_1)
	v_cndmask_b32_e64 v3, v3, 0, s10
	s_delay_alu instid0(VALU_DEP_1)
	v_or_b32_e32 v94, v3, v2
.LBB6_522:                              ;   in Loop: Header=BB6_128 Depth=2
	s_or_b32 exec_lo, exec_lo, s29
                                        ; implicit-def: $vgpr2
.LBB6_523:                              ;   in Loop: Header=BB6_128 Depth=2
	s_and_not1_saveexec_b32 s10, s28
; %bb.524:                              ;   in Loop: Header=BB6_128 Depth=2
	v_or_b32_e32 v94, 0x7e, v2
; %bb.525:                              ;   in Loop: Header=BB6_128 Depth=2
	s_or_b32 exec_lo, exec_lo, s10
                                        ; implicit-def: $vgpr2
.LBB6_526:                              ;   in Loop: Header=BB6_128 Depth=2
	s_and_not1_saveexec_b32 s10, s27
; %bb.527:                              ;   in Loop: Header=BB6_128 Depth=2
	v_or_b32_e32 v94, 0x7f, v2
; %bb.528:                              ;   in Loop: Header=BB6_128 Depth=2
	s_or_b32 exec_lo, exec_lo, s10
	v_lshrrev_b16 v31, 8, v96
	v_dual_mov_b32 v2, 0 :: v_dual_mov_b32 v3, 0
	s_mov_b32 s10, exec_lo
	s_delay_alu instid0(VALU_DEP_2)
	v_cmpx_ne_u16_e32 0, v31
	s_cbranch_execz .LBB6_536
; %bb.529:                              ;   in Loop: Header=BB6_128 Depth=2
	v_bfrev_b32_e32 v3, 1
	s_mov_b32 s27, exec_lo
	v_cmpx_ne_u16_e32 0x80, v31
	s_cbranch_execz .LBB6_535
; %bb.530:                              ;   in Loop: Header=BB6_128 Depth=2
	v_and_b32_e32 v36, 0xffff, v31
	v_mov_b32_e32 v3, 0x7f800001
	s_mov_b32 s28, exec_lo
	s_delay_alu instid0(VALU_DEP_2) | instskip(NEXT) | instid1(VALU_DEP_1)
	v_and_b32_e32 v31, 0x7f, v36
	v_cmpx_ne_u32_e32 0x7f, v31
	s_cbranch_execz .LBB6_534
; %bb.531:                              ;   in Loop: Header=BB6_128 Depth=2
	v_dual_mov_b32 v37, v97 :: v_dual_bitop2_b32 v36, 7, v36 bitop3:0x40
	v_lshrrev_b32_e32 v3, 3, v31
	s_mov_b32 s29, exec_lo
	v_cmpx_gt_u32_e32 8, v31
; %bb.532:                              ;   in Loop: Header=BB6_128 Depth=2
	s_delay_alu instid0(VALU_DEP_3) | instskip(NEXT) | instid1(VALU_DEP_1)
	v_clz_i32_u32_e32 v3, v36
	v_min_u32_e32 v3, 32, v3
	s_delay_alu instid0(VALU_DEP_1) | instskip(NEXT) | instid1(VALU_DEP_1)
	v_subrev_nc_u32_e32 v31, 28, v3
	v_lshlrev_b64_e32 v[36:37], v31, v[36:37]
	s_delay_alu instid0(VALU_DEP_1)
	v_dual_sub_nc_u32 v3, 29, v3 :: v_dual_bitop2_b32 v36, 7, v36 bitop3:0x40
; %bb.533:                              ;   in Loop: Header=BB6_128 Depth=2
	s_or_b32 exec_lo, exec_lo, s29
	v_lshlrev_b32_e32 v31, 16, v96
	s_delay_alu instid0(VALU_DEP_2) | instskip(NEXT) | instid1(VALU_DEP_3)
	v_lshlrev_b32_e32 v36, 20, v36
	v_lshl_add_u32 v3, v3, 23, 0x3c000000
	s_delay_alu instid0(VALU_DEP_3) | instskip(NEXT) | instid1(VALU_DEP_1)
	v_and_b32_e32 v31, 0x80000000, v31
	v_or3_b32 v3, v36, v31, v3
.LBB6_534:                              ;   in Loop: Header=BB6_128 Depth=2
	s_or_b32 exec_lo, exec_lo, s28
.LBB6_535:                              ;   in Loop: Header=BB6_128 Depth=2
	s_delay_alu instid0(SALU_CYCLE_1)
	s_or_b32 exec_lo, exec_lo, s27
.LBB6_536:                              ;   in Loop: Header=BB6_128 Depth=2
	s_delay_alu instid0(SALU_CYCLE_1) | instskip(SKIP_2) | instid1(VALU_DEP_1)
	s_or_b32 exec_lo, exec_lo, s10
	v_lshrrev_b16 v31, 8, v39
	s_mov_b32 s10, exec_lo
	v_cmpx_ne_u16_e32 0, v31
	s_cbranch_execz .LBB6_544
; %bb.537:                              ;   in Loop: Header=BB6_128 Depth=2
	v_bfrev_b32_e32 v2, 1
	s_mov_b32 s27, exec_lo
	v_cmpx_ne_u16_e32 0x80, v31
	s_cbranch_execz .LBB6_543
; %bb.538:                              ;   in Loop: Header=BB6_128 Depth=2
	v_and_b32_e32 v36, 0xffff, v31
	v_mov_b32_e32 v2, 0x7f800001
	s_mov_b32 s28, exec_lo
	s_delay_alu instid0(VALU_DEP_2) | instskip(NEXT) | instid1(VALU_DEP_1)
	v_and_b32_e32 v31, 0x7f, v36
	v_cmpx_ne_u32_e32 0x7f, v31
	s_cbranch_execz .LBB6_542
; %bb.539:                              ;   in Loop: Header=BB6_128 Depth=2
	v_dual_lshrrev_b32 v2, 3, v31 :: v_dual_bitop2_b32 v96, 7, v36 bitop3:0x40
	s_mov_b32 s29, exec_lo
	v_cmpx_gt_u32_e32 8, v31
; %bb.540:                              ;   in Loop: Header=BB6_128 Depth=2
	s_delay_alu instid0(VALU_DEP_2) | instskip(NEXT) | instid1(VALU_DEP_1)
	v_clz_i32_u32_e32 v2, v96
	v_min_u32_e32 v2, 32, v2
	s_delay_alu instid0(VALU_DEP_1) | instskip(NEXT) | instid1(VALU_DEP_1)
	v_subrev_nc_u32_e32 v31, 28, v2
	v_lshlrev_b64_e32 v[36:37], v31, v[96:97]
	s_delay_alu instid0(VALU_DEP_1)
	v_dual_sub_nc_u32 v2, 29, v2 :: v_dual_bitop2_b32 v96, 7, v36 bitop3:0x40
; %bb.541:                              ;   in Loop: Header=BB6_128 Depth=2
	s_or_b32 exec_lo, exec_lo, s29
	s_delay_alu instid0(VALU_DEP_1) | instskip(NEXT) | instid1(VALU_DEP_2)
	v_dual_lshlrev_b32 v31, 16, v39 :: v_dual_lshlrev_b32 v36, 20, v96
	v_lshl_add_u32 v2, v2, 23, 0x3c000000
	s_delay_alu instid0(VALU_DEP_2) | instskip(NEXT) | instid1(VALU_DEP_1)
	v_and_b32_e32 v31, 0x80000000, v31
	v_or3_b32 v2, v36, v31, v2
.LBB6_542:                              ;   in Loop: Header=BB6_128 Depth=2
	s_or_b32 exec_lo, exec_lo, s28
.LBB6_543:                              ;   in Loop: Header=BB6_128 Depth=2
	s_delay_alu instid0(SALU_CYCLE_1)
	s_or_b32 exec_lo, exec_lo, s27
.LBB6_544:                              ;   in Loop: Header=BB6_128 Depth=2
	s_delay_alu instid0(SALU_CYCLE_1) | instskip(NEXT) | instid1(VALU_DEP_1)
	s_or_b32 exec_lo, exec_lo, s10
	v_mul_f32_e32 v3, v3, v2
                                        ; implicit-def: $vgpr95
	s_mov_b32 s10, exec_lo
	s_delay_alu instid0(VALU_DEP_1) | instskip(SKIP_1) | instid1(VALU_DEP_2)
	v_and_b32_e32 v96, 0x7f800000, v3
	v_lshrrev_b32_e32 v2, 24, v3
	v_cmpx_ne_u64_e32 0x7f800000, v[96:97]
	s_xor_b32 s27, exec_lo, s10
	s_cbranch_execz .LBB6_558
; %bb.545:                              ;   in Loop: Header=BB6_128 Depth=2
	v_and_b32_e32 v96, 0x7fffffff, v3
	v_and_b32_e32 v2, 0x80, v2
                                        ; implicit-def: $vgpr95
	s_mov_b32 s10, exec_lo
	s_delay_alu instid0(VALU_DEP_2)
	v_cmpx_gt_u64_e32 0x43e00001, v[96:97]
	s_xor_b32 s28, exec_lo, s10
	s_cbranch_execz .LBB6_555
; %bb.546:                              ;   in Loop: Header=BB6_128 Depth=2
	v_mov_b32_e32 v95, 0
	s_mov_b32 s29, exec_lo
	v_cmpx_ne_u32_e32 0, v3
	s_cbranch_execz .LBB6_554
; %bb.547:                              ;   in Loop: Header=BB6_128 Depth=2
	v_bfe_u32 v31, v3, 23, 8
	v_and_b32_e32 v3, 0x7fffff, v3
	s_delay_alu instid0(VALU_DEP_2) | instskip(SKIP_1) | instid1(VALU_DEP_3)
	v_sub_nc_u32_e32 v36, 0x79, v31
	v_cmp_gt_u32_e32 vcc_lo, 0x7a, v31
	v_or_b32_e32 v48, 0x800000, v3
	s_delay_alu instid0(VALU_DEP_3) | instskip(SKIP_1) | instid1(VALU_DEP_2)
	v_cndmask_b32_e32 v36, 0, v36, vcc_lo
	v_cmp_eq_u32_e32 vcc_lo, 0, v31
	v_cndmask_b32_e64 v54, v36, 0x78, vcc_lo
	s_delay_alu instid0(VALU_DEP_1) | instskip(SKIP_1) | instid1(VALU_DEP_2)
	v_dual_cndmask_b32 v96, v48, v3, vcc_lo :: v_dual_add_nc_u32 v36, 20, v54
	v_add_nc_u32_e32 v49, 19, v54
	v_lshlrev_b64_e64 v[36:37], v36, -1
	s_delay_alu instid0(VALU_DEP_2) | instskip(NEXT) | instid1(VALU_DEP_2)
	v_lshlrev_b64_e64 v[48:49], v49, 1
	v_bfi_b32 v113, v37, 0, 0
	s_delay_alu instid0(VALU_DEP_3) | instskip(SKIP_1) | instid1(VALU_DEP_2)
	v_bfi_b32 v112, v36, 0, v96
	v_lshrrev_b64 v[36:37], v54, v[96:97]
	v_cmp_eq_u64_e64 s10, v[112:113], v[48:49]
	s_delay_alu instid0(VALU_DEP_2)
	v_mov_b64_e32 v[48:49], v[36:37]
	s_and_saveexec_b32 s40, s10
; %bb.548:                              ;   in Loop: Header=BB6_128 Depth=2
	v_bfe_u32 v96, v36, 20, 1
	s_delay_alu instid0(VALU_DEP_1) | instskip(NEXT) | instid1(VALU_DEP_1)
	v_add_nc_u64_e32 v[48:49], v[36:37], v[96:97]
	v_add_nc_u64_e32 v[48:49], -1, v[48:49]
; %bb.549:                              ;   in Loop: Header=BB6_128 Depth=2
	s_or_b32 exec_lo, exec_lo, s40
	v_add_nc_u32_e32 v3, 0xffffff81, v31
	v_lshrrev_b32_e32 v31, 23, v36
	s_mov_b32 s10, exec_lo
	s_delay_alu instid0(VALU_DEP_2) | instskip(NEXT) | instid1(VALU_DEP_1)
	v_cndmask_b32_e64 v3, v3, 0xffffff82, vcc_lo
	v_add3_u32 v31, v54, v3, v31
	v_and_b32_e32 v3, 0xfffff, v48
	s_delay_alu instid0(VALU_DEP_1) | instskip(NEXT) | instid1(VALU_DEP_1)
	v_dual_add_nc_u32 v48, 6, v31 :: v_dual_add_nc_u32 v96, v3, v36
                                        ; implicit-def: $vgpr36_vgpr37
                                        ; implicit-def: $vgpr3
	v_cmpx_ne_u32_e32 0, v48
	s_xor_b32 s10, exec_lo, s10
; %bb.550:                              ;   in Loop: Header=BB6_128 Depth=2
	s_delay_alu instid0(VALU_DEP_2) | instskip(SKIP_2) | instid1(VALU_DEP_2)
	v_cmp_lt_u64_e32 vcc_lo, 0xffffff, v[96:97]
	v_add_nc_u32_e32 v3, 7, v31
	v_cndmask_b32_e64 v31, 0, 1, vcc_lo
	v_cndmask_b32_e32 v3, v48, v3, vcc_lo
	s_delay_alu instid0(VALU_DEP_2)
	v_lshrrev_b64 v[36:37], v31, v[96:97]
; %bb.551:                              ;   in Loop: Header=BB6_128 Depth=2
	s_and_not1_saveexec_b32 s10, s10
; %bb.552:                              ;   in Loop: Header=BB6_128 Depth=2
	v_mov_b64_e32 v[36:37], v[96:97]
	v_bfe_u32 v3, v96, 23, 1
; %bb.553:                              ;   in Loop: Header=BB6_128 Depth=2
	s_or_b32 exec_lo, exec_lo, s10
	s_delay_alu instid0(VALU_DEP_2) | instskip(NEXT) | instid1(VALU_DEP_2)
	v_lshrrev_b64 v[36:37], 20, v[36:37]
	v_cmp_gt_i32_e32 vcc_lo, 16, v3
	v_min_i32_e32 v31, 15, v3
	v_cmp_eq_u32_e64 s10, 0, v3
	s_delay_alu instid0(VALU_DEP_2) | instskip(SKIP_1) | instid1(VALU_DEP_2)
	v_dual_cndmask_b32 v37, 0, v37, vcc_lo :: v_dual_lshlrev_b32 v31, 3, v31
	v_cndmask_b32_e32 v36, 7, v36, vcc_lo
	v_and_b32_e32 v31, 0xf8, v31
	s_delay_alu instid0(VALU_DEP_2) | instskip(NEXT) | instid1(VALU_DEP_2)
	v_cmp_eq_u64_e32 vcc_lo, 0, v[36:37]
	v_and_or_b32 v3, v36, 7, v31
	s_and_b32 s10, s10, vcc_lo
	s_delay_alu instid0(VALU_DEP_1) | instid1(SALU_CYCLE_1)
	v_cndmask_b32_e64 v3, v3, 0, s10
	s_delay_alu instid0(VALU_DEP_1)
	v_or_b32_e32 v95, v3, v2
.LBB6_554:                              ;   in Loop: Header=BB6_128 Depth=2
	s_or_b32 exec_lo, exec_lo, s29
                                        ; implicit-def: $vgpr2
.LBB6_555:                              ;   in Loop: Header=BB6_128 Depth=2
	s_and_not1_saveexec_b32 s10, s28
; %bb.556:                              ;   in Loop: Header=BB6_128 Depth=2
	v_or_b32_e32 v95, 0x7e, v2
; %bb.557:                              ;   in Loop: Header=BB6_128 Depth=2
	s_or_b32 exec_lo, exec_lo, s10
                                        ; implicit-def: $vgpr2
.LBB6_558:                              ;   in Loop: Header=BB6_128 Depth=2
	s_and_not1_saveexec_b32 s10, s27
; %bb.559:                              ;   in Loop: Header=BB6_128 Depth=2
	v_or_b32_e32 v95, 0x7f, v2
; %bb.560:                              ;   in Loop: Header=BB6_128 Depth=2
	s_or_b32 exec_lo, exec_lo, s10
	v_dual_mov_b32 v2, 0 :: v_dual_lshrrev_b32 v31, 16, v51
	v_mov_b32_e32 v3, 0
	s_mov_b32 s10, exec_lo
	s_delay_alu instid0(VALU_DEP_2) | instskip(NEXT) | instid1(VALU_DEP_1)
	v_and_b32_e32 v36, 0xff, v31
	v_cmpx_ne_u16_e32 0, v36
	s_cbranch_execz .LBB6_568
; %bb.561:                              ;   in Loop: Header=BB6_128 Depth=2
	v_bfrev_b32_e32 v3, 1
	s_mov_b32 s27, exec_lo
	v_cmpx_ne_u16_e32 0x80, v36
	s_cbranch_execz .LBB6_567
; %bb.562:                              ;   in Loop: Header=BB6_128 Depth=2
	v_bfe_u32 v36, v51, 16, 7
	v_mov_b32_e32 v3, 0x7f800001
	s_mov_b32 s28, exec_lo
	s_delay_alu instid0(VALU_DEP_2)
	v_cmpx_ne_u32_e32 0x7f, v36
	s_cbranch_execz .LBB6_566
; %bb.563:                              ;   in Loop: Header=BB6_128 Depth=2
	v_dual_lshrrev_b32 v3, 3, v36 :: v_dual_bitop2_b32 v96, 7, v31 bitop3:0x40
	s_mov_b32 s29, exec_lo
	v_cmpx_gt_u32_e32 8, v36
; %bb.564:                              ;   in Loop: Header=BB6_128 Depth=2
	s_delay_alu instid0(VALU_DEP_2) | instskip(NEXT) | instid1(VALU_DEP_1)
	v_clz_i32_u32_e32 v3, v96
	v_min_u32_e32 v3, 32, v3
	s_delay_alu instid0(VALU_DEP_1) | instskip(NEXT) | instid1(VALU_DEP_1)
	v_subrev_nc_u32_e32 v36, 28, v3
	v_lshlrev_b64_e32 v[36:37], v36, v[96:97]
	s_delay_alu instid0(VALU_DEP_1)
	v_dual_sub_nc_u32 v3, 29, v3 :: v_dual_bitop2_b32 v96, 7, v36 bitop3:0x40
; %bb.565:                              ;   in Loop: Header=BB6_128 Depth=2
	s_or_b32 exec_lo, exec_lo, s29
	s_delay_alu instid0(VALU_DEP_1) | instskip(NEXT) | instid1(VALU_DEP_2)
	v_dual_lshlrev_b32 v31, 24, v31 :: v_dual_lshlrev_b32 v36, 20, v96
	v_lshl_add_u32 v3, v3, 23, 0x3c000000
	s_delay_alu instid0(VALU_DEP_2) | instskip(NEXT) | instid1(VALU_DEP_1)
	v_and_b32_e32 v31, 0x80000000, v31
	v_or3_b32 v3, v36, v31, v3
.LBB6_566:                              ;   in Loop: Header=BB6_128 Depth=2
	s_or_b32 exec_lo, exec_lo, s28
.LBB6_567:                              ;   in Loop: Header=BB6_128 Depth=2
	s_delay_alu instid0(SALU_CYCLE_1)
	s_or_b32 exec_lo, exec_lo, s27
.LBB6_568:                              ;   in Loop: Header=BB6_128 Depth=2
	s_delay_alu instid0(SALU_CYCLE_1) | instskip(SKIP_2) | instid1(VALU_DEP_1)
	s_or_b32 exec_lo, exec_lo, s10
	v_lshrrev_b32_e32 v31, 16, v39
	s_mov_b32 s10, exec_lo
	v_and_b32_e32 v36, 0xff, v31
	s_delay_alu instid0(VALU_DEP_1)
	v_cmpx_ne_u16_e32 0, v36
	s_cbranch_execz .LBB6_576
; %bb.569:                              ;   in Loop: Header=BB6_128 Depth=2
	v_bfrev_b32_e32 v2, 1
	s_mov_b32 s27, exec_lo
	v_cmpx_ne_u16_e32 0x80, v36
	s_cbranch_execz .LBB6_575
; %bb.570:                              ;   in Loop: Header=BB6_128 Depth=2
	v_bfe_u32 v36, v39, 16, 7
	v_mov_b32_e32 v2, 0x7f800001
	s_mov_b32 s28, exec_lo
	s_delay_alu instid0(VALU_DEP_2)
	v_cmpx_ne_u32_e32 0x7f, v36
	s_cbranch_execz .LBB6_574
; %bb.571:                              ;   in Loop: Header=BB6_128 Depth=2
	v_dual_lshrrev_b32 v2, 3, v36 :: v_dual_bitop2_b32 v96, 7, v31 bitop3:0x40
	s_mov_b32 s29, exec_lo
	v_cmpx_gt_u32_e32 8, v36
; %bb.572:                              ;   in Loop: Header=BB6_128 Depth=2
	s_delay_alu instid0(VALU_DEP_2) | instskip(NEXT) | instid1(VALU_DEP_1)
	v_clz_i32_u32_e32 v2, v96
	v_min_u32_e32 v2, 32, v2
	s_delay_alu instid0(VALU_DEP_1) | instskip(NEXT) | instid1(VALU_DEP_1)
	v_subrev_nc_u32_e32 v31, 28, v2
	v_lshlrev_b64_e32 v[36:37], v31, v[96:97]
	s_delay_alu instid0(VALU_DEP_1)
	v_dual_sub_nc_u32 v2, 29, v2 :: v_dual_bitop2_b32 v96, 7, v36 bitop3:0x40
; %bb.573:                              ;   in Loop: Header=BB6_128 Depth=2
	s_or_b32 exec_lo, exec_lo, s29
	s_delay_alu instid0(VALU_DEP_1) | instskip(NEXT) | instid1(VALU_DEP_2)
	v_dual_lshlrev_b32 v31, 8, v39 :: v_dual_lshlrev_b32 v36, 20, v96
	v_lshl_add_u32 v2, v2, 23, 0x3c000000
	s_delay_alu instid0(VALU_DEP_2) | instskip(NEXT) | instid1(VALU_DEP_1)
	v_and_b32_e32 v31, 0x80000000, v31
	v_or3_b32 v2, v36, v31, v2
.LBB6_574:                              ;   in Loop: Header=BB6_128 Depth=2
	s_or_b32 exec_lo, exec_lo, s28
.LBB6_575:                              ;   in Loop: Header=BB6_128 Depth=2
	s_delay_alu instid0(SALU_CYCLE_1)
	s_or_b32 exec_lo, exec_lo, s27
.LBB6_576:                              ;   in Loop: Header=BB6_128 Depth=2
	s_delay_alu instid0(SALU_CYCLE_1) | instskip(NEXT) | instid1(VALU_DEP_1)
	s_or_b32 exec_lo, exec_lo, s10
	v_mul_f32_e32 v3, v3, v2
                                        ; implicit-def: $vgpr48
	s_mov_b32 s10, exec_lo
	s_delay_alu instid0(VALU_DEP_1) | instskip(SKIP_1) | instid1(VALU_DEP_2)
	v_and_b32_e32 v96, 0x7f800000, v3
	v_lshrrev_b32_e32 v2, 24, v3
	v_cmpx_ne_u64_e32 0x7f800000, v[96:97]
	s_xor_b32 s27, exec_lo, s10
	s_cbranch_execz .LBB6_590
; %bb.577:                              ;   in Loop: Header=BB6_128 Depth=2
	v_and_b32_e32 v96, 0x7fffffff, v3
	v_and_b32_e32 v2, 0x80, v2
                                        ; implicit-def: $vgpr48
	s_mov_b32 s10, exec_lo
	s_delay_alu instid0(VALU_DEP_2)
	v_cmpx_gt_u64_e32 0x43e00001, v[96:97]
	s_xor_b32 s28, exec_lo, s10
	s_cbranch_execz .LBB6_587
; %bb.578:                              ;   in Loop: Header=BB6_128 Depth=2
	v_mov_b32_e32 v48, 0
	s_mov_b32 s29, exec_lo
	v_cmpx_ne_u32_e32 0, v3
	s_cbranch_execz .LBB6_586
; %bb.579:                              ;   in Loop: Header=BB6_128 Depth=2
	v_bfe_u32 v31, v3, 23, 8
	v_and_b32_e32 v3, 0x7fffff, v3
	s_delay_alu instid0(VALU_DEP_2) | instskip(SKIP_1) | instid1(VALU_DEP_3)
	v_sub_nc_u32_e32 v36, 0x79, v31
	v_cmp_gt_u32_e32 vcc_lo, 0x7a, v31
	v_or_b32_e32 v48, 0x800000, v3
	s_delay_alu instid0(VALU_DEP_3) | instskip(SKIP_1) | instid1(VALU_DEP_2)
	v_cndmask_b32_e32 v36, 0, v36, vcc_lo
	v_cmp_eq_u32_e32 vcc_lo, 0, v31
	v_cndmask_b32_e64 v54, v36, 0x78, vcc_lo
	s_delay_alu instid0(VALU_DEP_1) | instskip(SKIP_1) | instid1(VALU_DEP_2)
	v_dual_cndmask_b32 v96, v48, v3, vcc_lo :: v_dual_add_nc_u32 v36, 20, v54
	v_add_nc_u32_e32 v49, 19, v54
	v_lshlrev_b64_e64 v[36:37], v36, -1
	s_delay_alu instid0(VALU_DEP_2) | instskip(NEXT) | instid1(VALU_DEP_2)
	v_lshlrev_b64_e64 v[48:49], v49, 1
	v_bfi_b32 v113, v37, 0, 0
	s_delay_alu instid0(VALU_DEP_3) | instskip(SKIP_1) | instid1(VALU_DEP_2)
	v_bfi_b32 v112, v36, 0, v96
	v_lshrrev_b64 v[36:37], v54, v[96:97]
	v_cmp_eq_u64_e64 s10, v[112:113], v[48:49]
	s_delay_alu instid0(VALU_DEP_2)
	v_mov_b64_e32 v[48:49], v[36:37]
	s_and_saveexec_b32 s40, s10
; %bb.580:                              ;   in Loop: Header=BB6_128 Depth=2
	v_bfe_u32 v96, v36, 20, 1
	s_delay_alu instid0(VALU_DEP_1) | instskip(NEXT) | instid1(VALU_DEP_1)
	v_add_nc_u64_e32 v[48:49], v[36:37], v[96:97]
	v_add_nc_u64_e32 v[48:49], -1, v[48:49]
; %bb.581:                              ;   in Loop: Header=BB6_128 Depth=2
	s_or_b32 exec_lo, exec_lo, s40
	v_add_nc_u32_e32 v3, 0xffffff81, v31
	v_lshrrev_b32_e32 v31, 23, v36
	s_mov_b32 s10, exec_lo
	s_delay_alu instid0(VALU_DEP_2) | instskip(NEXT) | instid1(VALU_DEP_1)
	v_cndmask_b32_e64 v3, v3, 0xffffff82, vcc_lo
	v_add3_u32 v31, v54, v3, v31
	v_and_b32_e32 v3, 0xfffff, v48
	s_delay_alu instid0(VALU_DEP_1) | instskip(NEXT) | instid1(VALU_DEP_1)
	v_dual_add_nc_u32 v48, 6, v31 :: v_dual_add_nc_u32 v96, v3, v36
                                        ; implicit-def: $vgpr36_vgpr37
                                        ; implicit-def: $vgpr3
	v_cmpx_ne_u32_e32 0, v48
	s_xor_b32 s10, exec_lo, s10
; %bb.582:                              ;   in Loop: Header=BB6_128 Depth=2
	s_delay_alu instid0(VALU_DEP_2) | instskip(SKIP_2) | instid1(VALU_DEP_2)
	v_cmp_lt_u64_e32 vcc_lo, 0xffffff, v[96:97]
	v_add_nc_u32_e32 v3, 7, v31
	v_cndmask_b32_e64 v31, 0, 1, vcc_lo
	v_cndmask_b32_e32 v3, v48, v3, vcc_lo
	s_delay_alu instid0(VALU_DEP_2)
	v_lshrrev_b64 v[36:37], v31, v[96:97]
; %bb.583:                              ;   in Loop: Header=BB6_128 Depth=2
	s_and_not1_saveexec_b32 s10, s10
; %bb.584:                              ;   in Loop: Header=BB6_128 Depth=2
	v_mov_b64_e32 v[36:37], v[96:97]
	v_bfe_u32 v3, v96, 23, 1
; %bb.585:                              ;   in Loop: Header=BB6_128 Depth=2
	s_or_b32 exec_lo, exec_lo, s10
	s_delay_alu instid0(VALU_DEP_2) | instskip(NEXT) | instid1(VALU_DEP_2)
	v_lshrrev_b64 v[36:37], 20, v[36:37]
	v_cmp_gt_i32_e32 vcc_lo, 16, v3
	v_min_i32_e32 v31, 15, v3
	v_cmp_eq_u32_e64 s10, 0, v3
	s_delay_alu instid0(VALU_DEP_2) | instskip(SKIP_1) | instid1(VALU_DEP_2)
	v_dual_cndmask_b32 v37, 0, v37, vcc_lo :: v_dual_lshlrev_b32 v31, 3, v31
	v_cndmask_b32_e32 v36, 7, v36, vcc_lo
	v_and_b32_e32 v31, 0xf8, v31
	s_delay_alu instid0(VALU_DEP_2) | instskip(NEXT) | instid1(VALU_DEP_2)
	v_cmp_eq_u64_e32 vcc_lo, 0, v[36:37]
	v_and_or_b32 v3, v36, 7, v31
	s_and_b32 s10, s10, vcc_lo
	s_delay_alu instid0(VALU_DEP_1) | instid1(SALU_CYCLE_1)
	v_cndmask_b32_e64 v3, v3, 0, s10
	s_delay_alu instid0(VALU_DEP_1)
	v_or_b32_e32 v48, v3, v2
.LBB6_586:                              ;   in Loop: Header=BB6_128 Depth=2
	s_or_b32 exec_lo, exec_lo, s29
                                        ; implicit-def: $vgpr2
.LBB6_587:                              ;   in Loop: Header=BB6_128 Depth=2
	s_and_not1_saveexec_b32 s10, s28
; %bb.588:                              ;   in Loop: Header=BB6_128 Depth=2
	v_or_b32_e32 v48, 0x7e, v2
; %bb.589:                              ;   in Loop: Header=BB6_128 Depth=2
	s_or_b32 exec_lo, exec_lo, s10
                                        ; implicit-def: $vgpr2
.LBB6_590:                              ;   in Loop: Header=BB6_128 Depth=2
	s_and_not1_saveexec_b32 s10, s27
; %bb.591:                              ;   in Loop: Header=BB6_128 Depth=2
	v_or_b32_e32 v48, 0x7f, v2
; %bb.592:                              ;   in Loop: Header=BB6_128 Depth=2
	s_or_b32 exec_lo, exec_lo, s10
	v_dual_mov_b32 v2, 0 :: v_dual_mov_b32 v3, 0
	s_mov_b32 s10, exec_lo
	v_cmpx_lt_u64_e64 s[14:15], v[50:51]
	s_cbranch_execz .LBB6_600
; %bb.593:                              ;   in Loop: Header=BB6_128 Depth=2
	v_lshrrev_b32_e32 v31, 24, v51
	v_bfrev_b32_e32 v3, 1
	s_mov_b32 s27, exec_lo
	s_delay_alu instid0(VALU_DEP_2)
	v_cmpx_ne_u32_e32 0x80, v31
	s_cbranch_execz .LBB6_599
; %bb.594:                              ;   in Loop: Header=BB6_128 Depth=2
	v_bfe_u32 v36, v51, 24, 7
	v_mov_b32_e32 v3, 0x7f800001
	s_mov_b32 s28, exec_lo
	s_delay_alu instid0(VALU_DEP_2)
	v_cmpx_ne_u32_e32 0x7f, v36
	s_cbranch_execz .LBB6_598
; %bb.595:                              ;   in Loop: Header=BB6_128 Depth=2
	v_dual_lshrrev_b32 v3, 3, v36 :: v_dual_bitop2_b32 v96, 7, v31 bitop3:0x40
	s_mov_b32 s29, exec_lo
	v_cmpx_gt_u32_e32 8, v36
; %bb.596:                              ;   in Loop: Header=BB6_128 Depth=2
	s_delay_alu instid0(VALU_DEP_2) | instskip(NEXT) | instid1(VALU_DEP_1)
	v_clz_i32_u32_e32 v3, v96
	v_min_u32_e32 v3, 32, v3
	s_delay_alu instid0(VALU_DEP_1) | instskip(NEXT) | instid1(VALU_DEP_1)
	v_subrev_nc_u32_e32 v36, 28, v3
	v_lshlrev_b64_e32 v[36:37], v36, v[96:97]
	s_delay_alu instid0(VALU_DEP_1)
	v_dual_sub_nc_u32 v3, 29, v3 :: v_dual_bitop2_b32 v96, 7, v36 bitop3:0x40
; %bb.597:                              ;   in Loop: Header=BB6_128 Depth=2
	s_or_b32 exec_lo, exec_lo, s29
	s_delay_alu instid0(VALU_DEP_1) | instskip(NEXT) | instid1(VALU_DEP_2)
	v_dual_lshlrev_b32 v31, 24, v31 :: v_dual_lshlrev_b32 v36, 20, v96
	v_lshl_add_u32 v3, v3, 23, 0x3c000000
	s_delay_alu instid0(VALU_DEP_2) | instskip(NEXT) | instid1(VALU_DEP_1)
	v_and_b32_e32 v31, 0x80000000, v31
	v_or3_b32 v3, v36, v31, v3
.LBB6_598:                              ;   in Loop: Header=BB6_128 Depth=2
	s_or_b32 exec_lo, exec_lo, s28
.LBB6_599:                              ;   in Loop: Header=BB6_128 Depth=2
	s_delay_alu instid0(SALU_CYCLE_1)
	s_or_b32 exec_lo, exec_lo, s27
.LBB6_600:                              ;   in Loop: Header=BB6_128 Depth=2
	s_delay_alu instid0(SALU_CYCLE_1) | instskip(NEXT) | instid1(SALU_CYCLE_1)
	s_or_b32 exec_lo, exec_lo, s10
	s_mov_b32 s10, exec_lo
	v_cmpx_lt_u64_e64 s[14:15], v[38:39]
	s_cbranch_execz .LBB6_608
; %bb.601:                              ;   in Loop: Header=BB6_128 Depth=2
	v_lshrrev_b32_e32 v31, 24, v39
	v_bfrev_b32_e32 v2, 1
	s_mov_b32 s27, exec_lo
	s_delay_alu instid0(VALU_DEP_2)
	v_cmpx_ne_u32_e32 0x80, v31
	s_cbranch_execz .LBB6_607
; %bb.602:                              ;   in Loop: Header=BB6_128 Depth=2
	v_bfe_u32 v36, v39, 24, 7
	v_mov_b32_e32 v2, 0x7f800001
	s_mov_b32 s28, exec_lo
	s_delay_alu instid0(VALU_DEP_2)
	v_cmpx_ne_u32_e32 0x7f, v36
	s_cbranch_execz .LBB6_606
; %bb.603:                              ;   in Loop: Header=BB6_128 Depth=2
	v_dual_lshrrev_b32 v2, 3, v36 :: v_dual_bitop2_b32 v96, 7, v31 bitop3:0x40
	s_mov_b32 s29, exec_lo
	v_cmpx_gt_u32_e32 8, v36
; %bb.604:                              ;   in Loop: Header=BB6_128 Depth=2
	s_delay_alu instid0(VALU_DEP_2) | instskip(NEXT) | instid1(VALU_DEP_1)
	v_clz_i32_u32_e32 v2, v96
	v_min_u32_e32 v2, 32, v2
	s_delay_alu instid0(VALU_DEP_1) | instskip(NEXT) | instid1(VALU_DEP_1)
	v_subrev_nc_u32_e32 v36, 28, v2
	v_lshlrev_b64_e32 v[36:37], v36, v[96:97]
	s_delay_alu instid0(VALU_DEP_1)
	v_dual_sub_nc_u32 v2, 29, v2 :: v_dual_bitop2_b32 v96, 7, v36 bitop3:0x40
; %bb.605:                              ;   in Loop: Header=BB6_128 Depth=2
	s_or_b32 exec_lo, exec_lo, s29
	s_delay_alu instid0(VALU_DEP_1) | instskip(NEXT) | instid1(VALU_DEP_2)
	v_dual_lshlrev_b32 v31, 24, v31 :: v_dual_lshlrev_b32 v36, 20, v96
	v_lshl_add_u32 v2, v2, 23, 0x3c000000
	s_delay_alu instid0(VALU_DEP_2) | instskip(NEXT) | instid1(VALU_DEP_1)
	v_and_b32_e32 v31, 0x80000000, v31
	v_or3_b32 v2, v36, v31, v2
.LBB6_606:                              ;   in Loop: Header=BB6_128 Depth=2
	s_or_b32 exec_lo, exec_lo, s28
.LBB6_607:                              ;   in Loop: Header=BB6_128 Depth=2
	s_delay_alu instid0(SALU_CYCLE_1)
	s_or_b32 exec_lo, exec_lo, s27
.LBB6_608:                              ;   in Loop: Header=BB6_128 Depth=2
	s_delay_alu instid0(SALU_CYCLE_1) | instskip(NEXT) | instid1(VALU_DEP_1)
	s_or_b32 exec_lo, exec_lo, s10
	v_mul_f32_e32 v3, v3, v2
                                        ; implicit-def: $vgpr49
	s_mov_b32 s10, exec_lo
	s_delay_alu instid0(VALU_DEP_1) | instskip(SKIP_1) | instid1(VALU_DEP_2)
	v_and_b32_e32 v96, 0x7f800000, v3
	v_lshrrev_b32_e32 v2, 24, v3
	v_cmpx_ne_u64_e32 0x7f800000, v[96:97]
	s_xor_b32 s27, exec_lo, s10
	s_cbranch_execz .LBB6_622
; %bb.609:                              ;   in Loop: Header=BB6_128 Depth=2
	v_and_b32_e32 v96, 0x7fffffff, v3
	v_and_b32_e32 v2, 0x80, v2
                                        ; implicit-def: $vgpr49
	s_mov_b32 s10, exec_lo
	s_delay_alu instid0(VALU_DEP_2)
	v_cmpx_gt_u64_e32 0x43e00001, v[96:97]
	s_xor_b32 s28, exec_lo, s10
	s_cbranch_execz .LBB6_619
; %bb.610:                              ;   in Loop: Header=BB6_128 Depth=2
	v_mov_b32_e32 v49, 0
	s_mov_b32 s29, exec_lo
	v_cmpx_ne_u32_e32 0, v3
	s_cbranch_execz .LBB6_618
; %bb.611:                              ;   in Loop: Header=BB6_128 Depth=2
	v_bfe_u32 v31, v3, 23, 8
	v_and_b32_e32 v3, 0x7fffff, v3
	s_delay_alu instid0(VALU_DEP_2) | instskip(SKIP_1) | instid1(VALU_DEP_3)
	v_sub_nc_u32_e32 v36, 0x79, v31
	v_cmp_gt_u32_e32 vcc_lo, 0x7a, v31
	v_or_b32_e32 v38, 0x800000, v3
	s_delay_alu instid0(VALU_DEP_3) | instskip(SKIP_1) | instid1(VALU_DEP_2)
	v_cndmask_b32_e32 v36, 0, v36, vcc_lo
	v_cmp_eq_u32_e32 vcc_lo, 0, v31
	v_cndmask_b32_e64 v49, v36, 0x78, vcc_lo
	s_delay_alu instid0(VALU_DEP_1) | instskip(SKIP_1) | instid1(VALU_DEP_2)
	v_dual_cndmask_b32 v96, v38, v3, vcc_lo :: v_dual_add_nc_u32 v36, 20, v49
	v_add_nc_u32_e32 v39, 19, v49
	v_lshlrev_b64_e64 v[36:37], v36, -1
	s_delay_alu instid0(VALU_DEP_2) | instskip(NEXT) | instid1(VALU_DEP_2)
	v_lshlrev_b64_e64 v[38:39], v39, 1
	v_bfi_b32 v51, v37, 0, 0
	s_delay_alu instid0(VALU_DEP_3) | instskip(SKIP_1) | instid1(VALU_DEP_2)
	v_bfi_b32 v50, v36, 0, v96
	v_lshrrev_b64 v[36:37], v49, v[96:97]
	v_cmp_eq_u64_e64 s10, v[50:51], v[38:39]
	s_delay_alu instid0(VALU_DEP_2)
	v_mov_b64_e32 v[38:39], v[36:37]
	s_and_saveexec_b32 s40, s10
; %bb.612:                              ;   in Loop: Header=BB6_128 Depth=2
	v_bfe_u32 v96, v36, 20, 1
	s_delay_alu instid0(VALU_DEP_1) | instskip(NEXT) | instid1(VALU_DEP_1)
	v_add_nc_u64_e32 v[38:39], v[36:37], v[96:97]
	v_add_nc_u64_e32 v[38:39], -1, v[38:39]
; %bb.613:                              ;   in Loop: Header=BB6_128 Depth=2
	s_or_b32 exec_lo, exec_lo, s40
	v_add_nc_u32_e32 v3, 0xffffff81, v31
	v_lshrrev_b32_e32 v31, 23, v36
	s_mov_b32 s10, exec_lo
	s_delay_alu instid0(VALU_DEP_2) | instskip(NEXT) | instid1(VALU_DEP_1)
	v_cndmask_b32_e64 v3, v3, 0xffffff82, vcc_lo
	v_add3_u32 v31, v49, v3, v31
	v_and_b32_e32 v3, 0xfffff, v38
	s_delay_alu instid0(VALU_DEP_1) | instskip(NEXT) | instid1(VALU_DEP_1)
	v_dual_add_nc_u32 v38, 6, v31 :: v_dual_add_nc_u32 v96, v3, v36
                                        ; implicit-def: $vgpr36_vgpr37
                                        ; implicit-def: $vgpr3
	v_cmpx_ne_u32_e32 0, v38
	s_xor_b32 s10, exec_lo, s10
; %bb.614:                              ;   in Loop: Header=BB6_128 Depth=2
	s_delay_alu instid0(VALU_DEP_2) | instskip(SKIP_2) | instid1(VALU_DEP_2)
	v_cmp_lt_u64_e32 vcc_lo, 0xffffff, v[96:97]
	v_add_nc_u32_e32 v3, 7, v31
	v_cndmask_b32_e64 v31, 0, 1, vcc_lo
	v_cndmask_b32_e32 v3, v38, v3, vcc_lo
	s_delay_alu instid0(VALU_DEP_2)
	v_lshrrev_b64 v[36:37], v31, v[96:97]
; %bb.615:                              ;   in Loop: Header=BB6_128 Depth=2
	s_and_not1_saveexec_b32 s10, s10
; %bb.616:                              ;   in Loop: Header=BB6_128 Depth=2
	v_mov_b64_e32 v[36:37], v[96:97]
	v_bfe_u32 v3, v96, 23, 1
; %bb.617:                              ;   in Loop: Header=BB6_128 Depth=2
	s_or_b32 exec_lo, exec_lo, s10
	s_delay_alu instid0(VALU_DEP_2) | instskip(NEXT) | instid1(VALU_DEP_2)
	v_lshrrev_b64 v[36:37], 20, v[36:37]
	v_cmp_gt_i32_e32 vcc_lo, 16, v3
	v_min_i32_e32 v31, 15, v3
	v_cmp_eq_u32_e64 s10, 0, v3
	s_delay_alu instid0(VALU_DEP_2) | instskip(SKIP_1) | instid1(VALU_DEP_2)
	v_dual_cndmask_b32 v37, 0, v37, vcc_lo :: v_dual_lshlrev_b32 v31, 3, v31
	v_cndmask_b32_e32 v36, 7, v36, vcc_lo
	v_and_b32_e32 v31, 0xf8, v31
	s_delay_alu instid0(VALU_DEP_2) | instskip(NEXT) | instid1(VALU_DEP_2)
	v_cmp_eq_u64_e32 vcc_lo, 0, v[36:37]
	v_and_or_b32 v3, v36, 7, v31
	s_and_b32 s10, s10, vcc_lo
	s_delay_alu instid0(VALU_DEP_1) | instid1(SALU_CYCLE_1)
	v_cndmask_b32_e64 v3, v3, 0, s10
	s_delay_alu instid0(VALU_DEP_1)
	v_or_b32_e32 v49, v3, v2
.LBB6_618:                              ;   in Loop: Header=BB6_128 Depth=2
	s_or_b32 exec_lo, exec_lo, s29
                                        ; implicit-def: $vgpr2
.LBB6_619:                              ;   in Loop: Header=BB6_128 Depth=2
	s_and_not1_saveexec_b32 s10, s28
; %bb.620:                              ;   in Loop: Header=BB6_128 Depth=2
	v_or_b32_e32 v49, 0x7e, v2
; %bb.621:                              ;   in Loop: Header=BB6_128 Depth=2
	s_or_b32 exec_lo, exec_lo, s10
                                        ; implicit-def: $vgpr2
.LBB6_622:                              ;   in Loop: Header=BB6_128 Depth=2
	s_and_not1_saveexec_b32 s10, s27
; %bb.623:                              ;   in Loop: Header=BB6_128 Depth=2
	v_or_b32_e32 v49, 0x7f, v2
; %bb.624:                              ;   in Loop: Header=BB6_128 Depth=2
	s_or_b32 exec_lo, exec_lo, s10
	v_and_b32_e32 v31, 0xff, v32
	v_dual_mov_b32 v2, 0 :: v_dual_mov_b32 v3, 0
	s_mov_b32 s10, exec_lo
	s_delay_alu instid0(VALU_DEP_2)
	v_cmpx_ne_u16_e32 0, v31
	s_cbranch_execz .LBB6_630
; %bb.625:                              ;   in Loop: Header=BB6_128 Depth=2
	v_bfrev_b32_e32 v3, 1
	s_mov_b32 s27, exec_lo
	v_cmpx_ne_u16_e32 0x80, v31
	s_cbranch_execz .LBB6_629
; %bb.626:                              ;   in Loop: Header=BB6_128 Depth=2
	v_and_b32_e32 v31, 0x7f, v32
	v_mov_b32_e32 v3, 0x7f800001
	s_mov_b32 s28, exec_lo
	s_delay_alu instid0(VALU_DEP_2)
	v_cmpx_ne_u32_e32 0x7f, v31
	s_cbranch_execz .LBB6_628
; %bb.627:                              ;   in Loop: Header=BB6_128 Depth=2
	v_dual_lshrrev_b32 v36, 3, v31 :: v_dual_bitop2_b32 v3, 7, v32 bitop3:0x40
	v_cmp_gt_u32_e32 vcc_lo, 8, v31
	s_delay_alu instid0(VALU_DEP_2) | instskip(NEXT) | instid1(VALU_DEP_1)
	v_clz_i32_u32_e32 v3, v3
	v_min_u32_e32 v3, 32, v3
	s_delay_alu instid0(VALU_DEP_1) | instskip(NEXT) | instid1(VALU_DEP_1)
	v_subrev_nc_u32_e32 v37, 28, v3
	v_dual_sub_nc_u32 v3, 29, v3 :: v_dual_cndmask_b32 v31, 0, v37, vcc_lo
	s_delay_alu instid0(VALU_DEP_1) | instskip(NEXT) | instid1(VALU_DEP_2)
	v_cndmask_b32_e32 v3, v36, v3, vcc_lo
	v_lshlrev_b64_e32 v[36:37], v31, v[32:33]
	v_lshlrev_b32_e32 v31, 24, v32
	s_delay_alu instid0(VALU_DEP_3) | instskip(NEXT) | instid1(VALU_DEP_2)
	v_lshl_add_u32 v3, v3, 23, 0x3c000000
	v_and_b32_e32 v31, 0x80000000, v31
	s_delay_alu instid0(VALU_DEP_4) | instskip(NEXT) | instid1(VALU_DEP_1)
	v_lshlrev_b32_e32 v36, 20, v36
	v_and_b32_e32 v36, 0x700000, v36
	s_delay_alu instid0(VALU_DEP_1)
	v_or3_b32 v3, v36, v31, v3
.LBB6_628:                              ;   in Loop: Header=BB6_128 Depth=2
	s_or_b32 exec_lo, exec_lo, s28
.LBB6_629:                              ;   in Loop: Header=BB6_128 Depth=2
	s_delay_alu instid0(SALU_CYCLE_1)
	s_or_b32 exec_lo, exec_lo, s27
.LBB6_630:                              ;   in Loop: Header=BB6_128 Depth=2
	s_delay_alu instid0(SALU_CYCLE_1) | instskip(SKIP_3) | instid1(VALU_DEP_1)
	s_or_b32 exec_lo, exec_lo, s10
	s_wait_loadcnt 0x2
	v_and_b32_e32 v31, 0xff, v26
	s_mov_b32 s10, exec_lo
	v_cmpx_ne_u16_e32 0, v31
	s_cbranch_execz .LBB6_636
; %bb.631:                              ;   in Loop: Header=BB6_128 Depth=2
	v_bfrev_b32_e32 v2, 1
	s_mov_b32 s27, exec_lo
	v_cmpx_ne_u16_e32 0x80, v31
	s_cbranch_execz .LBB6_635
; %bb.632:                              ;   in Loop: Header=BB6_128 Depth=2
	v_and_b32_e32 v31, 0x7f, v26
	v_mov_b32_e32 v2, 0x7f800001
	s_mov_b32 s28, exec_lo
	s_delay_alu instid0(VALU_DEP_2)
	v_cmpx_ne_u32_e32 0x7f, v31
	s_cbranch_execz .LBB6_634
; %bb.633:                              ;   in Loop: Header=BB6_128 Depth=2
	v_dual_lshrrev_b32 v36, 3, v31 :: v_dual_bitop2_b32 v2, 7, v26 bitop3:0x40
	v_cmp_gt_u32_e32 vcc_lo, 8, v31
	s_delay_alu instid0(VALU_DEP_2) | instskip(NEXT) | instid1(VALU_DEP_1)
	v_clz_i32_u32_e32 v2, v2
	v_min_u32_e32 v2, 32, v2
	s_delay_alu instid0(VALU_DEP_1) | instskip(NEXT) | instid1(VALU_DEP_1)
	v_subrev_nc_u32_e32 v37, 28, v2
	v_dual_cndmask_b32 v31, 0, v37 :: v_dual_sub_nc_u32 v2, 29, v2
	s_delay_alu instid0(VALU_DEP_1) | instskip(NEXT) | instid1(VALU_DEP_2)
	v_cndmask_b32_e32 v2, v36, v2, vcc_lo
	v_lshlrev_b64_e32 v[36:37], v31, v[26:27]
	v_lshlrev_b32_e32 v31, 24, v26
	s_delay_alu instid0(VALU_DEP_1) | instskip(NEXT) | instid1(VALU_DEP_3)
	v_and_b32_e32 v31, 0x80000000, v31
	v_lshlrev_b32_e32 v36, 20, v36
	v_lshl_add_u32 v2, v2, 23, 0x3c000000
	s_delay_alu instid0(VALU_DEP_2) | instskip(NEXT) | instid1(VALU_DEP_1)
	v_and_b32_e32 v36, 0x700000, v36
	v_or3_b32 v2, v36, v31, v2
.LBB6_634:                              ;   in Loop: Header=BB6_128 Depth=2
	s_or_b32 exec_lo, exec_lo, s28
.LBB6_635:                              ;   in Loop: Header=BB6_128 Depth=2
	s_delay_alu instid0(SALU_CYCLE_1)
	s_or_b32 exec_lo, exec_lo, s27
.LBB6_636:                              ;   in Loop: Header=BB6_128 Depth=2
	s_delay_alu instid0(SALU_CYCLE_1) | instskip(NEXT) | instid1(VALU_DEP_1)
	s_or_b32 exec_lo, exec_lo, s10
	v_mul_f32_e32 v3, v3, v2
                                        ; implicit-def: $vgpr50
	s_mov_b32 s10, exec_lo
	s_delay_alu instid0(VALU_DEP_1) | instskip(SKIP_1) | instid1(VALU_DEP_2)
	v_and_b32_e32 v96, 0x7f800000, v3
	v_lshrrev_b32_e32 v2, 24, v3
	v_cmpx_ne_u64_e32 0x7f800000, v[96:97]
	s_xor_b32 s27, exec_lo, s10
	s_cbranch_execz .LBB6_650
; %bb.637:                              ;   in Loop: Header=BB6_128 Depth=2
	v_and_b32_e32 v96, 0x7fffffff, v3
	v_and_b32_e32 v2, 0x80, v2
                                        ; implicit-def: $vgpr50
	s_mov_b32 s10, exec_lo
	s_delay_alu instid0(VALU_DEP_2)
	v_cmpx_gt_u64_e32 0x43e00001, v[96:97]
	s_xor_b32 s28, exec_lo, s10
	s_cbranch_execz .LBB6_647
; %bb.638:                              ;   in Loop: Header=BB6_128 Depth=2
	v_mov_b32_e32 v50, 0
	s_mov_b32 s29, exec_lo
	v_cmpx_ne_u32_e32 0, v3
	s_cbranch_execz .LBB6_646
; %bb.639:                              ;   in Loop: Header=BB6_128 Depth=2
	v_bfe_u32 v31, v3, 23, 8
	v_and_b32_e32 v3, 0x7fffff, v3
	s_delay_alu instid0(VALU_DEP_2) | instskip(SKIP_1) | instid1(VALU_DEP_3)
	v_sub_nc_u32_e32 v36, 0x79, v31
	v_cmp_gt_u32_e32 vcc_lo, 0x7a, v31
	v_or_b32_e32 v38, 0x800000, v3
	s_delay_alu instid0(VALU_DEP_3) | instskip(SKIP_1) | instid1(VALU_DEP_2)
	v_cndmask_b32_e32 v36, 0, v36, vcc_lo
	v_cmp_eq_u32_e32 vcc_lo, 0, v31
	v_cndmask_b32_e64 v50, v36, 0x78, vcc_lo
	s_delay_alu instid0(VALU_DEP_1) | instskip(SKIP_1) | instid1(VALU_DEP_2)
	v_dual_cndmask_b32 v96, v38, v3, vcc_lo :: v_dual_add_nc_u32 v36, 20, v50
	v_add_nc_u32_e32 v39, 19, v50
	v_lshlrev_b64_e64 v[36:37], v36, -1
	s_delay_alu instid0(VALU_DEP_2) | instskip(NEXT) | instid1(VALU_DEP_2)
	v_lshlrev_b64_e64 v[38:39], v39, 1
	v_bfi_b32 v55, v37, 0, 0
	s_delay_alu instid0(VALU_DEP_3) | instskip(SKIP_1) | instid1(VALU_DEP_2)
	v_bfi_b32 v54, v36, 0, v96
	v_lshrrev_b64 v[36:37], v50, v[96:97]
	v_cmp_eq_u64_e64 s10, v[54:55], v[38:39]
	s_delay_alu instid0(VALU_DEP_2)
	v_mov_b64_e32 v[38:39], v[36:37]
	s_and_saveexec_b32 s40, s10
; %bb.640:                              ;   in Loop: Header=BB6_128 Depth=2
	v_bfe_u32 v96, v36, 20, 1
	s_delay_alu instid0(VALU_DEP_1) | instskip(NEXT) | instid1(VALU_DEP_1)
	v_add_nc_u64_e32 v[38:39], v[36:37], v[96:97]
	v_add_nc_u64_e32 v[38:39], -1, v[38:39]
; %bb.641:                              ;   in Loop: Header=BB6_128 Depth=2
	s_or_b32 exec_lo, exec_lo, s40
	v_add_nc_u32_e32 v3, 0xffffff81, v31
	v_lshrrev_b32_e32 v31, 23, v36
	s_mov_b32 s10, exec_lo
	s_delay_alu instid0(VALU_DEP_2) | instskip(NEXT) | instid1(VALU_DEP_1)
	v_cndmask_b32_e64 v3, v3, 0xffffff82, vcc_lo
	v_add3_u32 v31, v50, v3, v31
	v_and_b32_e32 v3, 0xfffff, v38
	s_delay_alu instid0(VALU_DEP_1) | instskip(NEXT) | instid1(VALU_DEP_1)
	v_dual_add_nc_u32 v38, 6, v31 :: v_dual_add_nc_u32 v96, v3, v36
                                        ; implicit-def: $vgpr36_vgpr37
                                        ; implicit-def: $vgpr3
	v_cmpx_ne_u32_e32 0, v38
	s_xor_b32 s10, exec_lo, s10
; %bb.642:                              ;   in Loop: Header=BB6_128 Depth=2
	s_delay_alu instid0(VALU_DEP_2) | instskip(SKIP_2) | instid1(VALU_DEP_2)
	v_cmp_lt_u64_e32 vcc_lo, 0xffffff, v[96:97]
	v_add_nc_u32_e32 v3, 7, v31
	v_cndmask_b32_e64 v31, 0, 1, vcc_lo
	v_cndmask_b32_e32 v3, v38, v3, vcc_lo
	s_delay_alu instid0(VALU_DEP_2)
	v_lshrrev_b64 v[36:37], v31, v[96:97]
; %bb.643:                              ;   in Loop: Header=BB6_128 Depth=2
	s_and_not1_saveexec_b32 s10, s10
; %bb.644:                              ;   in Loop: Header=BB6_128 Depth=2
	v_mov_b64_e32 v[36:37], v[96:97]
	v_bfe_u32 v3, v96, 23, 1
; %bb.645:                              ;   in Loop: Header=BB6_128 Depth=2
	s_or_b32 exec_lo, exec_lo, s10
	s_delay_alu instid0(VALU_DEP_2) | instskip(NEXT) | instid1(VALU_DEP_2)
	v_lshrrev_b64 v[36:37], 20, v[36:37]
	v_cmp_gt_i32_e32 vcc_lo, 16, v3
	v_min_i32_e32 v31, 15, v3
	v_cmp_eq_u32_e64 s10, 0, v3
	s_delay_alu instid0(VALU_DEP_2) | instskip(SKIP_1) | instid1(VALU_DEP_2)
	v_dual_cndmask_b32 v37, 0, v37, vcc_lo :: v_dual_lshlrev_b32 v31, 3, v31
	v_cndmask_b32_e32 v36, 7, v36, vcc_lo
	v_and_b32_e32 v31, 0xf8, v31
	s_delay_alu instid0(VALU_DEP_2) | instskip(NEXT) | instid1(VALU_DEP_2)
	v_cmp_eq_u64_e32 vcc_lo, 0, v[36:37]
	v_and_or_b32 v3, v36, 7, v31
	s_and_b32 s10, s10, vcc_lo
	s_delay_alu instid0(VALU_DEP_1) | instid1(SALU_CYCLE_1)
	v_cndmask_b32_e64 v3, v3, 0, s10
	s_delay_alu instid0(VALU_DEP_1)
	v_or_b32_e32 v50, v3, v2
.LBB6_646:                              ;   in Loop: Header=BB6_128 Depth=2
	s_or_b32 exec_lo, exec_lo, s29
                                        ; implicit-def: $vgpr2
.LBB6_647:                              ;   in Loop: Header=BB6_128 Depth=2
	s_and_not1_saveexec_b32 s10, s28
; %bb.648:                              ;   in Loop: Header=BB6_128 Depth=2
	v_or_b32_e32 v50, 0x7e, v2
; %bb.649:                              ;   in Loop: Header=BB6_128 Depth=2
	s_or_b32 exec_lo, exec_lo, s10
                                        ; implicit-def: $vgpr2
.LBB6_650:                              ;   in Loop: Header=BB6_128 Depth=2
	s_and_not1_saveexec_b32 s10, s27
; %bb.651:                              ;   in Loop: Header=BB6_128 Depth=2
	v_or_b32_e32 v50, 0x7f, v2
; %bb.652:                              ;   in Loop: Header=BB6_128 Depth=2
	s_or_b32 exec_lo, exec_lo, s10
	v_lshrrev_b16 v31, 8, v32
	v_dual_mov_b32 v2, 0 :: v_dual_mov_b32 v3, 0
	s_mov_b32 s10, exec_lo
	s_delay_alu instid0(VALU_DEP_2)
	v_cmpx_ne_u16_e32 0, v31
	s_cbranch_execz .LBB6_660
; %bb.653:                              ;   in Loop: Header=BB6_128 Depth=2
	v_bfrev_b32_e32 v3, 1
	s_mov_b32 s27, exec_lo
	v_cmpx_ne_u16_e32 0x80, v31
	s_cbranch_execz .LBB6_659
; %bb.654:                              ;   in Loop: Header=BB6_128 Depth=2
	v_and_b32_e32 v36, 0xffff, v31
	v_mov_b32_e32 v3, 0x7f800001
	s_mov_b32 s28, exec_lo
	s_delay_alu instid0(VALU_DEP_2) | instskip(NEXT) | instid1(VALU_DEP_1)
	v_and_b32_e32 v31, 0x7f, v36
	v_cmpx_ne_u32_e32 0x7f, v31
	s_cbranch_execz .LBB6_658
; %bb.655:                              ;   in Loop: Header=BB6_128 Depth=2
	v_dual_lshrrev_b32 v3, 3, v31 :: v_dual_bitop2_b32 v96, 7, v36 bitop3:0x40
	s_mov_b32 s29, exec_lo
	v_cmpx_gt_u32_e32 8, v31
; %bb.656:                              ;   in Loop: Header=BB6_128 Depth=2
	s_delay_alu instid0(VALU_DEP_2) | instskip(NEXT) | instid1(VALU_DEP_1)
	v_clz_i32_u32_e32 v3, v96
	v_min_u32_e32 v3, 32, v3
	s_delay_alu instid0(VALU_DEP_1) | instskip(NEXT) | instid1(VALU_DEP_1)
	v_subrev_nc_u32_e32 v31, 28, v3
	v_lshlrev_b64_e32 v[36:37], v31, v[96:97]
	s_delay_alu instid0(VALU_DEP_1)
	v_dual_sub_nc_u32 v3, 29, v3 :: v_dual_bitop2_b32 v96, 7, v36 bitop3:0x40
; %bb.657:                              ;   in Loop: Header=BB6_128 Depth=2
	s_or_b32 exec_lo, exec_lo, s29
	v_lshlrev_b32_e32 v31, 16, v32
	s_delay_alu instid0(VALU_DEP_2) | instskip(NEXT) | instid1(VALU_DEP_3)
	v_lshlrev_b32_e32 v36, 20, v96
	v_lshl_add_u32 v3, v3, 23, 0x3c000000
	s_delay_alu instid0(VALU_DEP_3) | instskip(NEXT) | instid1(VALU_DEP_1)
	v_and_b32_e32 v31, 0x80000000, v31
	v_or3_b32 v3, v36, v31, v3
.LBB6_658:                              ;   in Loop: Header=BB6_128 Depth=2
	s_or_b32 exec_lo, exec_lo, s28
.LBB6_659:                              ;   in Loop: Header=BB6_128 Depth=2
	s_delay_alu instid0(SALU_CYCLE_1)
	s_or_b32 exec_lo, exec_lo, s27
.LBB6_660:                              ;   in Loop: Header=BB6_128 Depth=2
	s_delay_alu instid0(SALU_CYCLE_1) | instskip(SKIP_2) | instid1(VALU_DEP_1)
	s_or_b32 exec_lo, exec_lo, s10
	v_lshrrev_b16 v31, 8, v26
	s_mov_b32 s10, exec_lo
	v_cmpx_ne_u16_e32 0, v31
	s_cbranch_execz .LBB6_668
; %bb.661:                              ;   in Loop: Header=BB6_128 Depth=2
	v_bfrev_b32_e32 v2, 1
	s_mov_b32 s27, exec_lo
	v_cmpx_ne_u16_e32 0x80, v31
	s_cbranch_execz .LBB6_667
; %bb.662:                              ;   in Loop: Header=BB6_128 Depth=2
	v_and_b32_e32 v36, 0xffff, v31
	v_mov_b32_e32 v2, 0x7f800001
	s_mov_b32 s28, exec_lo
	s_delay_alu instid0(VALU_DEP_2) | instskip(NEXT) | instid1(VALU_DEP_1)
	v_and_b32_e32 v31, 0x7f, v36
	v_cmpx_ne_u32_e32 0x7f, v31
	s_cbranch_execz .LBB6_666
; %bb.663:                              ;   in Loop: Header=BB6_128 Depth=2
	v_dual_lshrrev_b32 v2, 3, v31 :: v_dual_bitop2_b32 v96, 7, v36 bitop3:0x40
	s_mov_b32 s29, exec_lo
	v_cmpx_gt_u32_e32 8, v31
; %bb.664:                              ;   in Loop: Header=BB6_128 Depth=2
	s_delay_alu instid0(VALU_DEP_2) | instskip(NEXT) | instid1(VALU_DEP_1)
	v_clz_i32_u32_e32 v2, v96
	v_min_u32_e32 v2, 32, v2
	s_delay_alu instid0(VALU_DEP_1) | instskip(NEXT) | instid1(VALU_DEP_1)
	v_subrev_nc_u32_e32 v31, 28, v2
	v_lshlrev_b64_e32 v[36:37], v31, v[96:97]
	s_delay_alu instid0(VALU_DEP_1)
	v_dual_sub_nc_u32 v2, 29, v2 :: v_dual_bitop2_b32 v96, 7, v36 bitop3:0x40
; %bb.665:                              ;   in Loop: Header=BB6_128 Depth=2
	s_or_b32 exec_lo, exec_lo, s29
	s_delay_alu instid0(VALU_DEP_1) | instskip(NEXT) | instid1(VALU_DEP_2)
	v_dual_lshlrev_b32 v31, 16, v26 :: v_dual_lshlrev_b32 v36, 20, v96
	v_lshl_add_u32 v2, v2, 23, 0x3c000000
	s_delay_alu instid0(VALU_DEP_2) | instskip(NEXT) | instid1(VALU_DEP_1)
	v_and_b32_e32 v31, 0x80000000, v31
	v_or3_b32 v2, v36, v31, v2
.LBB6_666:                              ;   in Loop: Header=BB6_128 Depth=2
	s_or_b32 exec_lo, exec_lo, s28
.LBB6_667:                              ;   in Loop: Header=BB6_128 Depth=2
	s_delay_alu instid0(SALU_CYCLE_1)
	s_or_b32 exec_lo, exec_lo, s27
.LBB6_668:                              ;   in Loop: Header=BB6_128 Depth=2
	s_delay_alu instid0(SALU_CYCLE_1) | instskip(NEXT) | instid1(VALU_DEP_1)
	s_or_b32 exec_lo, exec_lo, s10
	v_mul_f32_e32 v3, v3, v2
                                        ; implicit-def: $vgpr51
	s_mov_b32 s10, exec_lo
	s_delay_alu instid0(VALU_DEP_1) | instskip(SKIP_1) | instid1(VALU_DEP_2)
	v_and_b32_e32 v96, 0x7f800000, v3
	v_lshrrev_b32_e32 v2, 24, v3
	v_cmpx_ne_u64_e32 0x7f800000, v[96:97]
	s_xor_b32 s27, exec_lo, s10
	s_cbranch_execz .LBB6_682
; %bb.669:                              ;   in Loop: Header=BB6_128 Depth=2
	v_and_b32_e32 v96, 0x7fffffff, v3
	v_and_b32_e32 v2, 0x80, v2
                                        ; implicit-def: $vgpr51
	s_mov_b32 s10, exec_lo
	s_delay_alu instid0(VALU_DEP_2)
	v_cmpx_gt_u64_e32 0x43e00001, v[96:97]
	s_xor_b32 s28, exec_lo, s10
	s_cbranch_execz .LBB6_679
; %bb.670:                              ;   in Loop: Header=BB6_128 Depth=2
	v_mov_b32_e32 v51, 0
	s_mov_b32 s29, exec_lo
	v_cmpx_ne_u32_e32 0, v3
	s_cbranch_execz .LBB6_678
; %bb.671:                              ;   in Loop: Header=BB6_128 Depth=2
	v_bfe_u32 v31, v3, 23, 8
	v_and_b32_e32 v3, 0x7fffff, v3
	s_delay_alu instid0(VALU_DEP_2) | instskip(SKIP_1) | instid1(VALU_DEP_3)
	v_sub_nc_u32_e32 v36, 0x79, v31
	v_cmp_gt_u32_e32 vcc_lo, 0x7a, v31
	v_or_b32_e32 v38, 0x800000, v3
	s_delay_alu instid0(VALU_DEP_3) | instskip(SKIP_1) | instid1(VALU_DEP_2)
	v_cndmask_b32_e32 v36, 0, v36, vcc_lo
	v_cmp_eq_u32_e32 vcc_lo, 0, v31
	v_cndmask_b32_e64 v51, v36, 0x78, vcc_lo
	s_delay_alu instid0(VALU_DEP_4) | instskip(NEXT) | instid1(VALU_DEP_2)
	v_cndmask_b32_e32 v96, v38, v3, vcc_lo
	v_dual_add_nc_u32 v36, 20, v51 :: v_dual_add_nc_u32 v39, 19, v51
	s_delay_alu instid0(VALU_DEP_1) | instskip(NEXT) | instid1(VALU_DEP_2)
	v_lshlrev_b64_e64 v[36:37], v36, -1
	v_lshlrev_b64_e64 v[38:39], v39, 1
	s_delay_alu instid0(VALU_DEP_2) | instskip(NEXT) | instid1(VALU_DEP_3)
	v_bfi_b32 v55, v37, 0, 0
	v_bfi_b32 v54, v36, 0, v96
	v_lshrrev_b64 v[36:37], v51, v[96:97]
	s_delay_alu instid0(VALU_DEP_2) | instskip(NEXT) | instid1(VALU_DEP_2)
	v_cmp_eq_u64_e64 s10, v[54:55], v[38:39]
	v_mov_b64_e32 v[38:39], v[36:37]
	s_and_saveexec_b32 s40, s10
; %bb.672:                              ;   in Loop: Header=BB6_128 Depth=2
	v_bfe_u32 v96, v36, 20, 1
	s_delay_alu instid0(VALU_DEP_1) | instskip(NEXT) | instid1(VALU_DEP_1)
	v_add_nc_u64_e32 v[38:39], v[36:37], v[96:97]
	v_add_nc_u64_e32 v[38:39], -1, v[38:39]
; %bb.673:                              ;   in Loop: Header=BB6_128 Depth=2
	s_or_b32 exec_lo, exec_lo, s40
	v_add_nc_u32_e32 v3, 0xffffff81, v31
	v_lshrrev_b32_e32 v31, 23, v36
	s_mov_b32 s10, exec_lo
	s_delay_alu instid0(VALU_DEP_2) | instskip(NEXT) | instid1(VALU_DEP_1)
	v_cndmask_b32_e64 v3, v3, 0xffffff82, vcc_lo
	v_add3_u32 v31, v51, v3, v31
	v_and_b32_e32 v3, 0xfffff, v38
	s_delay_alu instid0(VALU_DEP_1) | instskip(NEXT) | instid1(VALU_DEP_1)
	v_dual_add_nc_u32 v38, 6, v31 :: v_dual_add_nc_u32 v96, v3, v36
                                        ; implicit-def: $vgpr36_vgpr37
                                        ; implicit-def: $vgpr3
	v_cmpx_ne_u32_e32 0, v38
	s_xor_b32 s10, exec_lo, s10
; %bb.674:                              ;   in Loop: Header=BB6_128 Depth=2
	s_delay_alu instid0(VALU_DEP_2) | instskip(SKIP_2) | instid1(VALU_DEP_2)
	v_cmp_lt_u64_e32 vcc_lo, 0xffffff, v[96:97]
	v_add_nc_u32_e32 v3, 7, v31
	v_cndmask_b32_e64 v31, 0, 1, vcc_lo
	v_cndmask_b32_e32 v3, v38, v3, vcc_lo
	s_delay_alu instid0(VALU_DEP_2)
	v_lshrrev_b64 v[36:37], v31, v[96:97]
; %bb.675:                              ;   in Loop: Header=BB6_128 Depth=2
	s_and_not1_saveexec_b32 s10, s10
; %bb.676:                              ;   in Loop: Header=BB6_128 Depth=2
	v_mov_b64_e32 v[36:37], v[96:97]
	v_bfe_u32 v3, v96, 23, 1
; %bb.677:                              ;   in Loop: Header=BB6_128 Depth=2
	s_or_b32 exec_lo, exec_lo, s10
	s_delay_alu instid0(VALU_DEP_2) | instskip(NEXT) | instid1(VALU_DEP_2)
	v_lshrrev_b64 v[36:37], 20, v[36:37]
	v_cmp_gt_i32_e32 vcc_lo, 16, v3
	v_min_i32_e32 v31, 15, v3
	v_cmp_eq_u32_e64 s10, 0, v3
	s_delay_alu instid0(VALU_DEP_2) | instskip(SKIP_1) | instid1(VALU_DEP_2)
	v_dual_cndmask_b32 v37, 0, v37, vcc_lo :: v_dual_lshlrev_b32 v31, 3, v31
	v_cndmask_b32_e32 v36, 7, v36, vcc_lo
	v_and_b32_e32 v31, 0xf8, v31
	s_delay_alu instid0(VALU_DEP_2) | instskip(NEXT) | instid1(VALU_DEP_2)
	v_cmp_eq_u64_e32 vcc_lo, 0, v[36:37]
	v_and_or_b32 v3, v36, 7, v31
	s_and_b32 s10, s10, vcc_lo
	s_delay_alu instid0(VALU_DEP_1) | instid1(SALU_CYCLE_1)
	v_cndmask_b32_e64 v3, v3, 0, s10
	s_delay_alu instid0(VALU_DEP_1)
	v_or_b32_e32 v51, v3, v2
.LBB6_678:                              ;   in Loop: Header=BB6_128 Depth=2
	s_or_b32 exec_lo, exec_lo, s29
                                        ; implicit-def: $vgpr2
.LBB6_679:                              ;   in Loop: Header=BB6_128 Depth=2
	s_and_not1_saveexec_b32 s10, s28
; %bb.680:                              ;   in Loop: Header=BB6_128 Depth=2
	v_or_b32_e32 v51, 0x7e, v2
; %bb.681:                              ;   in Loop: Header=BB6_128 Depth=2
	s_or_b32 exec_lo, exec_lo, s10
                                        ; implicit-def: $vgpr2
.LBB6_682:                              ;   in Loop: Header=BB6_128 Depth=2
	s_and_not1_saveexec_b32 s10, s27
; %bb.683:                              ;   in Loop: Header=BB6_128 Depth=2
	v_or_b32_e32 v51, 0x7f, v2
; %bb.684:                              ;   in Loop: Header=BB6_128 Depth=2
	s_or_b32 exec_lo, exec_lo, s10
	v_dual_mov_b32 v2, 0 :: v_dual_lshrrev_b32 v31, 16, v32
	v_mov_b32_e32 v3, 0
	s_mov_b32 s10, exec_lo
	s_delay_alu instid0(VALU_DEP_2) | instskip(NEXT) | instid1(VALU_DEP_1)
	v_and_b32_e32 v36, 0xff, v31
	v_cmpx_ne_u16_e32 0, v36
	s_cbranch_execz .LBB6_692
; %bb.685:                              ;   in Loop: Header=BB6_128 Depth=2
	v_bfrev_b32_e32 v3, 1
	s_mov_b32 s27, exec_lo
	v_cmpx_ne_u16_e32 0x80, v36
	s_cbranch_execz .LBB6_691
; %bb.686:                              ;   in Loop: Header=BB6_128 Depth=2
	v_bfe_u32 v36, v32, 16, 7
	v_mov_b32_e32 v3, 0x7f800001
	s_mov_b32 s28, exec_lo
	s_delay_alu instid0(VALU_DEP_2)
	v_cmpx_ne_u32_e32 0x7f, v36
	s_cbranch_execz .LBB6_690
; %bb.687:                              ;   in Loop: Header=BB6_128 Depth=2
	v_dual_lshrrev_b32 v3, 3, v36 :: v_dual_bitop2_b32 v96, 7, v31 bitop3:0x40
	s_mov_b32 s29, exec_lo
	v_cmpx_gt_u32_e32 8, v36
; %bb.688:                              ;   in Loop: Header=BB6_128 Depth=2
	s_delay_alu instid0(VALU_DEP_2) | instskip(NEXT) | instid1(VALU_DEP_1)
	v_clz_i32_u32_e32 v3, v96
	v_min_u32_e32 v3, 32, v3
	s_delay_alu instid0(VALU_DEP_1) | instskip(NEXT) | instid1(VALU_DEP_1)
	v_subrev_nc_u32_e32 v36, 28, v3
	v_lshlrev_b64_e32 v[36:37], v36, v[96:97]
	s_delay_alu instid0(VALU_DEP_1)
	v_dual_sub_nc_u32 v3, 29, v3 :: v_dual_bitop2_b32 v96, 7, v36 bitop3:0x40
; %bb.689:                              ;   in Loop: Header=BB6_128 Depth=2
	s_or_b32 exec_lo, exec_lo, s29
	s_delay_alu instid0(VALU_DEP_1) | instskip(NEXT) | instid1(VALU_DEP_2)
	v_dual_lshlrev_b32 v31, 24, v31 :: v_dual_lshlrev_b32 v36, 20, v96
	v_lshl_add_u32 v3, v3, 23, 0x3c000000
	s_delay_alu instid0(VALU_DEP_2) | instskip(NEXT) | instid1(VALU_DEP_1)
	v_and_b32_e32 v31, 0x80000000, v31
	v_or3_b32 v3, v36, v31, v3
.LBB6_690:                              ;   in Loop: Header=BB6_128 Depth=2
	s_or_b32 exec_lo, exec_lo, s28
.LBB6_691:                              ;   in Loop: Header=BB6_128 Depth=2
	s_delay_alu instid0(SALU_CYCLE_1)
	s_or_b32 exec_lo, exec_lo, s27
.LBB6_692:                              ;   in Loop: Header=BB6_128 Depth=2
	s_delay_alu instid0(SALU_CYCLE_1) | instskip(SKIP_2) | instid1(VALU_DEP_1)
	s_or_b32 exec_lo, exec_lo, s10
	v_lshrrev_b32_e32 v31, 16, v26
	s_mov_b32 s10, exec_lo
	v_and_b32_e32 v36, 0xff, v31
	s_delay_alu instid0(VALU_DEP_1)
	v_cmpx_ne_u16_e32 0, v36
	s_cbranch_execz .LBB6_700
; %bb.693:                              ;   in Loop: Header=BB6_128 Depth=2
	v_bfrev_b32_e32 v2, 1
	s_mov_b32 s27, exec_lo
	v_cmpx_ne_u16_e32 0x80, v36
	s_cbranch_execz .LBB6_699
; %bb.694:                              ;   in Loop: Header=BB6_128 Depth=2
	v_bfe_u32 v36, v26, 16, 7
	v_mov_b32_e32 v2, 0x7f800001
	s_mov_b32 s28, exec_lo
	s_delay_alu instid0(VALU_DEP_2)
	v_cmpx_ne_u32_e32 0x7f, v36
	s_cbranch_execz .LBB6_698
; %bb.695:                              ;   in Loop: Header=BB6_128 Depth=2
	v_dual_lshrrev_b32 v2, 3, v36 :: v_dual_bitop2_b32 v96, 7, v31 bitop3:0x40
	s_mov_b32 s29, exec_lo
	v_cmpx_gt_u32_e32 8, v36
; %bb.696:                              ;   in Loop: Header=BB6_128 Depth=2
	s_delay_alu instid0(VALU_DEP_2) | instskip(NEXT) | instid1(VALU_DEP_1)
	v_clz_i32_u32_e32 v2, v96
	v_min_u32_e32 v2, 32, v2
	s_delay_alu instid0(VALU_DEP_1) | instskip(NEXT) | instid1(VALU_DEP_1)
	v_subrev_nc_u32_e32 v31, 28, v2
	v_lshlrev_b64_e32 v[36:37], v31, v[96:97]
	s_delay_alu instid0(VALU_DEP_1)
	v_dual_sub_nc_u32 v2, 29, v2 :: v_dual_bitop2_b32 v96, 7, v36 bitop3:0x40
; %bb.697:                              ;   in Loop: Header=BB6_128 Depth=2
	s_or_b32 exec_lo, exec_lo, s29
	s_delay_alu instid0(VALU_DEP_1) | instskip(NEXT) | instid1(VALU_DEP_2)
	v_dual_lshlrev_b32 v31, 8, v26 :: v_dual_lshlrev_b32 v36, 20, v96
	v_lshl_add_u32 v2, v2, 23, 0x3c000000
	s_delay_alu instid0(VALU_DEP_2) | instskip(NEXT) | instid1(VALU_DEP_1)
	v_and_b32_e32 v31, 0x80000000, v31
	v_or3_b32 v2, v36, v31, v2
.LBB6_698:                              ;   in Loop: Header=BB6_128 Depth=2
	s_or_b32 exec_lo, exec_lo, s28
.LBB6_699:                              ;   in Loop: Header=BB6_128 Depth=2
	s_delay_alu instid0(SALU_CYCLE_1)
	s_or_b32 exec_lo, exec_lo, s27
.LBB6_700:                              ;   in Loop: Header=BB6_128 Depth=2
	s_delay_alu instid0(SALU_CYCLE_1) | instskip(NEXT) | instid1(VALU_DEP_1)
	s_or_b32 exec_lo, exec_lo, s10
	v_mul_f32_e32 v3, v3, v2
                                        ; implicit-def: $vgpr104
	s_mov_b32 s10, exec_lo
	s_delay_alu instid0(VALU_DEP_1) | instskip(SKIP_1) | instid1(VALU_DEP_2)
	v_and_b32_e32 v96, 0x7f800000, v3
	v_lshrrev_b32_e32 v2, 24, v3
	v_cmpx_ne_u64_e32 0x7f800000, v[96:97]
	s_xor_b32 s27, exec_lo, s10
	s_cbranch_execz .LBB6_714
; %bb.701:                              ;   in Loop: Header=BB6_128 Depth=2
	v_and_b32_e32 v96, 0x7fffffff, v3
	v_and_b32_e32 v2, 0x80, v2
                                        ; implicit-def: $vgpr104
	s_mov_b32 s10, exec_lo
	s_delay_alu instid0(VALU_DEP_2)
	v_cmpx_gt_u64_e32 0x43e00001, v[96:97]
	s_xor_b32 s28, exec_lo, s10
	s_cbranch_execz .LBB6_711
; %bb.702:                              ;   in Loop: Header=BB6_128 Depth=2
	v_mov_b32_e32 v104, 0
	s_mov_b32 s29, exec_lo
	v_cmpx_ne_u32_e32 0, v3
	s_cbranch_execz .LBB6_710
; %bb.703:                              ;   in Loop: Header=BB6_128 Depth=2
	v_bfe_u32 v31, v3, 23, 8
	v_and_b32_e32 v3, 0x7fffff, v3
	s_delay_alu instid0(VALU_DEP_2) | instskip(SKIP_1) | instid1(VALU_DEP_3)
	v_sub_nc_u32_e32 v36, 0x79, v31
	v_cmp_gt_u32_e32 vcc_lo, 0x7a, v31
	v_or_b32_e32 v38, 0x800000, v3
	s_delay_alu instid0(VALU_DEP_3) | instskip(SKIP_1) | instid1(VALU_DEP_2)
	v_cndmask_b32_e32 v36, 0, v36, vcc_lo
	v_cmp_eq_u32_e32 vcc_lo, 0, v31
	v_cndmask_b32_e64 v54, v36, 0x78, vcc_lo
	s_delay_alu instid0(VALU_DEP_1) | instskip(SKIP_1) | instid1(VALU_DEP_2)
	v_dual_cndmask_b32 v96, v38, v3, vcc_lo :: v_dual_add_nc_u32 v36, 20, v54
	v_add_nc_u32_e32 v39, 19, v54
	v_lshlrev_b64_e64 v[36:37], v36, -1
	s_delay_alu instid0(VALU_DEP_2) | instskip(NEXT) | instid1(VALU_DEP_2)
	v_lshlrev_b64_e64 v[38:39], v39, 1
	v_bfi_b32 v113, v37, 0, 0
	s_delay_alu instid0(VALU_DEP_3) | instskip(SKIP_1) | instid1(VALU_DEP_2)
	v_bfi_b32 v112, v36, 0, v96
	v_lshrrev_b64 v[36:37], v54, v[96:97]
	v_cmp_eq_u64_e64 s10, v[112:113], v[38:39]
	s_delay_alu instid0(VALU_DEP_2)
	v_mov_b64_e32 v[38:39], v[36:37]
	s_and_saveexec_b32 s40, s10
; %bb.704:                              ;   in Loop: Header=BB6_128 Depth=2
	v_bfe_u32 v96, v36, 20, 1
	s_delay_alu instid0(VALU_DEP_1) | instskip(NEXT) | instid1(VALU_DEP_1)
	v_add_nc_u64_e32 v[38:39], v[36:37], v[96:97]
	v_add_nc_u64_e32 v[38:39], -1, v[38:39]
; %bb.705:                              ;   in Loop: Header=BB6_128 Depth=2
	s_or_b32 exec_lo, exec_lo, s40
	v_add_nc_u32_e32 v3, 0xffffff81, v31
	v_lshrrev_b32_e32 v31, 23, v36
	s_mov_b32 s10, exec_lo
	s_delay_alu instid0(VALU_DEP_2) | instskip(NEXT) | instid1(VALU_DEP_1)
	v_cndmask_b32_e64 v3, v3, 0xffffff82, vcc_lo
	v_add3_u32 v31, v54, v3, v31
	v_and_b32_e32 v3, 0xfffff, v38
	s_delay_alu instid0(VALU_DEP_1) | instskip(NEXT) | instid1(VALU_DEP_1)
	v_dual_add_nc_u32 v38, 6, v31 :: v_dual_add_nc_u32 v96, v3, v36
                                        ; implicit-def: $vgpr36_vgpr37
                                        ; implicit-def: $vgpr3
	v_cmpx_ne_u32_e32 0, v38
	s_xor_b32 s10, exec_lo, s10
; %bb.706:                              ;   in Loop: Header=BB6_128 Depth=2
	s_delay_alu instid0(VALU_DEP_2) | instskip(SKIP_2) | instid1(VALU_DEP_2)
	v_cmp_lt_u64_e32 vcc_lo, 0xffffff, v[96:97]
	v_add_nc_u32_e32 v3, 7, v31
	v_cndmask_b32_e64 v31, 0, 1, vcc_lo
	v_cndmask_b32_e32 v3, v38, v3, vcc_lo
	s_delay_alu instid0(VALU_DEP_2)
	v_lshrrev_b64 v[36:37], v31, v[96:97]
; %bb.707:                              ;   in Loop: Header=BB6_128 Depth=2
	s_and_not1_saveexec_b32 s10, s10
; %bb.708:                              ;   in Loop: Header=BB6_128 Depth=2
	v_mov_b64_e32 v[36:37], v[96:97]
	v_bfe_u32 v3, v96, 23, 1
; %bb.709:                              ;   in Loop: Header=BB6_128 Depth=2
	s_or_b32 exec_lo, exec_lo, s10
	s_delay_alu instid0(VALU_DEP_2) | instskip(NEXT) | instid1(VALU_DEP_2)
	v_lshrrev_b64 v[36:37], 20, v[36:37]
	v_cmp_gt_i32_e32 vcc_lo, 16, v3
	v_min_i32_e32 v31, 15, v3
	v_cmp_eq_u32_e64 s10, 0, v3
	s_delay_alu instid0(VALU_DEP_2) | instskip(SKIP_1) | instid1(VALU_DEP_2)
	v_dual_cndmask_b32 v37, 0, v37, vcc_lo :: v_dual_lshlrev_b32 v31, 3, v31
	v_cndmask_b32_e32 v36, 7, v36, vcc_lo
	v_and_b32_e32 v31, 0xf8, v31
	s_delay_alu instid0(VALU_DEP_2) | instskip(NEXT) | instid1(VALU_DEP_2)
	v_cmp_eq_u64_e32 vcc_lo, 0, v[36:37]
	v_and_or_b32 v3, v36, 7, v31
	s_and_b32 s10, s10, vcc_lo
	s_delay_alu instid0(VALU_DEP_1) | instid1(SALU_CYCLE_1)
	v_cndmask_b32_e64 v3, v3, 0, s10
	s_delay_alu instid0(VALU_DEP_1)
	v_or_b32_e32 v104, v3, v2
.LBB6_710:                              ;   in Loop: Header=BB6_128 Depth=2
	s_or_b32 exec_lo, exec_lo, s29
                                        ; implicit-def: $vgpr2
.LBB6_711:                              ;   in Loop: Header=BB6_128 Depth=2
	s_and_not1_saveexec_b32 s10, s28
; %bb.712:                              ;   in Loop: Header=BB6_128 Depth=2
	v_or_b32_e32 v104, 0x7e, v2
; %bb.713:                              ;   in Loop: Header=BB6_128 Depth=2
	s_or_b32 exec_lo, exec_lo, s10
                                        ; implicit-def: $vgpr2
.LBB6_714:                              ;   in Loop: Header=BB6_128 Depth=2
	s_and_not1_saveexec_b32 s10, s27
; %bb.715:                              ;   in Loop: Header=BB6_128 Depth=2
	v_or_b32_e32 v104, 0x7f, v2
; %bb.716:                              ;   in Loop: Header=BB6_128 Depth=2
	s_or_b32 exec_lo, exec_lo, s10
	v_dual_mov_b32 v2, 0 :: v_dual_mov_b32 v3, 0
	s_mov_b32 s10, exec_lo
	v_cmpx_lt_u32_e32 0xffffff, v32
	s_cbranch_execz .LBB6_724
; %bb.717:                              ;   in Loop: Header=BB6_128 Depth=2
	v_lshrrev_b32_e32 v31, 24, v32
	v_bfrev_b32_e32 v3, 1
	s_mov_b32 s27, exec_lo
	s_delay_alu instid0(VALU_DEP_2)
	v_cmpx_ne_u32_e32 0x80, v31
	s_cbranch_execz .LBB6_723
; %bb.718:                              ;   in Loop: Header=BB6_128 Depth=2
	v_bfe_u32 v36, v32, 24, 7
	v_mov_b32_e32 v3, 0x7f800001
	s_mov_b32 s28, exec_lo
	s_delay_alu instid0(VALU_DEP_2)
	v_cmpx_ne_u32_e32 0x7f, v36
	s_cbranch_execz .LBB6_722
; %bb.719:                              ;   in Loop: Header=BB6_128 Depth=2
	v_dual_lshrrev_b32 v3, 3, v36 :: v_dual_bitop2_b32 v96, 7, v31 bitop3:0x40
	s_mov_b32 s29, exec_lo
	v_cmpx_gt_u32_e32 8, v36
; %bb.720:                              ;   in Loop: Header=BB6_128 Depth=2
	s_delay_alu instid0(VALU_DEP_2) | instskip(NEXT) | instid1(VALU_DEP_1)
	v_clz_i32_u32_e32 v3, v96
	v_min_u32_e32 v3, 32, v3
	s_delay_alu instid0(VALU_DEP_1) | instskip(NEXT) | instid1(VALU_DEP_1)
	v_subrev_nc_u32_e32 v36, 28, v3
	v_lshlrev_b64_e32 v[36:37], v36, v[96:97]
	s_delay_alu instid0(VALU_DEP_1)
	v_dual_sub_nc_u32 v3, 29, v3 :: v_dual_bitop2_b32 v96, 7, v36 bitop3:0x40
; %bb.721:                              ;   in Loop: Header=BB6_128 Depth=2
	s_or_b32 exec_lo, exec_lo, s29
	s_delay_alu instid0(VALU_DEP_1) | instskip(NEXT) | instid1(VALU_DEP_2)
	v_dual_lshlrev_b32 v31, 24, v31 :: v_dual_lshlrev_b32 v36, 20, v96
	v_lshl_add_u32 v3, v3, 23, 0x3c000000
	s_delay_alu instid0(VALU_DEP_2) | instskip(NEXT) | instid1(VALU_DEP_1)
	v_and_b32_e32 v31, 0x80000000, v31
	v_or3_b32 v3, v36, v31, v3
.LBB6_722:                              ;   in Loop: Header=BB6_128 Depth=2
	s_or_b32 exec_lo, exec_lo, s28
.LBB6_723:                              ;   in Loop: Header=BB6_128 Depth=2
	s_delay_alu instid0(SALU_CYCLE_1)
	s_or_b32 exec_lo, exec_lo, s27
.LBB6_724:                              ;   in Loop: Header=BB6_128 Depth=2
	s_delay_alu instid0(SALU_CYCLE_1) | instskip(NEXT) | instid1(SALU_CYCLE_1)
	s_or_b32 exec_lo, exec_lo, s10
	s_mov_b32 s10, exec_lo
	v_cmpx_lt_u32_e32 0xffffff, v26
	s_cbranch_execz .LBB6_732
; %bb.725:                              ;   in Loop: Header=BB6_128 Depth=2
	v_lshrrev_b32_e32 v31, 24, v26
	v_bfrev_b32_e32 v2, 1
	s_mov_b32 s27, exec_lo
	s_delay_alu instid0(VALU_DEP_2)
	v_cmpx_ne_u32_e32 0x80, v31
	s_cbranch_execz .LBB6_731
; %bb.726:                              ;   in Loop: Header=BB6_128 Depth=2
	v_bfe_u32 v36, v26, 24, 7
	v_mov_b32_e32 v2, 0x7f800001
	s_mov_b32 s28, exec_lo
	s_delay_alu instid0(VALU_DEP_2)
	v_cmpx_ne_u32_e32 0x7f, v36
	s_cbranch_execz .LBB6_730
; %bb.727:                              ;   in Loop: Header=BB6_128 Depth=2
	v_dual_lshrrev_b32 v2, 3, v36 :: v_dual_bitop2_b32 v96, 7, v31 bitop3:0x40
	s_mov_b32 s29, exec_lo
	v_cmpx_gt_u32_e32 8, v36
; %bb.728:                              ;   in Loop: Header=BB6_128 Depth=2
	s_delay_alu instid0(VALU_DEP_2) | instskip(NEXT) | instid1(VALU_DEP_1)
	v_clz_i32_u32_e32 v2, v96
	v_min_u32_e32 v2, 32, v2
	s_delay_alu instid0(VALU_DEP_1) | instskip(NEXT) | instid1(VALU_DEP_1)
	v_subrev_nc_u32_e32 v36, 28, v2
	v_lshlrev_b64_e32 v[36:37], v36, v[96:97]
	s_delay_alu instid0(VALU_DEP_1)
	v_dual_sub_nc_u32 v2, 29, v2 :: v_dual_bitop2_b32 v96, 7, v36 bitop3:0x40
; %bb.729:                              ;   in Loop: Header=BB6_128 Depth=2
	s_or_b32 exec_lo, exec_lo, s29
	s_delay_alu instid0(VALU_DEP_1) | instskip(NEXT) | instid1(VALU_DEP_2)
	v_dual_lshlrev_b32 v31, 24, v31 :: v_dual_lshlrev_b32 v36, 20, v96
	v_lshl_add_u32 v2, v2, 23, 0x3c000000
	s_delay_alu instid0(VALU_DEP_2) | instskip(NEXT) | instid1(VALU_DEP_1)
	v_and_b32_e32 v31, 0x80000000, v31
	v_or3_b32 v2, v36, v31, v2
.LBB6_730:                              ;   in Loop: Header=BB6_128 Depth=2
	s_or_b32 exec_lo, exec_lo, s28
.LBB6_731:                              ;   in Loop: Header=BB6_128 Depth=2
	s_delay_alu instid0(SALU_CYCLE_1)
	s_or_b32 exec_lo, exec_lo, s27
.LBB6_732:                              ;   in Loop: Header=BB6_128 Depth=2
	s_delay_alu instid0(SALU_CYCLE_1) | instskip(NEXT) | instid1(VALU_DEP_1)
	s_or_b32 exec_lo, exec_lo, s10
	v_mul_f32_e32 v3, v3, v2
                                        ; implicit-def: $vgpr105
	s_mov_b32 s10, exec_lo
	s_delay_alu instid0(VALU_DEP_1) | instskip(SKIP_1) | instid1(VALU_DEP_2)
	v_and_b32_e32 v96, 0x7f800000, v3
	v_lshrrev_b32_e32 v2, 24, v3
	v_cmpx_ne_u64_e32 0x7f800000, v[96:97]
	s_xor_b32 s27, exec_lo, s10
	s_cbranch_execz .LBB6_746
; %bb.733:                              ;   in Loop: Header=BB6_128 Depth=2
	v_and_b32_e32 v96, 0x7fffffff, v3
	v_and_b32_e32 v2, 0x80, v2
                                        ; implicit-def: $vgpr105
	s_mov_b32 s10, exec_lo
	s_delay_alu instid0(VALU_DEP_2)
	v_cmpx_gt_u64_e32 0x43e00001, v[96:97]
	s_xor_b32 s28, exec_lo, s10
	s_cbranch_execz .LBB6_743
; %bb.734:                              ;   in Loop: Header=BB6_128 Depth=2
	v_mov_b32_e32 v105, 0
	s_mov_b32 s29, exec_lo
	v_cmpx_ne_u32_e32 0, v3
	s_cbranch_execz .LBB6_742
; %bb.735:                              ;   in Loop: Header=BB6_128 Depth=2
	v_bfe_u32 v31, v3, 23, 8
	v_and_b32_e32 v3, 0x7fffff, v3
	s_delay_alu instid0(VALU_DEP_2) | instskip(SKIP_1) | instid1(VALU_DEP_3)
	v_sub_nc_u32_e32 v36, 0x79, v31
	v_cmp_gt_u32_e32 vcc_lo, 0x7a, v31
	v_or_b32_e32 v38, 0x800000, v3
	s_delay_alu instid0(VALU_DEP_3) | instskip(SKIP_1) | instid1(VALU_DEP_2)
	v_cndmask_b32_e32 v36, 0, v36, vcc_lo
	v_cmp_eq_u32_e32 vcc_lo, 0, v31
	v_cndmask_b32_e64 v54, v36, 0x78, vcc_lo
	s_delay_alu instid0(VALU_DEP_1) | instskip(SKIP_1) | instid1(VALU_DEP_2)
	v_dual_cndmask_b32 v96, v38, v3, vcc_lo :: v_dual_add_nc_u32 v36, 20, v54
	v_add_nc_u32_e32 v39, 19, v54
	v_lshlrev_b64_e64 v[36:37], v36, -1
	s_delay_alu instid0(VALU_DEP_2) | instskip(NEXT) | instid1(VALU_DEP_2)
	v_lshlrev_b64_e64 v[38:39], v39, 1
	v_bfi_b32 v113, v37, 0, 0
	s_delay_alu instid0(VALU_DEP_3) | instskip(SKIP_1) | instid1(VALU_DEP_2)
	v_bfi_b32 v112, v36, 0, v96
	v_lshrrev_b64 v[36:37], v54, v[96:97]
	v_cmp_eq_u64_e64 s10, v[112:113], v[38:39]
	s_delay_alu instid0(VALU_DEP_2)
	v_mov_b64_e32 v[38:39], v[36:37]
	s_and_saveexec_b32 s40, s10
; %bb.736:                              ;   in Loop: Header=BB6_128 Depth=2
	v_bfe_u32 v96, v36, 20, 1
	s_delay_alu instid0(VALU_DEP_1) | instskip(NEXT) | instid1(VALU_DEP_1)
	v_add_nc_u64_e32 v[38:39], v[36:37], v[96:97]
	v_add_nc_u64_e32 v[38:39], -1, v[38:39]
; %bb.737:                              ;   in Loop: Header=BB6_128 Depth=2
	s_or_b32 exec_lo, exec_lo, s40
	v_add_nc_u32_e32 v3, 0xffffff81, v31
	v_lshrrev_b32_e32 v31, 23, v36
	s_mov_b32 s10, exec_lo
	s_delay_alu instid0(VALU_DEP_2) | instskip(NEXT) | instid1(VALU_DEP_1)
	v_cndmask_b32_e64 v3, v3, 0xffffff82, vcc_lo
	v_add3_u32 v31, v54, v3, v31
	v_and_b32_e32 v3, 0xfffff, v38
	s_delay_alu instid0(VALU_DEP_1) | instskip(NEXT) | instid1(VALU_DEP_1)
	v_dual_add_nc_u32 v38, 6, v31 :: v_dual_add_nc_u32 v96, v3, v36
                                        ; implicit-def: $vgpr36_vgpr37
                                        ; implicit-def: $vgpr3
	v_cmpx_ne_u32_e32 0, v38
	s_xor_b32 s10, exec_lo, s10
; %bb.738:                              ;   in Loop: Header=BB6_128 Depth=2
	s_delay_alu instid0(VALU_DEP_2) | instskip(SKIP_2) | instid1(VALU_DEP_2)
	v_cmp_lt_u64_e32 vcc_lo, 0xffffff, v[96:97]
	v_add_nc_u32_e32 v3, 7, v31
	v_cndmask_b32_e64 v31, 0, 1, vcc_lo
	v_cndmask_b32_e32 v3, v38, v3, vcc_lo
	s_delay_alu instid0(VALU_DEP_2)
	v_lshrrev_b64 v[36:37], v31, v[96:97]
; %bb.739:                              ;   in Loop: Header=BB6_128 Depth=2
	s_and_not1_saveexec_b32 s10, s10
; %bb.740:                              ;   in Loop: Header=BB6_128 Depth=2
	v_mov_b64_e32 v[36:37], v[96:97]
	v_bfe_u32 v3, v96, 23, 1
; %bb.741:                              ;   in Loop: Header=BB6_128 Depth=2
	s_or_b32 exec_lo, exec_lo, s10
	s_delay_alu instid0(VALU_DEP_2) | instskip(NEXT) | instid1(VALU_DEP_2)
	v_lshrrev_b64 v[36:37], 20, v[36:37]
	v_cmp_gt_i32_e32 vcc_lo, 16, v3
	v_min_i32_e32 v31, 15, v3
	v_cmp_eq_u32_e64 s10, 0, v3
	s_delay_alu instid0(VALU_DEP_2) | instskip(SKIP_1) | instid1(VALU_DEP_2)
	v_dual_cndmask_b32 v37, 0, v37, vcc_lo :: v_dual_lshlrev_b32 v31, 3, v31
	v_cndmask_b32_e32 v36, 7, v36, vcc_lo
	v_and_b32_e32 v31, 0xf8, v31
	s_delay_alu instid0(VALU_DEP_2) | instskip(NEXT) | instid1(VALU_DEP_2)
	v_cmp_eq_u64_e32 vcc_lo, 0, v[36:37]
	v_and_or_b32 v3, v36, 7, v31
	s_and_b32 s10, s10, vcc_lo
	s_delay_alu instid0(VALU_DEP_1) | instid1(SALU_CYCLE_1)
	v_cndmask_b32_e64 v3, v3, 0, s10
	s_delay_alu instid0(VALU_DEP_1)
	v_or_b32_e32 v105, v3, v2
.LBB6_742:                              ;   in Loop: Header=BB6_128 Depth=2
	s_or_b32 exec_lo, exec_lo, s29
                                        ; implicit-def: $vgpr2
.LBB6_743:                              ;   in Loop: Header=BB6_128 Depth=2
	s_and_not1_saveexec_b32 s10, s28
; %bb.744:                              ;   in Loop: Header=BB6_128 Depth=2
	v_or_b32_e32 v105, 0x7e, v2
; %bb.745:                              ;   in Loop: Header=BB6_128 Depth=2
	s_or_b32 exec_lo, exec_lo, s10
                                        ; implicit-def: $vgpr2
.LBB6_746:                              ;   in Loop: Header=BB6_128 Depth=2
	s_and_not1_saveexec_b32 s10, s27
; %bb.747:                              ;   in Loop: Header=BB6_128 Depth=2
	v_or_b32_e32 v105, 0x7f, v2
; %bb.748:                              ;   in Loop: Header=BB6_128 Depth=2
	s_or_b32 exec_lo, exec_lo, s10
	v_and_b32_e32 v31, 0xff, v33
	v_dual_mov_b32 v96, v33 :: v_dual_mov_b32 v3, 0
	v_mov_b32_e32 v2, 0
	s_mov_b32 s10, exec_lo
	s_delay_alu instid0(VALU_DEP_3)
	v_cmpx_ne_u16_e32 0, v31
	s_cbranch_execz .LBB6_754
; %bb.749:                              ;   in Loop: Header=BB6_128 Depth=2
	v_bfrev_b32_e32 v2, 1
	s_mov_b32 s27, exec_lo
	v_cmpx_ne_u16_e32 0x80, v31
	s_cbranch_execz .LBB6_753
; %bb.750:                              ;   in Loop: Header=BB6_128 Depth=2
	v_and_b32_e32 v31, 0x7f, v33
	v_mov_b32_e32 v2, 0x7f800001
	s_mov_b32 s28, exec_lo
	s_delay_alu instid0(VALU_DEP_2)
	v_cmpx_ne_u32_e32 0x7f, v31
	s_cbranch_execz .LBB6_752
; %bb.751:                              ;   in Loop: Header=BB6_128 Depth=2
	v_dual_lshrrev_b32 v36, 3, v31 :: v_dual_bitop2_b32 v2, 7, v33 bitop3:0x40
	v_cmp_gt_u32_e32 vcc_lo, 8, v31
	s_delay_alu instid0(VALU_DEP_2) | instskip(NEXT) | instid1(VALU_DEP_1)
	v_clz_i32_u32_e32 v2, v2
	v_min_u32_e32 v2, 32, v2
	s_delay_alu instid0(VALU_DEP_1) | instskip(NEXT) | instid1(VALU_DEP_1)
	v_subrev_nc_u32_e32 v37, 28, v2
	v_dual_cndmask_b32 v31, 0, v37 :: v_dual_sub_nc_u32 v2, 29, v2
	s_delay_alu instid0(VALU_DEP_1) | instskip(NEXT) | instid1(VALU_DEP_2)
	v_cndmask_b32_e32 v2, v36, v2, vcc_lo
	v_lshlrev_b64_e32 v[36:37], v31, v[96:97]
	v_lshlrev_b32_e32 v31, 24, v96
	s_delay_alu instid0(VALU_DEP_3) | instskip(NEXT) | instid1(VALU_DEP_2)
	v_lshl_add_u32 v2, v2, 23, 0x3c000000
	v_and_b32_e32 v31, 0x80000000, v31
	s_delay_alu instid0(VALU_DEP_4) | instskip(NEXT) | instid1(VALU_DEP_1)
	v_lshlrev_b32_e32 v36, 20, v36
	v_and_b32_e32 v36, 0x700000, v36
	s_delay_alu instid0(VALU_DEP_1)
	v_or3_b32 v2, v36, v31, v2
.LBB6_752:                              ;   in Loop: Header=BB6_128 Depth=2
	s_or_b32 exec_lo, exec_lo, s28
.LBB6_753:                              ;   in Loop: Header=BB6_128 Depth=2
	s_delay_alu instid0(SALU_CYCLE_1)
	s_or_b32 exec_lo, exec_lo, s27
.LBB6_754:                              ;   in Loop: Header=BB6_128 Depth=2
	s_delay_alu instid0(SALU_CYCLE_1) | instskip(SKIP_2) | instid1(VALU_DEP_1)
	s_or_b32 exec_lo, exec_lo, s10
	v_and_b32_e32 v31, 0xff, v27
	s_mov_b32 s10, exec_lo
	v_cmpx_ne_u16_e32 0, v31
	s_cbranch_execz .LBB6_760
; %bb.755:                              ;   in Loop: Header=BB6_128 Depth=2
	v_bfrev_b32_e32 v3, 1
	s_mov_b32 s27, exec_lo
	v_cmpx_ne_u16_e32 0x80, v31
	s_cbranch_execz .LBB6_759
; %bb.756:                              ;   in Loop: Header=BB6_128 Depth=2
	v_and_b32_e32 v31, 0x7f, v27
	v_mov_b32_e32 v3, 0x7f800001
	s_mov_b32 s28, exec_lo
	s_delay_alu instid0(VALU_DEP_2)
	v_cmpx_ne_u32_e32 0x7f, v31
	s_cbranch_execz .LBB6_758
; %bb.757:                              ;   in Loop: Header=BB6_128 Depth=2
	v_dual_mov_b32 v36, v27 :: v_dual_bitop2_b32 v3, 7, v27 bitop3:0x40
	v_cmp_gt_u32_e32 vcc_lo, 8, v31
	v_dual_mov_b32 v37, v97 :: v_dual_lshrrev_b32 v38, 3, v31
	s_delay_alu instid0(VALU_DEP_3) | instskip(NEXT) | instid1(VALU_DEP_1)
	v_clz_i32_u32_e32 v3, v3
	v_min_u32_e32 v3, 32, v3
	s_delay_alu instid0(VALU_DEP_1) | instskip(SKIP_1) | instid1(VALU_DEP_1)
	v_sub_nc_u32_e32 v39, 29, v3
	v_subrev_nc_u32_e32 v3, 28, v3
	v_cndmask_b32_e32 v3, 0, v3, vcc_lo
	s_delay_alu instid0(VALU_DEP_3) | instskip(NEXT) | instid1(VALU_DEP_2)
	v_cndmask_b32_e32 v31, v38, v39, vcc_lo
	v_lshlrev_b64_e32 v[38:39], v3, v[36:37]
	v_lshlrev_b32_e32 v3, 24, v36
	s_delay_alu instid0(VALU_DEP_3) | instskip(NEXT) | instid1(VALU_DEP_2)
	v_lshl_add_u32 v31, v31, 23, 0x3c000000
	v_and_b32_e32 v3, 0x80000000, v3
	s_delay_alu instid0(VALU_DEP_4) | instskip(NEXT) | instid1(VALU_DEP_1)
	v_lshlrev_b32_e32 v36, 20, v38
	v_and_b32_e32 v36, 0x700000, v36
	s_delay_alu instid0(VALU_DEP_1)
	v_or3_b32 v3, v36, v3, v31
.LBB6_758:                              ;   in Loop: Header=BB6_128 Depth=2
	s_or_b32 exec_lo, exec_lo, s28
.LBB6_759:                              ;   in Loop: Header=BB6_128 Depth=2
	s_delay_alu instid0(SALU_CYCLE_1)
	s_or_b32 exec_lo, exec_lo, s27
.LBB6_760:                              ;   in Loop: Header=BB6_128 Depth=2
	s_delay_alu instid0(SALU_CYCLE_1) | instskip(NEXT) | instid1(VALU_DEP_1)
	s_or_b32 exec_lo, exec_lo, s10
	v_dual_mul_f32 v3, v2, v3 :: v_dual_mov_b32 v37, v97
                                        ; implicit-def: $vgpr106
	s_mov_b32 s10, exec_lo
	s_delay_alu instid0(VALU_DEP_1) | instskip(SKIP_1) | instid1(VALU_DEP_2)
	v_and_b32_e32 v36, 0x7f800000, v3
	v_lshrrev_b32_e32 v2, 24, v3
	v_cmpx_ne_u64_e32 0x7f800000, v[36:37]
	s_xor_b32 s27, exec_lo, s10
	s_cbranch_execz .LBB6_774
; %bb.761:                              ;   in Loop: Header=BB6_128 Depth=2
	v_and_b32_e32 v36, 0x7fffffff, v3
	v_mov_b32_e32 v37, v97
	v_and_b32_e32 v2, 0x80, v2
                                        ; implicit-def: $vgpr106
	s_mov_b32 s10, exec_lo
	s_delay_alu instid0(VALU_DEP_2)
	v_cmpx_gt_u64_e32 0x43e00001, v[36:37]
	s_xor_b32 s28, exec_lo, s10
	s_cbranch_execz .LBB6_771
; %bb.762:                              ;   in Loop: Header=BB6_128 Depth=2
	v_mov_b32_e32 v106, 0
	s_mov_b32 s29, exec_lo
	v_cmpx_ne_u32_e32 0, v3
	s_cbranch_execz .LBB6_770
; %bb.763:                              ;   in Loop: Header=BB6_128 Depth=2
	v_bfe_u32 v31, v3, 23, 8
	v_and_b32_e32 v3, 0x7fffff, v3
	s_mov_b32 s40, exec_lo
	s_delay_alu instid0(VALU_DEP_2) | instskip(SKIP_1) | instid1(VALU_DEP_3)
	v_dual_mov_b32 v39, v97 :: v_dual_sub_nc_u32 v36, 0x79, v31
	v_cmp_gt_u32_e32 vcc_lo, 0x7a, v31
	v_or_b32_e32 v38, 0x800000, v3
	s_delay_alu instid0(VALU_DEP_3) | instskip(SKIP_1) | instid1(VALU_DEP_2)
	v_cndmask_b32_e32 v36, 0, v36, vcc_lo
	v_cmp_eq_u32_e32 vcc_lo, 0, v31
	v_cndmask_b32_e64 v54, v36, 0x78, vcc_lo
	s_delay_alu instid0(VALU_DEP_1) | instskip(SKIP_1) | instid1(VALU_DEP_2)
	v_dual_cndmask_b32 v38, v38, v3, vcc_lo :: v_dual_add_nc_u32 v36, 20, v54
	v_add_nc_u32_e32 v55, 19, v54
	v_lshlrev_b64_e64 v[36:37], v36, -1
	s_delay_alu instid0(VALU_DEP_2) | instskip(NEXT) | instid1(VALU_DEP_2)
	v_lshlrev_b64_e64 v[112:113], v55, 1
	v_bfi_b32 v73, v37, 0, 0
	s_delay_alu instid0(VALU_DEP_3) | instskip(SKIP_1) | instid1(VALU_DEP_1)
	v_bfi_b32 v72, v36, 0, v38
	v_lshrrev_b64 v[36:37], v54, v[38:39]
	v_mov_b64_e32 v[38:39], v[36:37]
	s_delay_alu instid0(VALU_DEP_3)
	v_cmpx_eq_u64_e64 v[72:73], v[112:113]
; %bb.764:                              ;   in Loop: Header=BB6_128 Depth=2
	v_bfe_u32 v38, v36, 20, 1
	v_mov_b32_e32 v39, v97
	s_delay_alu instid0(VALU_DEP_1) | instskip(NEXT) | instid1(VALU_DEP_1)
	v_add_nc_u64_e32 v[38:39], v[36:37], v[38:39]
	v_add_nc_u64_e32 v[38:39], -1, v[38:39]
; %bb.765:                              ;   in Loop: Header=BB6_128 Depth=2
	s_or_b32 exec_lo, exec_lo, s40
	v_add_nc_u32_e32 v3, 0xffffff81, v31
	v_lshrrev_b32_e32 v31, 23, v36
	s_mov_b32 s10, exec_lo
	v_mov_b32_e32 v37, v97
	s_delay_alu instid0(VALU_DEP_3) | instskip(NEXT) | instid1(VALU_DEP_1)
	v_cndmask_b32_e64 v3, v3, 0xffffff82, vcc_lo
	v_add3_u32 v31, v54, v3, v31
	v_and_b32_e32 v3, 0xfffff, v38
	s_delay_alu instid0(VALU_DEP_1) | instskip(NEXT) | instid1(VALU_DEP_1)
	v_dual_add_nc_u32 v38, 6, v31 :: v_dual_add_nc_u32 v36, v3, v36
                                        ; implicit-def: $vgpr3
	v_cmpx_ne_u32_e32 0, v38
	s_xor_b32 s10, exec_lo, s10
; %bb.766:                              ;   in Loop: Header=BB6_128 Depth=2
	s_delay_alu instid0(VALU_DEP_2) | instskip(SKIP_2) | instid1(VALU_DEP_2)
	v_cmp_lt_u64_e32 vcc_lo, 0xffffff, v[36:37]
	v_add_nc_u32_e32 v3, 7, v31
	v_cndmask_b32_e64 v31, 0, 1, vcc_lo
	v_cndmask_b32_e32 v3, v38, v3, vcc_lo
	s_delay_alu instid0(VALU_DEP_2)
	v_lshrrev_b64 v[36:37], v31, v[36:37]
; %bb.767:                              ;   in Loop: Header=BB6_128 Depth=2
	s_and_not1_saveexec_b32 s10, s10
; %bb.768:                              ;   in Loop: Header=BB6_128 Depth=2
	s_delay_alu instid0(VALU_DEP_1)
	v_bfe_u32 v3, v36, 23, 1
; %bb.769:                              ;   in Loop: Header=BB6_128 Depth=2
	s_or_b32 exec_lo, exec_lo, s10
	s_delay_alu instid0(VALU_DEP_2) | instskip(NEXT) | instid1(VALU_DEP_2)
	v_lshrrev_b64 v[36:37], 20, v[36:37]
	v_cmp_gt_i32_e32 vcc_lo, 16, v3
	v_min_i32_e32 v31, 15, v3
	v_cmp_eq_u32_e64 s10, 0, v3
	s_delay_alu instid0(VALU_DEP_2) | instskip(SKIP_1) | instid1(VALU_DEP_2)
	v_dual_cndmask_b32 v37, 0, v37, vcc_lo :: v_dual_lshlrev_b32 v31, 3, v31
	v_cndmask_b32_e32 v36, 7, v36, vcc_lo
	v_and_b32_e32 v31, 0xf8, v31
	s_delay_alu instid0(VALU_DEP_2) | instskip(NEXT) | instid1(VALU_DEP_2)
	v_cmp_eq_u64_e32 vcc_lo, 0, v[36:37]
	v_and_or_b32 v3, v36, 7, v31
	s_and_b32 s10, s10, vcc_lo
	s_delay_alu instid0(VALU_DEP_1) | instid1(SALU_CYCLE_1)
	v_cndmask_b32_e64 v3, v3, 0, s10
	s_delay_alu instid0(VALU_DEP_1)
	v_or_b32_e32 v106, v3, v2
.LBB6_770:                              ;   in Loop: Header=BB6_128 Depth=2
	s_or_b32 exec_lo, exec_lo, s29
                                        ; implicit-def: $vgpr2
.LBB6_771:                              ;   in Loop: Header=BB6_128 Depth=2
	s_and_not1_saveexec_b32 s10, s28
; %bb.772:                              ;   in Loop: Header=BB6_128 Depth=2
	v_or_b32_e32 v106, 0x7e, v2
; %bb.773:                              ;   in Loop: Header=BB6_128 Depth=2
	s_or_b32 exec_lo, exec_lo, s10
                                        ; implicit-def: $vgpr2
.LBB6_774:                              ;   in Loop: Header=BB6_128 Depth=2
	s_and_not1_saveexec_b32 s10, s27
; %bb.775:                              ;   in Loop: Header=BB6_128 Depth=2
	v_or_b32_e32 v106, 0x7f, v2
; %bb.776:                              ;   in Loop: Header=BB6_128 Depth=2
	s_or_b32 exec_lo, exec_lo, s10
	v_lshrrev_b16 v31, 8, v96
	v_dual_mov_b32 v2, 0 :: v_dual_mov_b32 v3, 0
	s_mov_b32 s10, exec_lo
	s_delay_alu instid0(VALU_DEP_2)
	v_cmpx_ne_u16_e32 0, v31
	s_cbranch_execz .LBB6_784
; %bb.777:                              ;   in Loop: Header=BB6_128 Depth=2
	v_bfrev_b32_e32 v3, 1
	s_mov_b32 s27, exec_lo
	v_cmpx_ne_u16_e32 0x80, v31
	s_cbranch_execz .LBB6_783
; %bb.778:                              ;   in Loop: Header=BB6_128 Depth=2
	v_and_b32_e32 v36, 0xffff, v31
	v_mov_b32_e32 v3, 0x7f800001
	s_mov_b32 s28, exec_lo
	s_delay_alu instid0(VALU_DEP_2) | instskip(NEXT) | instid1(VALU_DEP_1)
	v_and_b32_e32 v31, 0x7f, v36
	v_cmpx_ne_u32_e32 0x7f, v31
	s_cbranch_execz .LBB6_782
; %bb.779:                              ;   in Loop: Header=BB6_128 Depth=2
	v_dual_mov_b32 v37, v97 :: v_dual_bitop2_b32 v36, 7, v36 bitop3:0x40
	v_lshrrev_b32_e32 v3, 3, v31
	s_mov_b32 s29, exec_lo
	v_cmpx_gt_u32_e32 8, v31
; %bb.780:                              ;   in Loop: Header=BB6_128 Depth=2
	s_delay_alu instid0(VALU_DEP_3) | instskip(NEXT) | instid1(VALU_DEP_1)
	v_clz_i32_u32_e32 v3, v36
	v_min_u32_e32 v3, 32, v3
	s_delay_alu instid0(VALU_DEP_1) | instskip(NEXT) | instid1(VALU_DEP_1)
	v_subrev_nc_u32_e32 v31, 28, v3
	v_lshlrev_b64_e32 v[36:37], v31, v[36:37]
	s_delay_alu instid0(VALU_DEP_1)
	v_dual_sub_nc_u32 v3, 29, v3 :: v_dual_bitop2_b32 v36, 7, v36 bitop3:0x40
; %bb.781:                              ;   in Loop: Header=BB6_128 Depth=2
	s_or_b32 exec_lo, exec_lo, s29
	v_lshlrev_b32_e32 v31, 16, v96
	s_delay_alu instid0(VALU_DEP_2) | instskip(NEXT) | instid1(VALU_DEP_3)
	v_lshlrev_b32_e32 v36, 20, v36
	v_lshl_add_u32 v3, v3, 23, 0x3c000000
	s_delay_alu instid0(VALU_DEP_3) | instskip(NEXT) | instid1(VALU_DEP_1)
	v_and_b32_e32 v31, 0x80000000, v31
	v_or3_b32 v3, v36, v31, v3
.LBB6_782:                              ;   in Loop: Header=BB6_128 Depth=2
	s_or_b32 exec_lo, exec_lo, s28
.LBB6_783:                              ;   in Loop: Header=BB6_128 Depth=2
	s_delay_alu instid0(SALU_CYCLE_1)
	s_or_b32 exec_lo, exec_lo, s27
.LBB6_784:                              ;   in Loop: Header=BB6_128 Depth=2
	s_delay_alu instid0(SALU_CYCLE_1) | instskip(SKIP_2) | instid1(VALU_DEP_1)
	s_or_b32 exec_lo, exec_lo, s10
	v_lshrrev_b16 v31, 8, v27
	s_mov_b32 s10, exec_lo
	v_cmpx_ne_u16_e32 0, v31
	s_cbranch_execz .LBB6_792
; %bb.785:                              ;   in Loop: Header=BB6_128 Depth=2
	v_bfrev_b32_e32 v2, 1
	s_mov_b32 s27, exec_lo
	v_cmpx_ne_u16_e32 0x80, v31
	s_cbranch_execz .LBB6_791
; %bb.786:                              ;   in Loop: Header=BB6_128 Depth=2
	v_and_b32_e32 v36, 0xffff, v31
	v_mov_b32_e32 v2, 0x7f800001
	s_mov_b32 s28, exec_lo
	s_delay_alu instid0(VALU_DEP_2) | instskip(NEXT) | instid1(VALU_DEP_1)
	v_and_b32_e32 v31, 0x7f, v36
	v_cmpx_ne_u32_e32 0x7f, v31
	s_cbranch_execz .LBB6_790
; %bb.787:                              ;   in Loop: Header=BB6_128 Depth=2
	v_dual_lshrrev_b32 v2, 3, v31 :: v_dual_bitop2_b32 v96, 7, v36 bitop3:0x40
	s_mov_b32 s29, exec_lo
	v_cmpx_gt_u32_e32 8, v31
; %bb.788:                              ;   in Loop: Header=BB6_128 Depth=2
	s_delay_alu instid0(VALU_DEP_2) | instskip(NEXT) | instid1(VALU_DEP_1)
	v_clz_i32_u32_e32 v2, v96
	v_min_u32_e32 v2, 32, v2
	s_delay_alu instid0(VALU_DEP_1) | instskip(NEXT) | instid1(VALU_DEP_1)
	v_subrev_nc_u32_e32 v31, 28, v2
	v_lshlrev_b64_e32 v[36:37], v31, v[96:97]
	s_delay_alu instid0(VALU_DEP_1)
	v_dual_sub_nc_u32 v2, 29, v2 :: v_dual_bitop2_b32 v96, 7, v36 bitop3:0x40
; %bb.789:                              ;   in Loop: Header=BB6_128 Depth=2
	s_or_b32 exec_lo, exec_lo, s29
	s_delay_alu instid0(VALU_DEP_1) | instskip(NEXT) | instid1(VALU_DEP_2)
	v_dual_lshlrev_b32 v31, 16, v27 :: v_dual_lshlrev_b32 v36, 20, v96
	v_lshl_add_u32 v2, v2, 23, 0x3c000000
	s_delay_alu instid0(VALU_DEP_2) | instskip(NEXT) | instid1(VALU_DEP_1)
	v_and_b32_e32 v31, 0x80000000, v31
	v_or3_b32 v2, v36, v31, v2
.LBB6_790:                              ;   in Loop: Header=BB6_128 Depth=2
	s_or_b32 exec_lo, exec_lo, s28
.LBB6_791:                              ;   in Loop: Header=BB6_128 Depth=2
	s_delay_alu instid0(SALU_CYCLE_1)
	s_or_b32 exec_lo, exec_lo, s27
.LBB6_792:                              ;   in Loop: Header=BB6_128 Depth=2
	s_delay_alu instid0(SALU_CYCLE_1) | instskip(NEXT) | instid1(VALU_DEP_1)
	s_or_b32 exec_lo, exec_lo, s10
	v_mul_f32_e32 v3, v3, v2
                                        ; implicit-def: $vgpr107
	s_mov_b32 s10, exec_lo
	s_delay_alu instid0(VALU_DEP_1) | instskip(SKIP_1) | instid1(VALU_DEP_2)
	v_and_b32_e32 v96, 0x7f800000, v3
	v_lshrrev_b32_e32 v2, 24, v3
	v_cmpx_ne_u64_e32 0x7f800000, v[96:97]
	s_xor_b32 s27, exec_lo, s10
	s_cbranch_execz .LBB6_806
; %bb.793:                              ;   in Loop: Header=BB6_128 Depth=2
	v_and_b32_e32 v96, 0x7fffffff, v3
	v_and_b32_e32 v2, 0x80, v2
                                        ; implicit-def: $vgpr107
	s_mov_b32 s10, exec_lo
	s_delay_alu instid0(VALU_DEP_2)
	v_cmpx_gt_u64_e32 0x43e00001, v[96:97]
	s_xor_b32 s28, exec_lo, s10
	s_cbranch_execz .LBB6_803
; %bb.794:                              ;   in Loop: Header=BB6_128 Depth=2
	v_mov_b32_e32 v107, 0
	s_mov_b32 s29, exec_lo
	v_cmpx_ne_u32_e32 0, v3
	s_cbranch_execz .LBB6_802
; %bb.795:                              ;   in Loop: Header=BB6_128 Depth=2
	v_bfe_u32 v31, v3, 23, 8
	v_and_b32_e32 v3, 0x7fffff, v3
	s_delay_alu instid0(VALU_DEP_2) | instskip(SKIP_1) | instid1(VALU_DEP_3)
	v_sub_nc_u32_e32 v36, 0x79, v31
	v_cmp_gt_u32_e32 vcc_lo, 0x7a, v31
	v_or_b32_e32 v38, 0x800000, v3
	s_delay_alu instid0(VALU_DEP_3) | instskip(SKIP_1) | instid1(VALU_DEP_2)
	v_cndmask_b32_e32 v36, 0, v36, vcc_lo
	v_cmp_eq_u32_e32 vcc_lo, 0, v31
	v_cndmask_b32_e64 v54, v36, 0x78, vcc_lo
	s_delay_alu instid0(VALU_DEP_1) | instskip(SKIP_1) | instid1(VALU_DEP_2)
	v_dual_cndmask_b32 v96, v38, v3, vcc_lo :: v_dual_add_nc_u32 v36, 20, v54
	v_add_nc_u32_e32 v39, 19, v54
	v_lshlrev_b64_e64 v[36:37], v36, -1
	s_delay_alu instid0(VALU_DEP_2) | instskip(NEXT) | instid1(VALU_DEP_2)
	v_lshlrev_b64_e64 v[38:39], v39, 1
	v_bfi_b32 v113, v37, 0, 0
	s_delay_alu instid0(VALU_DEP_3) | instskip(SKIP_1) | instid1(VALU_DEP_2)
	v_bfi_b32 v112, v36, 0, v96
	v_lshrrev_b64 v[36:37], v54, v[96:97]
	v_cmp_eq_u64_e64 s10, v[112:113], v[38:39]
	s_delay_alu instid0(VALU_DEP_2)
	v_mov_b64_e32 v[38:39], v[36:37]
	s_and_saveexec_b32 s40, s10
; %bb.796:                              ;   in Loop: Header=BB6_128 Depth=2
	v_bfe_u32 v96, v36, 20, 1
	s_delay_alu instid0(VALU_DEP_1) | instskip(NEXT) | instid1(VALU_DEP_1)
	v_add_nc_u64_e32 v[38:39], v[36:37], v[96:97]
	v_add_nc_u64_e32 v[38:39], -1, v[38:39]
; %bb.797:                              ;   in Loop: Header=BB6_128 Depth=2
	s_or_b32 exec_lo, exec_lo, s40
	v_add_nc_u32_e32 v3, 0xffffff81, v31
	v_lshrrev_b32_e32 v31, 23, v36
	s_mov_b32 s10, exec_lo
	s_delay_alu instid0(VALU_DEP_2) | instskip(NEXT) | instid1(VALU_DEP_1)
	v_cndmask_b32_e64 v3, v3, 0xffffff82, vcc_lo
	v_add3_u32 v31, v54, v3, v31
	v_and_b32_e32 v3, 0xfffff, v38
	s_delay_alu instid0(VALU_DEP_1) | instskip(NEXT) | instid1(VALU_DEP_1)
	v_dual_add_nc_u32 v38, 6, v31 :: v_dual_add_nc_u32 v96, v3, v36
                                        ; implicit-def: $vgpr36_vgpr37
                                        ; implicit-def: $vgpr3
	v_cmpx_ne_u32_e32 0, v38
	s_xor_b32 s10, exec_lo, s10
; %bb.798:                              ;   in Loop: Header=BB6_128 Depth=2
	s_delay_alu instid0(VALU_DEP_2) | instskip(SKIP_2) | instid1(VALU_DEP_2)
	v_cmp_lt_u64_e32 vcc_lo, 0xffffff, v[96:97]
	v_add_nc_u32_e32 v3, 7, v31
	v_cndmask_b32_e64 v31, 0, 1, vcc_lo
	v_cndmask_b32_e32 v3, v38, v3, vcc_lo
	s_delay_alu instid0(VALU_DEP_2)
	v_lshrrev_b64 v[36:37], v31, v[96:97]
; %bb.799:                              ;   in Loop: Header=BB6_128 Depth=2
	s_and_not1_saveexec_b32 s10, s10
; %bb.800:                              ;   in Loop: Header=BB6_128 Depth=2
	v_mov_b64_e32 v[36:37], v[96:97]
	v_bfe_u32 v3, v96, 23, 1
; %bb.801:                              ;   in Loop: Header=BB6_128 Depth=2
	s_or_b32 exec_lo, exec_lo, s10
	s_delay_alu instid0(VALU_DEP_2) | instskip(NEXT) | instid1(VALU_DEP_2)
	v_lshrrev_b64 v[36:37], 20, v[36:37]
	v_cmp_gt_i32_e32 vcc_lo, 16, v3
	v_min_i32_e32 v31, 15, v3
	v_cmp_eq_u32_e64 s10, 0, v3
	s_delay_alu instid0(VALU_DEP_2) | instskip(SKIP_1) | instid1(VALU_DEP_2)
	v_dual_cndmask_b32 v37, 0, v37, vcc_lo :: v_dual_lshlrev_b32 v31, 3, v31
	v_cndmask_b32_e32 v36, 7, v36, vcc_lo
	v_and_b32_e32 v31, 0xf8, v31
	s_delay_alu instid0(VALU_DEP_2) | instskip(NEXT) | instid1(VALU_DEP_2)
	v_cmp_eq_u64_e32 vcc_lo, 0, v[36:37]
	v_and_or_b32 v3, v36, 7, v31
	s_and_b32 s10, s10, vcc_lo
	s_delay_alu instid0(VALU_DEP_1) | instid1(SALU_CYCLE_1)
	v_cndmask_b32_e64 v3, v3, 0, s10
	s_delay_alu instid0(VALU_DEP_1)
	v_or_b32_e32 v107, v3, v2
.LBB6_802:                              ;   in Loop: Header=BB6_128 Depth=2
	s_or_b32 exec_lo, exec_lo, s29
                                        ; implicit-def: $vgpr2
.LBB6_803:                              ;   in Loop: Header=BB6_128 Depth=2
	s_and_not1_saveexec_b32 s10, s28
; %bb.804:                              ;   in Loop: Header=BB6_128 Depth=2
	v_or_b32_e32 v107, 0x7e, v2
; %bb.805:                              ;   in Loop: Header=BB6_128 Depth=2
	s_or_b32 exec_lo, exec_lo, s10
                                        ; implicit-def: $vgpr2
.LBB6_806:                              ;   in Loop: Header=BB6_128 Depth=2
	s_and_not1_saveexec_b32 s10, s27
; %bb.807:                              ;   in Loop: Header=BB6_128 Depth=2
	v_or_b32_e32 v107, 0x7f, v2
; %bb.808:                              ;   in Loop: Header=BB6_128 Depth=2
	s_or_b32 exec_lo, exec_lo, s10
	v_dual_mov_b32 v2, 0 :: v_dual_lshrrev_b32 v31, 16, v33
	v_mov_b32_e32 v3, 0
	s_mov_b32 s10, exec_lo
	s_delay_alu instid0(VALU_DEP_2) | instskip(NEXT) | instid1(VALU_DEP_1)
	v_and_b32_e32 v36, 0xff, v31
	v_cmpx_ne_u16_e32 0, v36
	s_cbranch_execz .LBB6_816
; %bb.809:                              ;   in Loop: Header=BB6_128 Depth=2
	v_bfrev_b32_e32 v3, 1
	s_mov_b32 s27, exec_lo
	v_cmpx_ne_u16_e32 0x80, v36
	s_cbranch_execz .LBB6_815
; %bb.810:                              ;   in Loop: Header=BB6_128 Depth=2
	v_bfe_u32 v36, v33, 16, 7
	v_mov_b32_e32 v3, 0x7f800001
	s_mov_b32 s28, exec_lo
	s_delay_alu instid0(VALU_DEP_2)
	v_cmpx_ne_u32_e32 0x7f, v36
	s_cbranch_execz .LBB6_814
; %bb.811:                              ;   in Loop: Header=BB6_128 Depth=2
	v_dual_lshrrev_b32 v3, 3, v36 :: v_dual_bitop2_b32 v96, 7, v31 bitop3:0x40
	s_mov_b32 s29, exec_lo
	v_cmpx_gt_u32_e32 8, v36
; %bb.812:                              ;   in Loop: Header=BB6_128 Depth=2
	s_delay_alu instid0(VALU_DEP_2) | instskip(NEXT) | instid1(VALU_DEP_1)
	v_clz_i32_u32_e32 v3, v96
	v_min_u32_e32 v3, 32, v3
	s_delay_alu instid0(VALU_DEP_1) | instskip(NEXT) | instid1(VALU_DEP_1)
	v_subrev_nc_u32_e32 v36, 28, v3
	v_lshlrev_b64_e32 v[36:37], v36, v[96:97]
	s_delay_alu instid0(VALU_DEP_1)
	v_dual_sub_nc_u32 v3, 29, v3 :: v_dual_bitop2_b32 v96, 7, v36 bitop3:0x40
; %bb.813:                              ;   in Loop: Header=BB6_128 Depth=2
	s_or_b32 exec_lo, exec_lo, s29
	s_delay_alu instid0(VALU_DEP_1) | instskip(NEXT) | instid1(VALU_DEP_2)
	v_dual_lshlrev_b32 v31, 24, v31 :: v_dual_lshlrev_b32 v36, 20, v96
	v_lshl_add_u32 v3, v3, 23, 0x3c000000
	s_delay_alu instid0(VALU_DEP_2) | instskip(NEXT) | instid1(VALU_DEP_1)
	v_and_b32_e32 v31, 0x80000000, v31
	v_or3_b32 v3, v36, v31, v3
.LBB6_814:                              ;   in Loop: Header=BB6_128 Depth=2
	s_or_b32 exec_lo, exec_lo, s28
.LBB6_815:                              ;   in Loop: Header=BB6_128 Depth=2
	s_delay_alu instid0(SALU_CYCLE_1)
	s_or_b32 exec_lo, exec_lo, s27
.LBB6_816:                              ;   in Loop: Header=BB6_128 Depth=2
	s_delay_alu instid0(SALU_CYCLE_1) | instskip(SKIP_2) | instid1(VALU_DEP_1)
	s_or_b32 exec_lo, exec_lo, s10
	v_lshrrev_b32_e32 v31, 16, v27
	s_mov_b32 s10, exec_lo
	v_and_b32_e32 v36, 0xff, v31
	s_delay_alu instid0(VALU_DEP_1)
	v_cmpx_ne_u16_e32 0, v36
	s_cbranch_execz .LBB6_824
; %bb.817:                              ;   in Loop: Header=BB6_128 Depth=2
	v_bfrev_b32_e32 v2, 1
	s_mov_b32 s27, exec_lo
	v_cmpx_ne_u16_e32 0x80, v36
	s_cbranch_execz .LBB6_823
; %bb.818:                              ;   in Loop: Header=BB6_128 Depth=2
	v_bfe_u32 v36, v27, 16, 7
	v_mov_b32_e32 v2, 0x7f800001
	s_mov_b32 s28, exec_lo
	s_delay_alu instid0(VALU_DEP_2)
	v_cmpx_ne_u32_e32 0x7f, v36
	s_cbranch_execz .LBB6_822
; %bb.819:                              ;   in Loop: Header=BB6_128 Depth=2
	v_dual_lshrrev_b32 v2, 3, v36 :: v_dual_bitop2_b32 v96, 7, v31 bitop3:0x40
	s_mov_b32 s29, exec_lo
	v_cmpx_gt_u32_e32 8, v36
; %bb.820:                              ;   in Loop: Header=BB6_128 Depth=2
	s_delay_alu instid0(VALU_DEP_2) | instskip(NEXT) | instid1(VALU_DEP_1)
	v_clz_i32_u32_e32 v2, v96
	v_min_u32_e32 v2, 32, v2
	s_delay_alu instid0(VALU_DEP_1) | instskip(NEXT) | instid1(VALU_DEP_1)
	v_subrev_nc_u32_e32 v31, 28, v2
	v_lshlrev_b64_e32 v[36:37], v31, v[96:97]
	s_delay_alu instid0(VALU_DEP_1)
	v_dual_sub_nc_u32 v2, 29, v2 :: v_dual_bitop2_b32 v96, 7, v36 bitop3:0x40
; %bb.821:                              ;   in Loop: Header=BB6_128 Depth=2
	s_or_b32 exec_lo, exec_lo, s29
	s_delay_alu instid0(VALU_DEP_1) | instskip(NEXT) | instid1(VALU_DEP_2)
	v_dual_lshlrev_b32 v31, 8, v27 :: v_dual_lshlrev_b32 v36, 20, v96
	v_lshl_add_u32 v2, v2, 23, 0x3c000000
	s_delay_alu instid0(VALU_DEP_2) | instskip(NEXT) | instid1(VALU_DEP_1)
	v_and_b32_e32 v31, 0x80000000, v31
	v_or3_b32 v2, v36, v31, v2
.LBB6_822:                              ;   in Loop: Header=BB6_128 Depth=2
	s_or_b32 exec_lo, exec_lo, s28
.LBB6_823:                              ;   in Loop: Header=BB6_128 Depth=2
	s_delay_alu instid0(SALU_CYCLE_1)
	s_or_b32 exec_lo, exec_lo, s27
.LBB6_824:                              ;   in Loop: Header=BB6_128 Depth=2
	s_delay_alu instid0(SALU_CYCLE_1) | instskip(NEXT) | instid1(VALU_DEP_1)
	s_or_b32 exec_lo, exec_lo, s10
	v_mul_f32_e32 v3, v3, v2
                                        ; implicit-def: $vgpr36
	s_mov_b32 s10, exec_lo
	s_delay_alu instid0(VALU_DEP_1) | instskip(SKIP_1) | instid1(VALU_DEP_2)
	v_and_b32_e32 v96, 0x7f800000, v3
	v_lshrrev_b32_e32 v2, 24, v3
	v_cmpx_ne_u64_e32 0x7f800000, v[96:97]
	s_xor_b32 s27, exec_lo, s10
	s_cbranch_execz .LBB6_838
; %bb.825:                              ;   in Loop: Header=BB6_128 Depth=2
	v_and_b32_e32 v96, 0x7fffffff, v3
	v_and_b32_e32 v2, 0x80, v2
                                        ; implicit-def: $vgpr36
	s_mov_b32 s10, exec_lo
	s_delay_alu instid0(VALU_DEP_2)
	v_cmpx_gt_u64_e32 0x43e00001, v[96:97]
	s_xor_b32 s28, exec_lo, s10
	s_cbranch_execz .LBB6_835
; %bb.826:                              ;   in Loop: Header=BB6_128 Depth=2
	v_mov_b32_e32 v36, 0
	s_mov_b32 s29, exec_lo
	v_cmpx_ne_u32_e32 0, v3
	s_cbranch_execz .LBB6_834
; %bb.827:                              ;   in Loop: Header=BB6_128 Depth=2
	v_bfe_u32 v31, v3, 23, 8
	v_and_b32_e32 v3, 0x7fffff, v3
	s_delay_alu instid0(VALU_DEP_2) | instskip(SKIP_1) | instid1(VALU_DEP_3)
	v_sub_nc_u32_e32 v36, 0x79, v31
	v_cmp_gt_u32_e32 vcc_lo, 0x7a, v31
	v_or_b32_e32 v38, 0x800000, v3
	s_delay_alu instid0(VALU_DEP_3) | instskip(SKIP_1) | instid1(VALU_DEP_2)
	v_cndmask_b32_e32 v36, 0, v36, vcc_lo
	v_cmp_eq_u32_e32 vcc_lo, 0, v31
	v_cndmask_b32_e64 v54, v36, 0x78, vcc_lo
	s_delay_alu instid0(VALU_DEP_1) | instskip(SKIP_1) | instid1(VALU_DEP_2)
	v_dual_cndmask_b32 v96, v38, v3, vcc_lo :: v_dual_add_nc_u32 v36, 20, v54
	v_add_nc_u32_e32 v39, 19, v54
	v_lshlrev_b64_e64 v[36:37], v36, -1
	s_delay_alu instid0(VALU_DEP_2) | instskip(NEXT) | instid1(VALU_DEP_2)
	v_lshlrev_b64_e64 v[38:39], v39, 1
	v_bfi_b32 v113, v37, 0, 0
	s_delay_alu instid0(VALU_DEP_3) | instskip(SKIP_1) | instid1(VALU_DEP_2)
	v_bfi_b32 v112, v36, 0, v96
	v_lshrrev_b64 v[36:37], v54, v[96:97]
	v_cmp_eq_u64_e64 s10, v[112:113], v[38:39]
	s_delay_alu instid0(VALU_DEP_2)
	v_mov_b64_e32 v[38:39], v[36:37]
	s_and_saveexec_b32 s40, s10
; %bb.828:                              ;   in Loop: Header=BB6_128 Depth=2
	v_bfe_u32 v96, v36, 20, 1
	s_delay_alu instid0(VALU_DEP_1) | instskip(NEXT) | instid1(VALU_DEP_1)
	v_add_nc_u64_e32 v[38:39], v[36:37], v[96:97]
	v_add_nc_u64_e32 v[38:39], -1, v[38:39]
; %bb.829:                              ;   in Loop: Header=BB6_128 Depth=2
	s_or_b32 exec_lo, exec_lo, s40
	v_add_nc_u32_e32 v3, 0xffffff81, v31
	v_lshrrev_b32_e32 v31, 23, v36
	s_mov_b32 s10, exec_lo
	s_delay_alu instid0(VALU_DEP_2) | instskip(NEXT) | instid1(VALU_DEP_1)
	v_cndmask_b32_e64 v3, v3, 0xffffff82, vcc_lo
	v_add3_u32 v31, v54, v3, v31
	v_and_b32_e32 v3, 0xfffff, v38
	s_delay_alu instid0(VALU_DEP_1) | instskip(NEXT) | instid1(VALU_DEP_1)
	v_dual_add_nc_u32 v38, 6, v31 :: v_dual_add_nc_u32 v96, v3, v36
                                        ; implicit-def: $vgpr36_vgpr37
                                        ; implicit-def: $vgpr3
	v_cmpx_ne_u32_e32 0, v38
	s_xor_b32 s10, exec_lo, s10
; %bb.830:                              ;   in Loop: Header=BB6_128 Depth=2
	s_delay_alu instid0(VALU_DEP_2) | instskip(SKIP_2) | instid1(VALU_DEP_2)
	v_cmp_lt_u64_e32 vcc_lo, 0xffffff, v[96:97]
	v_add_nc_u32_e32 v3, 7, v31
	v_cndmask_b32_e64 v31, 0, 1, vcc_lo
	v_cndmask_b32_e32 v3, v38, v3, vcc_lo
	s_delay_alu instid0(VALU_DEP_2)
	v_lshrrev_b64 v[36:37], v31, v[96:97]
; %bb.831:                              ;   in Loop: Header=BB6_128 Depth=2
	s_and_not1_saveexec_b32 s10, s10
; %bb.832:                              ;   in Loop: Header=BB6_128 Depth=2
	v_mov_b64_e32 v[36:37], v[96:97]
	v_bfe_u32 v3, v96, 23, 1
; %bb.833:                              ;   in Loop: Header=BB6_128 Depth=2
	s_or_b32 exec_lo, exec_lo, s10
	s_delay_alu instid0(VALU_DEP_2) | instskip(NEXT) | instid1(VALU_DEP_2)
	v_lshrrev_b64 v[36:37], 20, v[36:37]
	v_cmp_gt_i32_e32 vcc_lo, 16, v3
	v_min_i32_e32 v31, 15, v3
	v_cmp_eq_u32_e64 s10, 0, v3
	s_delay_alu instid0(VALU_DEP_2) | instskip(SKIP_1) | instid1(VALU_DEP_2)
	v_dual_cndmask_b32 v37, 0, v37, vcc_lo :: v_dual_lshlrev_b32 v31, 3, v31
	v_cndmask_b32_e32 v36, 7, v36, vcc_lo
	v_and_b32_e32 v31, 0xf8, v31
	s_delay_alu instid0(VALU_DEP_2) | instskip(NEXT) | instid1(VALU_DEP_2)
	v_cmp_eq_u64_e32 vcc_lo, 0, v[36:37]
	v_and_or_b32 v3, v36, 7, v31
	s_and_b32 s10, s10, vcc_lo
	s_delay_alu instid0(VALU_DEP_1) | instid1(SALU_CYCLE_1)
	v_cndmask_b32_e64 v3, v3, 0, s10
	s_delay_alu instid0(VALU_DEP_1)
	v_or_b32_e32 v36, v3, v2
.LBB6_834:                              ;   in Loop: Header=BB6_128 Depth=2
	s_or_b32 exec_lo, exec_lo, s29
                                        ; implicit-def: $vgpr2
.LBB6_835:                              ;   in Loop: Header=BB6_128 Depth=2
	s_and_not1_saveexec_b32 s10, s28
; %bb.836:                              ;   in Loop: Header=BB6_128 Depth=2
	v_or_b32_e32 v36, 0x7e, v2
; %bb.837:                              ;   in Loop: Header=BB6_128 Depth=2
	s_or_b32 exec_lo, exec_lo, s10
                                        ; implicit-def: $vgpr2
.LBB6_838:                              ;   in Loop: Header=BB6_128 Depth=2
	s_and_not1_saveexec_b32 s10, s27
; %bb.839:                              ;   in Loop: Header=BB6_128 Depth=2
	v_or_b32_e32 v36, 0x7f, v2
; %bb.840:                              ;   in Loop: Header=BB6_128 Depth=2
	s_or_b32 exec_lo, exec_lo, s10
	v_dual_mov_b32 v2, 0 :: v_dual_mov_b32 v3, 0
	s_mov_b32 s10, exec_lo
	v_cmpx_lt_u64_e64 s[14:15], v[32:33]
	s_cbranch_execz .LBB6_848
; %bb.841:                              ;   in Loop: Header=BB6_128 Depth=2
	v_lshrrev_b32_e32 v31, 24, v33
	v_bfrev_b32_e32 v3, 1
	s_mov_b32 s27, exec_lo
	s_delay_alu instid0(VALU_DEP_2)
	v_cmpx_ne_u32_e32 0x80, v31
	s_cbranch_execz .LBB6_847
; %bb.842:                              ;   in Loop: Header=BB6_128 Depth=2
	v_bfe_u32 v32, v33, 24, 7
	v_mov_b32_e32 v3, 0x7f800001
	s_mov_b32 s28, exec_lo
	s_delay_alu instid0(VALU_DEP_2)
	v_cmpx_ne_u32_e32 0x7f, v32
	s_cbranch_execz .LBB6_846
; %bb.843:                              ;   in Loop: Header=BB6_128 Depth=2
	v_dual_lshrrev_b32 v3, 3, v32 :: v_dual_bitop2_b32 v96, 7, v31 bitop3:0x40
	s_mov_b32 s29, exec_lo
	v_cmpx_gt_u32_e32 8, v32
; %bb.844:                              ;   in Loop: Header=BB6_128 Depth=2
	s_delay_alu instid0(VALU_DEP_2) | instskip(NEXT) | instid1(VALU_DEP_1)
	v_clz_i32_u32_e32 v3, v96
	v_min_u32_e32 v3, 32, v3
	s_delay_alu instid0(VALU_DEP_1) | instskip(NEXT) | instid1(VALU_DEP_1)
	v_subrev_nc_u32_e32 v32, 28, v3
	v_lshlrev_b64_e32 v[32:33], v32, v[96:97]
	s_delay_alu instid0(VALU_DEP_1)
	v_dual_sub_nc_u32 v3, 29, v3 :: v_dual_bitop2_b32 v96, 7, v32 bitop3:0x40
; %bb.845:                              ;   in Loop: Header=BB6_128 Depth=2
	s_or_b32 exec_lo, exec_lo, s29
	s_delay_alu instid0(VALU_DEP_1) | instskip(NEXT) | instid1(VALU_DEP_2)
	v_dual_lshlrev_b32 v31, 24, v31 :: v_dual_lshlrev_b32 v32, 20, v96
	v_lshl_add_u32 v3, v3, 23, 0x3c000000
	s_delay_alu instid0(VALU_DEP_2) | instskip(NEXT) | instid1(VALU_DEP_1)
	v_and_b32_e32 v31, 0x80000000, v31
	v_or3_b32 v3, v32, v31, v3
.LBB6_846:                              ;   in Loop: Header=BB6_128 Depth=2
	s_or_b32 exec_lo, exec_lo, s28
.LBB6_847:                              ;   in Loop: Header=BB6_128 Depth=2
	s_delay_alu instid0(SALU_CYCLE_1)
	s_or_b32 exec_lo, exec_lo, s27
.LBB6_848:                              ;   in Loop: Header=BB6_128 Depth=2
	s_delay_alu instid0(SALU_CYCLE_1) | instskip(NEXT) | instid1(SALU_CYCLE_1)
	s_or_b32 exec_lo, exec_lo, s10
	s_mov_b32 s10, exec_lo
	v_cmpx_lt_u64_e64 s[14:15], v[26:27]
	s_cbranch_execz .LBB6_856
; %bb.849:                              ;   in Loop: Header=BB6_128 Depth=2
	v_lshrrev_b32_e32 v26, 24, v27
	v_bfrev_b32_e32 v2, 1
	s_mov_b32 s27, exec_lo
	s_delay_alu instid0(VALU_DEP_2)
	v_cmpx_ne_u32_e32 0x80, v26
	s_cbranch_execz .LBB6_855
; %bb.850:                              ;   in Loop: Header=BB6_128 Depth=2
	v_bfe_u32 v27, v27, 24, 7
	v_mov_b32_e32 v2, 0x7f800001
	s_mov_b32 s28, exec_lo
	s_delay_alu instid0(VALU_DEP_2)
	v_cmpx_ne_u32_e32 0x7f, v27
	s_cbranch_execz .LBB6_854
; %bb.851:                              ;   in Loop: Header=BB6_128 Depth=2
	v_dual_lshrrev_b32 v2, 3, v27 :: v_dual_bitop2_b32 v96, 7, v26 bitop3:0x40
	s_mov_b32 s29, exec_lo
	v_cmpx_gt_u32_e32 8, v27
; %bb.852:                              ;   in Loop: Header=BB6_128 Depth=2
	s_delay_alu instid0(VALU_DEP_2) | instskip(NEXT) | instid1(VALU_DEP_1)
	v_clz_i32_u32_e32 v2, v96
	v_min_u32_e32 v2, 32, v2
	s_delay_alu instid0(VALU_DEP_1) | instskip(NEXT) | instid1(VALU_DEP_1)
	v_subrev_nc_u32_e32 v27, 28, v2
	v_lshlrev_b64_e32 v[32:33], v27, v[96:97]
	s_delay_alu instid0(VALU_DEP_1)
	v_dual_sub_nc_u32 v2, 29, v2 :: v_dual_bitop2_b32 v96, 7, v32 bitop3:0x40
; %bb.853:                              ;   in Loop: Header=BB6_128 Depth=2
	s_or_b32 exec_lo, exec_lo, s29
	s_delay_alu instid0(VALU_DEP_1) | instskip(NEXT) | instid1(VALU_DEP_2)
	v_dual_lshlrev_b32 v26, 24, v26 :: v_dual_lshlrev_b32 v27, 20, v96
	v_lshl_add_u32 v2, v2, 23, 0x3c000000
	s_delay_alu instid0(VALU_DEP_2) | instskip(NEXT) | instid1(VALU_DEP_1)
	v_and_b32_e32 v26, 0x80000000, v26
	v_or3_b32 v2, v27, v26, v2
.LBB6_854:                              ;   in Loop: Header=BB6_128 Depth=2
	s_or_b32 exec_lo, exec_lo, s28
.LBB6_855:                              ;   in Loop: Header=BB6_128 Depth=2
	s_delay_alu instid0(SALU_CYCLE_1)
	s_or_b32 exec_lo, exec_lo, s27
.LBB6_856:                              ;   in Loop: Header=BB6_128 Depth=2
	s_delay_alu instid0(SALU_CYCLE_1) | instskip(NEXT) | instid1(VALU_DEP_1)
	s_or_b32 exec_lo, exec_lo, s10
	v_mul_f32_e32 v3, v3, v2
                                        ; implicit-def: $vgpr37
	s_mov_b32 s10, exec_lo
	s_delay_alu instid0(VALU_DEP_1) | instskip(SKIP_1) | instid1(VALU_DEP_2)
	v_and_b32_e32 v96, 0x7f800000, v3
	v_lshrrev_b32_e32 v2, 24, v3
	v_cmpx_ne_u64_e32 0x7f800000, v[96:97]
	s_xor_b32 s27, exec_lo, s10
	s_cbranch_execz .LBB6_870
; %bb.857:                              ;   in Loop: Header=BB6_128 Depth=2
	v_and_b32_e32 v96, 0x7fffffff, v3
	v_and_b32_e32 v2, 0x80, v2
                                        ; implicit-def: $vgpr37
	s_mov_b32 s10, exec_lo
	s_delay_alu instid0(VALU_DEP_2)
	v_cmpx_gt_u64_e32 0x43e00001, v[96:97]
	s_xor_b32 s28, exec_lo, s10
	s_cbranch_execz .LBB6_867
; %bb.858:                              ;   in Loop: Header=BB6_128 Depth=2
	v_mov_b32_e32 v37, 0
	s_mov_b32 s29, exec_lo
	v_cmpx_ne_u32_e32 0, v3
	s_cbranch_execz .LBB6_866
; %bb.859:                              ;   in Loop: Header=BB6_128 Depth=2
	v_bfe_u32 v31, v3, 23, 8
	v_and_b32_e32 v3, 0x7fffff, v3
	s_delay_alu instid0(VALU_DEP_2) | instskip(SKIP_1) | instid1(VALU_DEP_3)
	v_sub_nc_u32_e32 v26, 0x79, v31
	v_cmp_gt_u32_e32 vcc_lo, 0x7a, v31
	v_or_b32_e32 v32, 0x800000, v3
	s_delay_alu instid0(VALU_DEP_3) | instskip(SKIP_1) | instid1(VALU_DEP_2)
	v_cndmask_b32_e32 v26, 0, v26, vcc_lo
	v_cmp_eq_u32_e32 vcc_lo, 0, v31
	v_cndmask_b32_e64 v37, v26, 0x78, vcc_lo
	s_delay_alu instid0(VALU_DEP_1) | instskip(SKIP_1) | instid1(VALU_DEP_2)
	v_dual_cndmask_b32 v96, v32, v3, vcc_lo :: v_dual_add_nc_u32 v26, 20, v37
	v_add_nc_u32_e32 v33, 19, v37
	v_lshlrev_b64_e64 v[26:27], v26, -1
	s_delay_alu instid0(VALU_DEP_2) | instskip(NEXT) | instid1(VALU_DEP_2)
	v_lshlrev_b64_e64 v[32:33], v33, 1
	v_bfi_b32 v39, v27, 0, 0
	s_delay_alu instid0(VALU_DEP_3) | instskip(SKIP_1) | instid1(VALU_DEP_2)
	v_bfi_b32 v38, v26, 0, v96
	v_lshrrev_b64 v[26:27], v37, v[96:97]
	v_cmp_eq_u64_e64 s10, v[38:39], v[32:33]
	s_delay_alu instid0(VALU_DEP_2)
	v_mov_b64_e32 v[32:33], v[26:27]
	s_and_saveexec_b32 s40, s10
; %bb.860:                              ;   in Loop: Header=BB6_128 Depth=2
	v_bfe_u32 v96, v26, 20, 1
	s_delay_alu instid0(VALU_DEP_1) | instskip(NEXT) | instid1(VALU_DEP_1)
	v_add_nc_u64_e32 v[32:33], v[26:27], v[96:97]
	v_add_nc_u64_e32 v[32:33], -1, v[32:33]
; %bb.861:                              ;   in Loop: Header=BB6_128 Depth=2
	s_or_b32 exec_lo, exec_lo, s40
	v_add_nc_u32_e32 v3, 0xffffff81, v31
	v_lshrrev_b32_e32 v27, 23, v26
	s_mov_b32 s10, exec_lo
	s_delay_alu instid0(VALU_DEP_2) | instskip(NEXT) | instid1(VALU_DEP_1)
	v_cndmask_b32_e64 v3, v3, 0xffffff82, vcc_lo
	v_add3_u32 v31, v37, v3, v27
	v_and_b32_e32 v3, 0xfffff, v32
	s_delay_alu instid0(VALU_DEP_1) | instskip(NEXT) | instid1(VALU_DEP_1)
	v_dual_add_nc_u32 v32, 6, v31 :: v_dual_add_nc_u32 v96, v3, v26
                                        ; implicit-def: $vgpr26_vgpr27
                                        ; implicit-def: $vgpr3
	v_cmpx_ne_u32_e32 0, v32
	s_xor_b32 s10, exec_lo, s10
; %bb.862:                              ;   in Loop: Header=BB6_128 Depth=2
	s_delay_alu instid0(VALU_DEP_2) | instskip(SKIP_2) | instid1(VALU_DEP_2)
	v_cmp_lt_u64_e32 vcc_lo, 0xffffff, v[96:97]
	v_add_nc_u32_e32 v3, 7, v31
	v_cndmask_b32_e64 v26, 0, 1, vcc_lo
	v_cndmask_b32_e32 v3, v32, v3, vcc_lo
	s_delay_alu instid0(VALU_DEP_2)
	v_lshrrev_b64 v[26:27], v26, v[96:97]
; %bb.863:                              ;   in Loop: Header=BB6_128 Depth=2
	s_and_not1_saveexec_b32 s10, s10
; %bb.864:                              ;   in Loop: Header=BB6_128 Depth=2
	v_mov_b64_e32 v[26:27], v[96:97]
	v_bfe_u32 v3, v96, 23, 1
; %bb.865:                              ;   in Loop: Header=BB6_128 Depth=2
	s_or_b32 exec_lo, exec_lo, s10
	s_delay_alu instid0(VALU_DEP_2) | instskip(NEXT) | instid1(VALU_DEP_2)
	v_lshrrev_b64 v[26:27], 20, v[26:27]
	v_cmp_gt_i32_e32 vcc_lo, 16, v3
	v_min_i32_e32 v31, 15, v3
	v_cmp_eq_u32_e64 s10, 0, v3
	s_delay_alu instid0(VALU_DEP_2) | instskip(SKIP_1) | instid1(VALU_DEP_2)
	v_dual_cndmask_b32 v26, 7, v26 :: v_dual_lshlrev_b32 v31, 3, v31
	v_cndmask_b32_e32 v27, 0, v27, vcc_lo
	v_and_b32_e32 v31, 0xf8, v31
	s_delay_alu instid0(VALU_DEP_2) | instskip(NEXT) | instid1(VALU_DEP_2)
	v_cmp_eq_u64_e32 vcc_lo, 0, v[26:27]
	v_and_or_b32 v3, v26, 7, v31
	s_and_b32 s10, s10, vcc_lo
	s_delay_alu instid0(VALU_DEP_1) | instid1(SALU_CYCLE_1)
	v_cndmask_b32_e64 v3, v3, 0, s10
	s_delay_alu instid0(VALU_DEP_1)
	v_or_b32_e32 v37, v3, v2
.LBB6_866:                              ;   in Loop: Header=BB6_128 Depth=2
	s_or_b32 exec_lo, exec_lo, s29
                                        ; implicit-def: $vgpr2
.LBB6_867:                              ;   in Loop: Header=BB6_128 Depth=2
	s_and_not1_saveexec_b32 s10, s28
; %bb.868:                              ;   in Loop: Header=BB6_128 Depth=2
	v_or_b32_e32 v37, 0x7e, v2
; %bb.869:                              ;   in Loop: Header=BB6_128 Depth=2
	s_or_b32 exec_lo, exec_lo, s10
                                        ; implicit-def: $vgpr2
.LBB6_870:                              ;   in Loop: Header=BB6_128 Depth=2
	s_and_not1_saveexec_b32 s10, s27
; %bb.871:                              ;   in Loop: Header=BB6_128 Depth=2
	v_or_b32_e32 v37, 0x7f, v2
; %bb.872:                              ;   in Loop: Header=BB6_128 Depth=2
	s_or_b32 exec_lo, exec_lo, s10
	v_and_b32_e32 v26, 0xff, v34
	v_dual_mov_b32 v2, 0 :: v_dual_mov_b32 v3, 0
	s_mov_b32 s10, exec_lo
	s_delay_alu instid0(VALU_DEP_2)
	v_cmpx_ne_u16_e32 0, v26
	s_cbranch_execz .LBB6_878
; %bb.873:                              ;   in Loop: Header=BB6_128 Depth=2
	v_bfrev_b32_e32 v3, 1
	s_mov_b32 s27, exec_lo
	v_cmpx_ne_u16_e32 0x80, v26
	s_cbranch_execz .LBB6_877
; %bb.874:                              ;   in Loop: Header=BB6_128 Depth=2
	v_and_b32_e32 v26, 0x7f, v34
	v_mov_b32_e32 v3, 0x7f800001
	s_mov_b32 s28, exec_lo
	s_delay_alu instid0(VALU_DEP_2)
	v_cmpx_ne_u32_e32 0x7f, v26
	s_cbranch_execz .LBB6_876
; %bb.875:                              ;   in Loop: Header=BB6_128 Depth=2
	v_cmp_gt_u32_e32 vcc_lo, 8, v26
	v_and_b32_e32 v3, 7, v34
	s_delay_alu instid0(VALU_DEP_1) | instskip(NEXT) | instid1(VALU_DEP_1)
	v_clz_i32_u32_e32 v3, v3
	v_min_u32_e32 v3, 32, v3
	v_lshrrev_b32_e32 v27, 3, v26
	s_delay_alu instid0(VALU_DEP_2) | instskip(SKIP_1) | instid1(VALU_DEP_2)
	v_subrev_nc_u32_e32 v31, 28, v3
	v_sub_nc_u32_e32 v3, 29, v3
	v_cndmask_b32_e32 v26, 0, v31, vcc_lo
	s_delay_alu instid0(VALU_DEP_2) | instskip(NEXT) | instid1(VALU_DEP_2)
	v_cndmask_b32_e32 v3, v27, v3, vcc_lo
	v_lshlrev_b64_e32 v[26:27], v26, v[34:35]
	v_lshlrev_b32_e32 v27, 24, v34
	s_delay_alu instid0(VALU_DEP_3) | instskip(NEXT) | instid1(VALU_DEP_2)
	v_lshl_add_u32 v3, v3, 23, 0x3c000000
	v_and_b32_e32 v27, 0x80000000, v27
	s_delay_alu instid0(VALU_DEP_4) | instskip(NEXT) | instid1(VALU_DEP_1)
	v_lshlrev_b32_e32 v26, 20, v26
	v_and_b32_e32 v26, 0x700000, v26
	s_delay_alu instid0(VALU_DEP_1)
	v_or3_b32 v3, v26, v27, v3
.LBB6_876:                              ;   in Loop: Header=BB6_128 Depth=2
	s_or_b32 exec_lo, exec_lo, s28
.LBB6_877:                              ;   in Loop: Header=BB6_128 Depth=2
	s_delay_alu instid0(SALU_CYCLE_1)
	s_or_b32 exec_lo, exec_lo, s27
.LBB6_878:                              ;   in Loop: Header=BB6_128 Depth=2
	s_delay_alu instid0(SALU_CYCLE_1) | instskip(SKIP_2) | instid1(VALU_DEP_1)
	s_or_b32 exec_lo, exec_lo, s10
	v_and_b32_e32 v26, 0xff, v28
	s_mov_b32 s10, exec_lo
	v_cmpx_ne_u16_e32 0, v26
	s_cbranch_execz .LBB6_884
; %bb.879:                              ;   in Loop: Header=BB6_128 Depth=2
	v_bfrev_b32_e32 v2, 1
	s_mov_b32 s27, exec_lo
	v_cmpx_ne_u16_e32 0x80, v26
	s_cbranch_execz .LBB6_883
; %bb.880:                              ;   in Loop: Header=BB6_128 Depth=2
	v_and_b32_e32 v26, 0x7f, v28
	v_mov_b32_e32 v2, 0x7f800001
	s_mov_b32 s28, exec_lo
	s_delay_alu instid0(VALU_DEP_2)
	v_cmpx_ne_u32_e32 0x7f, v26
	s_cbranch_execz .LBB6_882
; %bb.881:                              ;   in Loop: Header=BB6_128 Depth=2
	v_dual_lshrrev_b32 v27, 3, v26 :: v_dual_bitop2_b32 v2, 7, v28 bitop3:0x40
	v_cmp_gt_u32_e32 vcc_lo, 8, v26
	s_delay_alu instid0(VALU_DEP_2) | instskip(NEXT) | instid1(VALU_DEP_1)
	v_clz_i32_u32_e32 v2, v2
	v_min_u32_e32 v2, 32, v2
	s_delay_alu instid0(VALU_DEP_1) | instskip(NEXT) | instid1(VALU_DEP_1)
	v_subrev_nc_u32_e32 v31, 28, v2
	v_dual_sub_nc_u32 v2, 29, v2 :: v_dual_cndmask_b32 v26, 0, v31, vcc_lo
	s_delay_alu instid0(VALU_DEP_1) | instskip(NEXT) | instid1(VALU_DEP_2)
	v_cndmask_b32_e32 v2, v27, v2, vcc_lo
	v_lshlrev_b64_e32 v[26:27], v26, v[28:29]
	v_lshlrev_b32_e32 v27, 24, v28
	s_delay_alu instid0(VALU_DEP_3) | instskip(NEXT) | instid1(VALU_DEP_2)
	v_lshl_add_u32 v2, v2, 23, 0x3c000000
	v_and_b32_e32 v27, 0x80000000, v27
	s_delay_alu instid0(VALU_DEP_4) | instskip(NEXT) | instid1(VALU_DEP_1)
	v_lshlrev_b32_e32 v26, 20, v26
	v_and_b32_e32 v26, 0x700000, v26
	s_delay_alu instid0(VALU_DEP_1)
	v_or3_b32 v2, v26, v27, v2
.LBB6_882:                              ;   in Loop: Header=BB6_128 Depth=2
	s_or_b32 exec_lo, exec_lo, s28
.LBB6_883:                              ;   in Loop: Header=BB6_128 Depth=2
	s_delay_alu instid0(SALU_CYCLE_1)
	s_or_b32 exec_lo, exec_lo, s27
.LBB6_884:                              ;   in Loop: Header=BB6_128 Depth=2
	s_delay_alu instid0(SALU_CYCLE_1) | instskip(NEXT) | instid1(VALU_DEP_1)
	s_or_b32 exec_lo, exec_lo, s10
	v_mul_f32_e32 v3, v3, v2
                                        ; implicit-def: $vgpr38
	s_mov_b32 s10, exec_lo
	s_delay_alu instid0(VALU_DEP_1) | instskip(SKIP_1) | instid1(VALU_DEP_2)
	v_and_b32_e32 v96, 0x7f800000, v3
	v_lshrrev_b32_e32 v2, 24, v3
	v_cmpx_ne_u64_e32 0x7f800000, v[96:97]
	s_xor_b32 s27, exec_lo, s10
	s_cbranch_execz .LBB6_898
; %bb.885:                              ;   in Loop: Header=BB6_128 Depth=2
	v_and_b32_e32 v96, 0x7fffffff, v3
	v_and_b32_e32 v2, 0x80, v2
                                        ; implicit-def: $vgpr38
	s_mov_b32 s10, exec_lo
	s_delay_alu instid0(VALU_DEP_2)
	v_cmpx_gt_u64_e32 0x43e00001, v[96:97]
	s_xor_b32 s28, exec_lo, s10
	s_cbranch_execz .LBB6_895
; %bb.886:                              ;   in Loop: Header=BB6_128 Depth=2
	v_mov_b32_e32 v38, 0
	s_mov_b32 s29, exec_lo
	v_cmpx_ne_u32_e32 0, v3
	s_cbranch_execz .LBB6_894
; %bb.887:                              ;   in Loop: Header=BB6_128 Depth=2
	v_bfe_u32 v31, v3, 23, 8
	v_and_b32_e32 v3, 0x7fffff, v3
	s_delay_alu instid0(VALU_DEP_2) | instskip(SKIP_1) | instid1(VALU_DEP_3)
	v_sub_nc_u32_e32 v26, 0x79, v31
	v_cmp_gt_u32_e32 vcc_lo, 0x7a, v31
	v_or_b32_e32 v32, 0x800000, v3
	s_delay_alu instid0(VALU_DEP_3) | instskip(SKIP_1) | instid1(VALU_DEP_3)
	v_cndmask_b32_e32 v26, 0, v26, vcc_lo
	v_cmp_eq_u32_e32 vcc_lo, 0, v31
	v_cndmask_b32_e32 v96, v32, v3, vcc_lo
	s_delay_alu instid0(VALU_DEP_3) | instskip(NEXT) | instid1(VALU_DEP_1)
	v_cndmask_b32_e64 v38, v26, 0x78, vcc_lo
	v_dual_add_nc_u32 v26, 20, v38 :: v_dual_add_nc_u32 v33, 19, v38
	s_delay_alu instid0(VALU_DEP_1) | instskip(NEXT) | instid1(VALU_DEP_2)
	v_lshlrev_b64_e64 v[26:27], v26, -1
	v_lshlrev_b64_e64 v[32:33], v33, 1
	s_delay_alu instid0(VALU_DEP_2) | instskip(NEXT) | instid1(VALU_DEP_3)
	v_bfi_b32 v55, v27, 0, 0
	v_bfi_b32 v54, v26, 0, v96
	v_lshrrev_b64 v[26:27], v38, v[96:97]
	s_delay_alu instid0(VALU_DEP_2) | instskip(NEXT) | instid1(VALU_DEP_2)
	v_cmp_eq_u64_e64 s10, v[54:55], v[32:33]
	v_mov_b64_e32 v[32:33], v[26:27]
	s_and_saveexec_b32 s40, s10
; %bb.888:                              ;   in Loop: Header=BB6_128 Depth=2
	v_bfe_u32 v96, v26, 20, 1
	s_delay_alu instid0(VALU_DEP_1) | instskip(NEXT) | instid1(VALU_DEP_1)
	v_add_nc_u64_e32 v[32:33], v[26:27], v[96:97]
	v_add_nc_u64_e32 v[32:33], -1, v[32:33]
; %bb.889:                              ;   in Loop: Header=BB6_128 Depth=2
	s_or_b32 exec_lo, exec_lo, s40
	v_add_nc_u32_e32 v3, 0xffffff81, v31
	v_lshrrev_b32_e32 v27, 23, v26
	s_mov_b32 s10, exec_lo
	s_delay_alu instid0(VALU_DEP_2) | instskip(NEXT) | instid1(VALU_DEP_1)
	v_cndmask_b32_e64 v3, v3, 0xffffff82, vcc_lo
	v_add3_u32 v31, v38, v3, v27
	v_and_b32_e32 v3, 0xfffff, v32
	s_delay_alu instid0(VALU_DEP_1) | instskip(NEXT) | instid1(VALU_DEP_1)
	v_dual_add_nc_u32 v32, 6, v31 :: v_dual_add_nc_u32 v96, v3, v26
                                        ; implicit-def: $vgpr26_vgpr27
                                        ; implicit-def: $vgpr3
	v_cmpx_ne_u32_e32 0, v32
	s_xor_b32 s10, exec_lo, s10
; %bb.890:                              ;   in Loop: Header=BB6_128 Depth=2
	s_delay_alu instid0(VALU_DEP_2) | instskip(SKIP_2) | instid1(VALU_DEP_2)
	v_cmp_lt_u64_e32 vcc_lo, 0xffffff, v[96:97]
	v_add_nc_u32_e32 v3, 7, v31
	v_cndmask_b32_e64 v26, 0, 1, vcc_lo
	v_cndmask_b32_e32 v3, v32, v3, vcc_lo
	s_delay_alu instid0(VALU_DEP_2)
	v_lshrrev_b64 v[26:27], v26, v[96:97]
; %bb.891:                              ;   in Loop: Header=BB6_128 Depth=2
	s_and_not1_saveexec_b32 s10, s10
; %bb.892:                              ;   in Loop: Header=BB6_128 Depth=2
	v_mov_b64_e32 v[26:27], v[96:97]
	v_bfe_u32 v3, v96, 23, 1
; %bb.893:                              ;   in Loop: Header=BB6_128 Depth=2
	s_or_b32 exec_lo, exec_lo, s10
	s_delay_alu instid0(VALU_DEP_2) | instskip(NEXT) | instid1(VALU_DEP_2)
	v_lshrrev_b64 v[26:27], 20, v[26:27]
	v_cmp_gt_i32_e32 vcc_lo, 16, v3
	v_min_i32_e32 v31, 15, v3
	v_cmp_eq_u32_e64 s10, 0, v3
	s_delay_alu instid0(VALU_DEP_2) | instskip(SKIP_1) | instid1(VALU_DEP_2)
	v_dual_cndmask_b32 v26, 7, v26 :: v_dual_lshlrev_b32 v31, 3, v31
	v_cndmask_b32_e32 v27, 0, v27, vcc_lo
	v_and_b32_e32 v31, 0xf8, v31
	s_delay_alu instid0(VALU_DEP_2) | instskip(NEXT) | instid1(VALU_DEP_2)
	v_cmp_eq_u64_e32 vcc_lo, 0, v[26:27]
	v_and_or_b32 v3, v26, 7, v31
	s_and_b32 s10, s10, vcc_lo
	s_delay_alu instid0(VALU_DEP_1) | instid1(SALU_CYCLE_1)
	v_cndmask_b32_e64 v3, v3, 0, s10
	s_delay_alu instid0(VALU_DEP_1)
	v_or_b32_e32 v38, v3, v2
.LBB6_894:                              ;   in Loop: Header=BB6_128 Depth=2
	s_or_b32 exec_lo, exec_lo, s29
                                        ; implicit-def: $vgpr2
.LBB6_895:                              ;   in Loop: Header=BB6_128 Depth=2
	s_and_not1_saveexec_b32 s10, s28
; %bb.896:                              ;   in Loop: Header=BB6_128 Depth=2
	v_or_b32_e32 v38, 0x7e, v2
; %bb.897:                              ;   in Loop: Header=BB6_128 Depth=2
	s_or_b32 exec_lo, exec_lo, s10
                                        ; implicit-def: $vgpr2
.LBB6_898:                              ;   in Loop: Header=BB6_128 Depth=2
	s_and_not1_saveexec_b32 s10, s27
; %bb.899:                              ;   in Loop: Header=BB6_128 Depth=2
	v_or_b32_e32 v38, 0x7f, v2
; %bb.900:                              ;   in Loop: Header=BB6_128 Depth=2
	s_or_b32 exec_lo, exec_lo, s10
	v_lshrrev_b16 v26, 8, v34
	v_dual_mov_b32 v2, 0 :: v_dual_mov_b32 v3, 0
	s_mov_b32 s10, exec_lo
	s_delay_alu instid0(VALU_DEP_2)
	v_cmpx_ne_u16_e32 0, v26
	s_cbranch_execz .LBB6_908
; %bb.901:                              ;   in Loop: Header=BB6_128 Depth=2
	v_bfrev_b32_e32 v3, 1
	s_mov_b32 s27, exec_lo
	v_cmpx_ne_u16_e32 0x80, v26
	s_cbranch_execz .LBB6_907
; %bb.902:                              ;   in Loop: Header=BB6_128 Depth=2
	v_and_b32_e32 v27, 0xffff, v26
	v_mov_b32_e32 v3, 0x7f800001
	s_mov_b32 s28, exec_lo
	s_delay_alu instid0(VALU_DEP_2) | instskip(NEXT) | instid1(VALU_DEP_1)
	v_and_b32_e32 v26, 0x7f, v27
	v_cmpx_ne_u32_e32 0x7f, v26
	s_cbranch_execz .LBB6_906
; %bb.903:                              ;   in Loop: Header=BB6_128 Depth=2
	v_dual_lshrrev_b32 v3, 3, v26 :: v_dual_bitop2_b32 v96, 7, v27 bitop3:0x40
	s_mov_b32 s29, exec_lo
	v_cmpx_gt_u32_e32 8, v26
; %bb.904:                              ;   in Loop: Header=BB6_128 Depth=2
	s_delay_alu instid0(VALU_DEP_2) | instskip(NEXT) | instid1(VALU_DEP_1)
	v_clz_i32_u32_e32 v3, v96
	v_min_u32_e32 v3, 32, v3
	s_delay_alu instid0(VALU_DEP_1) | instskip(NEXT) | instid1(VALU_DEP_1)
	v_subrev_nc_u32_e32 v26, 28, v3
	v_lshlrev_b64_e32 v[26:27], v26, v[96:97]
	s_delay_alu instid0(VALU_DEP_1)
	v_dual_sub_nc_u32 v3, 29, v3 :: v_dual_bitop2_b32 v96, 7, v26 bitop3:0x40
; %bb.905:                              ;   in Loop: Header=BB6_128 Depth=2
	s_or_b32 exec_lo, exec_lo, s29
	s_delay_alu instid0(VALU_DEP_1) | instskip(NEXT) | instid1(VALU_DEP_2)
	v_dual_lshlrev_b32 v26, 16, v34 :: v_dual_lshlrev_b32 v27, 20, v96
	v_lshl_add_u32 v3, v3, 23, 0x3c000000
	s_delay_alu instid0(VALU_DEP_2) | instskip(NEXT) | instid1(VALU_DEP_1)
	v_and_b32_e32 v26, 0x80000000, v26
	v_or3_b32 v3, v27, v26, v3
.LBB6_906:                              ;   in Loop: Header=BB6_128 Depth=2
	s_or_b32 exec_lo, exec_lo, s28
.LBB6_907:                              ;   in Loop: Header=BB6_128 Depth=2
	s_delay_alu instid0(SALU_CYCLE_1)
	s_or_b32 exec_lo, exec_lo, s27
.LBB6_908:                              ;   in Loop: Header=BB6_128 Depth=2
	s_delay_alu instid0(SALU_CYCLE_1) | instskip(SKIP_2) | instid1(VALU_DEP_1)
	s_or_b32 exec_lo, exec_lo, s10
	v_lshrrev_b16 v26, 8, v28
	s_mov_b32 s10, exec_lo
	v_cmpx_ne_u16_e32 0, v26
	s_cbranch_execz .LBB6_916
; %bb.909:                              ;   in Loop: Header=BB6_128 Depth=2
	v_bfrev_b32_e32 v2, 1
	s_mov_b32 s27, exec_lo
	v_cmpx_ne_u16_e32 0x80, v26
	s_cbranch_execz .LBB6_915
; %bb.910:                              ;   in Loop: Header=BB6_128 Depth=2
	v_and_b32_e32 v27, 0xffff, v26
	v_mov_b32_e32 v2, 0x7f800001
	s_mov_b32 s28, exec_lo
	s_delay_alu instid0(VALU_DEP_2) | instskip(NEXT) | instid1(VALU_DEP_1)
	v_and_b32_e32 v26, 0x7f, v27
	v_cmpx_ne_u32_e32 0x7f, v26
	s_cbranch_execz .LBB6_914
; %bb.911:                              ;   in Loop: Header=BB6_128 Depth=2
	v_dual_lshrrev_b32 v2, 3, v26 :: v_dual_bitop2_b32 v96, 7, v27 bitop3:0x40
	s_mov_b32 s29, exec_lo
	v_cmpx_gt_u32_e32 8, v26
; %bb.912:                              ;   in Loop: Header=BB6_128 Depth=2
	s_delay_alu instid0(VALU_DEP_2) | instskip(NEXT) | instid1(VALU_DEP_1)
	v_clz_i32_u32_e32 v2, v96
	v_min_u32_e32 v2, 32, v2
	s_delay_alu instid0(VALU_DEP_1) | instskip(SKIP_1) | instid1(VALU_DEP_2)
	v_subrev_nc_u32_e32 v26, 28, v2
	v_sub_nc_u32_e32 v2, 29, v2
	v_lshlrev_b64_e32 v[26:27], v26, v[96:97]
	s_delay_alu instid0(VALU_DEP_1)
	v_and_b32_e32 v96, 7, v26
; %bb.913:                              ;   in Loop: Header=BB6_128 Depth=2
	s_or_b32 exec_lo, exec_lo, s29
	v_lshlrev_b32_e32 v26, 16, v28
	s_delay_alu instid0(VALU_DEP_2) | instskip(SKIP_1) | instid1(VALU_DEP_3)
	v_lshlrev_b32_e32 v27, 20, v96
	v_lshl_add_u32 v2, v2, 23, 0x3c000000
	v_and_b32_e32 v26, 0x80000000, v26
	s_delay_alu instid0(VALU_DEP_1)
	v_or3_b32 v2, v27, v26, v2
.LBB6_914:                              ;   in Loop: Header=BB6_128 Depth=2
	s_or_b32 exec_lo, exec_lo, s28
.LBB6_915:                              ;   in Loop: Header=BB6_128 Depth=2
	s_delay_alu instid0(SALU_CYCLE_1)
	s_or_b32 exec_lo, exec_lo, s27
.LBB6_916:                              ;   in Loop: Header=BB6_128 Depth=2
	s_delay_alu instid0(SALU_CYCLE_1) | instskip(NEXT) | instid1(VALU_DEP_1)
	s_or_b32 exec_lo, exec_lo, s10
	v_mul_f32_e32 v3, v3, v2
                                        ; implicit-def: $vgpr39
	s_mov_b32 s10, exec_lo
	s_delay_alu instid0(VALU_DEP_1) | instskip(SKIP_1) | instid1(VALU_DEP_2)
	v_and_b32_e32 v96, 0x7f800000, v3
	v_lshrrev_b32_e32 v2, 24, v3
	v_cmpx_ne_u64_e32 0x7f800000, v[96:97]
	s_xor_b32 s27, exec_lo, s10
	s_cbranch_execz .LBB6_930
; %bb.917:                              ;   in Loop: Header=BB6_128 Depth=2
	v_and_b32_e32 v96, 0x7fffffff, v3
	v_and_b32_e32 v2, 0x80, v2
                                        ; implicit-def: $vgpr39
	s_mov_b32 s10, exec_lo
	s_delay_alu instid0(VALU_DEP_2)
	v_cmpx_gt_u64_e32 0x43e00001, v[96:97]
	s_xor_b32 s28, exec_lo, s10
	s_cbranch_execz .LBB6_927
; %bb.918:                              ;   in Loop: Header=BB6_128 Depth=2
	v_mov_b32_e32 v39, 0
	s_mov_b32 s29, exec_lo
	v_cmpx_ne_u32_e32 0, v3
	s_cbranch_execz .LBB6_926
; %bb.919:                              ;   in Loop: Header=BB6_128 Depth=2
	v_bfe_u32 v31, v3, 23, 8
	v_and_b32_e32 v3, 0x7fffff, v3
	s_delay_alu instid0(VALU_DEP_2) | instskip(SKIP_1) | instid1(VALU_DEP_3)
	v_sub_nc_u32_e32 v26, 0x79, v31
	v_cmp_gt_u32_e32 vcc_lo, 0x7a, v31
	v_or_b32_e32 v32, 0x800000, v3
	s_delay_alu instid0(VALU_DEP_3) | instskip(SKIP_1) | instid1(VALU_DEP_2)
	v_cndmask_b32_e32 v26, 0, v26, vcc_lo
	v_cmp_eq_u32_e32 vcc_lo, 0, v31
	v_cndmask_b32_e64 v39, v26, 0x78, vcc_lo
	s_delay_alu instid0(VALU_DEP_4) | instskip(NEXT) | instid1(VALU_DEP_2)
	v_cndmask_b32_e32 v96, v32, v3, vcc_lo
	v_dual_add_nc_u32 v26, 20, v39 :: v_dual_add_nc_u32 v33, 19, v39
	s_delay_alu instid0(VALU_DEP_1) | instskip(NEXT) | instid1(VALU_DEP_2)
	v_lshlrev_b64_e64 v[26:27], v26, -1
	v_lshlrev_b64_e64 v[32:33], v33, 1
	s_delay_alu instid0(VALU_DEP_2) | instskip(NEXT) | instid1(VALU_DEP_3)
	v_bfi_b32 v55, v27, 0, 0
	v_bfi_b32 v54, v26, 0, v96
	v_lshrrev_b64 v[26:27], v39, v[96:97]
	s_delay_alu instid0(VALU_DEP_2) | instskip(NEXT) | instid1(VALU_DEP_2)
	v_cmp_eq_u64_e64 s10, v[54:55], v[32:33]
	v_mov_b64_e32 v[32:33], v[26:27]
	s_and_saveexec_b32 s40, s10
; %bb.920:                              ;   in Loop: Header=BB6_128 Depth=2
	v_bfe_u32 v96, v26, 20, 1
	s_delay_alu instid0(VALU_DEP_1) | instskip(NEXT) | instid1(VALU_DEP_1)
	v_add_nc_u64_e32 v[32:33], v[26:27], v[96:97]
	v_add_nc_u64_e32 v[32:33], -1, v[32:33]
; %bb.921:                              ;   in Loop: Header=BB6_128 Depth=2
	s_or_b32 exec_lo, exec_lo, s40
	v_add_nc_u32_e32 v3, 0xffffff81, v31
	v_lshrrev_b32_e32 v27, 23, v26
	s_mov_b32 s10, exec_lo
	s_delay_alu instid0(VALU_DEP_2) | instskip(NEXT) | instid1(VALU_DEP_1)
	v_cndmask_b32_e64 v3, v3, 0xffffff82, vcc_lo
	v_add3_u32 v31, v39, v3, v27
	v_and_b32_e32 v3, 0xfffff, v32
	s_delay_alu instid0(VALU_DEP_1) | instskip(NEXT) | instid1(VALU_DEP_1)
	v_dual_add_nc_u32 v32, 6, v31 :: v_dual_add_nc_u32 v96, v3, v26
                                        ; implicit-def: $vgpr26_vgpr27
                                        ; implicit-def: $vgpr3
	v_cmpx_ne_u32_e32 0, v32
	s_xor_b32 s10, exec_lo, s10
; %bb.922:                              ;   in Loop: Header=BB6_128 Depth=2
	s_delay_alu instid0(VALU_DEP_2) | instskip(SKIP_2) | instid1(VALU_DEP_2)
	v_cmp_lt_u64_e32 vcc_lo, 0xffffff, v[96:97]
	v_add_nc_u32_e32 v3, 7, v31
	v_cndmask_b32_e64 v26, 0, 1, vcc_lo
	v_cndmask_b32_e32 v3, v32, v3, vcc_lo
	s_delay_alu instid0(VALU_DEP_2)
	v_lshrrev_b64 v[26:27], v26, v[96:97]
; %bb.923:                              ;   in Loop: Header=BB6_128 Depth=2
	s_and_not1_saveexec_b32 s10, s10
; %bb.924:                              ;   in Loop: Header=BB6_128 Depth=2
	v_mov_b64_e32 v[26:27], v[96:97]
	v_bfe_u32 v3, v96, 23, 1
; %bb.925:                              ;   in Loop: Header=BB6_128 Depth=2
	s_or_b32 exec_lo, exec_lo, s10
	s_delay_alu instid0(VALU_DEP_2) | instskip(NEXT) | instid1(VALU_DEP_2)
	v_lshrrev_b64 v[26:27], 20, v[26:27]
	v_cmp_gt_i32_e32 vcc_lo, 16, v3
	v_min_i32_e32 v31, 15, v3
	v_cmp_eq_u32_e64 s10, 0, v3
	s_delay_alu instid0(VALU_DEP_2) | instskip(SKIP_1) | instid1(VALU_DEP_2)
	v_dual_cndmask_b32 v26, 7, v26 :: v_dual_lshlrev_b32 v31, 3, v31
	v_cndmask_b32_e32 v27, 0, v27, vcc_lo
	v_and_b32_e32 v31, 0xf8, v31
	s_delay_alu instid0(VALU_DEP_2) | instskip(NEXT) | instid1(VALU_DEP_2)
	v_cmp_eq_u64_e32 vcc_lo, 0, v[26:27]
	v_and_or_b32 v3, v26, 7, v31
	s_and_b32 s10, s10, vcc_lo
	s_delay_alu instid0(VALU_DEP_1) | instid1(SALU_CYCLE_1)
	v_cndmask_b32_e64 v3, v3, 0, s10
	s_delay_alu instid0(VALU_DEP_1)
	v_or_b32_e32 v39, v3, v2
.LBB6_926:                              ;   in Loop: Header=BB6_128 Depth=2
	s_or_b32 exec_lo, exec_lo, s29
                                        ; implicit-def: $vgpr2
.LBB6_927:                              ;   in Loop: Header=BB6_128 Depth=2
	s_and_not1_saveexec_b32 s10, s28
; %bb.928:                              ;   in Loop: Header=BB6_128 Depth=2
	v_or_b32_e32 v39, 0x7e, v2
; %bb.929:                              ;   in Loop: Header=BB6_128 Depth=2
	s_or_b32 exec_lo, exec_lo, s10
                                        ; implicit-def: $vgpr2
.LBB6_930:                              ;   in Loop: Header=BB6_128 Depth=2
	s_and_not1_saveexec_b32 s10, s27
; %bb.931:                              ;   in Loop: Header=BB6_128 Depth=2
	v_or_b32_e32 v39, 0x7f, v2
; %bb.932:                              ;   in Loop: Header=BB6_128 Depth=2
	s_or_b32 exec_lo, exec_lo, s10
	v_dual_lshrrev_b32 v26, 16, v34 :: v_dual_mov_b32 v2, 0
	v_mov_b32_e32 v3, 0
	s_mov_b32 s10, exec_lo
	s_delay_alu instid0(VALU_DEP_2) | instskip(NEXT) | instid1(VALU_DEP_1)
	v_and_b32_e32 v27, 0xff, v26
	v_cmpx_ne_u16_e32 0, v27
	s_cbranch_execz .LBB6_940
; %bb.933:                              ;   in Loop: Header=BB6_128 Depth=2
	v_bfrev_b32_e32 v3, 1
	s_mov_b32 s27, exec_lo
	v_cmpx_ne_u16_e32 0x80, v27
	s_cbranch_execz .LBB6_939
; %bb.934:                              ;   in Loop: Header=BB6_128 Depth=2
	v_bfe_u32 v27, v34, 16, 7
	v_mov_b32_e32 v3, 0x7f800001
	s_mov_b32 s28, exec_lo
	s_delay_alu instid0(VALU_DEP_2)
	v_cmpx_ne_u32_e32 0x7f, v27
	s_cbranch_execz .LBB6_938
; %bb.935:                              ;   in Loop: Header=BB6_128 Depth=2
	v_dual_lshrrev_b32 v3, 3, v27 :: v_dual_bitop2_b32 v96, 7, v26 bitop3:0x40
	s_mov_b32 s29, exec_lo
	v_cmpx_gt_u32_e32 8, v27
; %bb.936:                              ;   in Loop: Header=BB6_128 Depth=2
	s_delay_alu instid0(VALU_DEP_2) | instskip(NEXT) | instid1(VALU_DEP_1)
	v_clz_i32_u32_e32 v3, v96
	v_min_u32_e32 v3, 32, v3
	s_delay_alu instid0(VALU_DEP_1) | instskip(NEXT) | instid1(VALU_DEP_1)
	v_subrev_nc_u32_e32 v27, 28, v3
	v_lshlrev_b64_e32 v[32:33], v27, v[96:97]
	s_delay_alu instid0(VALU_DEP_1)
	v_dual_sub_nc_u32 v3, 29, v3 :: v_dual_bitop2_b32 v96, 7, v32 bitop3:0x40
; %bb.937:                              ;   in Loop: Header=BB6_128 Depth=2
	s_or_b32 exec_lo, exec_lo, s29
	s_delay_alu instid0(VALU_DEP_1) | instskip(NEXT) | instid1(VALU_DEP_2)
	v_dual_lshlrev_b32 v26, 24, v26 :: v_dual_lshlrev_b32 v27, 20, v96
	v_lshl_add_u32 v3, v3, 23, 0x3c000000
	s_delay_alu instid0(VALU_DEP_2) | instskip(NEXT) | instid1(VALU_DEP_1)
	v_and_b32_e32 v26, 0x80000000, v26
	v_or3_b32 v3, v27, v26, v3
.LBB6_938:                              ;   in Loop: Header=BB6_128 Depth=2
	s_or_b32 exec_lo, exec_lo, s28
.LBB6_939:                              ;   in Loop: Header=BB6_128 Depth=2
	s_delay_alu instid0(SALU_CYCLE_1)
	s_or_b32 exec_lo, exec_lo, s27
.LBB6_940:                              ;   in Loop: Header=BB6_128 Depth=2
	s_delay_alu instid0(SALU_CYCLE_1) | instskip(SKIP_2) | instid1(VALU_DEP_1)
	s_or_b32 exec_lo, exec_lo, s10
	v_lshrrev_b32_e32 v26, 16, v28
	s_mov_b32 s10, exec_lo
	v_and_b32_e32 v27, 0xff, v26
	s_delay_alu instid0(VALU_DEP_1)
	v_cmpx_ne_u16_e32 0, v27
	s_cbranch_execz .LBB6_948
; %bb.941:                              ;   in Loop: Header=BB6_128 Depth=2
	v_bfrev_b32_e32 v2, 1
	s_mov_b32 s27, exec_lo
	v_cmpx_ne_u16_e32 0x80, v27
	s_cbranch_execz .LBB6_947
; %bb.942:                              ;   in Loop: Header=BB6_128 Depth=2
	v_bfe_u32 v27, v28, 16, 7
	v_mov_b32_e32 v2, 0x7f800001
	s_mov_b32 s28, exec_lo
	s_delay_alu instid0(VALU_DEP_2)
	v_cmpx_ne_u32_e32 0x7f, v27
	s_cbranch_execz .LBB6_946
; %bb.943:                              ;   in Loop: Header=BB6_128 Depth=2
	v_dual_lshrrev_b32 v2, 3, v27 :: v_dual_bitop2_b32 v96, 7, v26 bitop3:0x40
	s_mov_b32 s29, exec_lo
	v_cmpx_gt_u32_e32 8, v27
; %bb.944:                              ;   in Loop: Header=BB6_128 Depth=2
	s_delay_alu instid0(VALU_DEP_2) | instskip(NEXT) | instid1(VALU_DEP_1)
	v_clz_i32_u32_e32 v2, v96
	v_min_u32_e32 v2, 32, v2
	s_delay_alu instid0(VALU_DEP_1) | instskip(SKIP_1) | instid1(VALU_DEP_2)
	v_subrev_nc_u32_e32 v26, 28, v2
	v_sub_nc_u32_e32 v2, 29, v2
	v_lshlrev_b64_e32 v[26:27], v26, v[96:97]
	s_delay_alu instid0(VALU_DEP_1)
	v_and_b32_e32 v96, 7, v26
; %bb.945:                              ;   in Loop: Header=BB6_128 Depth=2
	s_or_b32 exec_lo, exec_lo, s29
	v_lshlrev_b32_e32 v26, 8, v28
	s_delay_alu instid0(VALU_DEP_2) | instskip(SKIP_1) | instid1(VALU_DEP_3)
	v_lshlrev_b32_e32 v27, 20, v96
	v_lshl_add_u32 v2, v2, 23, 0x3c000000
	v_and_b32_e32 v26, 0x80000000, v26
	s_delay_alu instid0(VALU_DEP_1)
	v_or3_b32 v2, v27, v26, v2
.LBB6_946:                              ;   in Loop: Header=BB6_128 Depth=2
	s_or_b32 exec_lo, exec_lo, s28
.LBB6_947:                              ;   in Loop: Header=BB6_128 Depth=2
	s_delay_alu instid0(SALU_CYCLE_1)
	s_or_b32 exec_lo, exec_lo, s27
.LBB6_948:                              ;   in Loop: Header=BB6_128 Depth=2
	s_delay_alu instid0(SALU_CYCLE_1) | instskip(NEXT) | instid1(VALU_DEP_1)
	s_or_b32 exec_lo, exec_lo, s10
	v_mul_f32_e32 v3, v3, v2
                                        ; implicit-def: $vgpr108
	s_mov_b32 s10, exec_lo
	s_delay_alu instid0(VALU_DEP_1) | instskip(SKIP_1) | instid1(VALU_DEP_2)
	v_and_b32_e32 v96, 0x7f800000, v3
	v_lshrrev_b32_e32 v2, 24, v3
	v_cmpx_ne_u64_e32 0x7f800000, v[96:97]
	s_xor_b32 s27, exec_lo, s10
	s_cbranch_execz .LBB6_962
; %bb.949:                              ;   in Loop: Header=BB6_128 Depth=2
	v_and_b32_e32 v96, 0x7fffffff, v3
	v_and_b32_e32 v2, 0x80, v2
                                        ; implicit-def: $vgpr108
	s_mov_b32 s10, exec_lo
	s_delay_alu instid0(VALU_DEP_2)
	v_cmpx_gt_u64_e32 0x43e00001, v[96:97]
	s_xor_b32 s28, exec_lo, s10
	s_cbranch_execz .LBB6_959
; %bb.950:                              ;   in Loop: Header=BB6_128 Depth=2
	v_mov_b32_e32 v108, 0
	s_mov_b32 s29, exec_lo
	v_cmpx_ne_u32_e32 0, v3
	s_cbranch_execz .LBB6_958
; %bb.951:                              ;   in Loop: Header=BB6_128 Depth=2
	v_bfe_u32 v31, v3, 23, 8
	v_and_b32_e32 v3, 0x7fffff, v3
	s_delay_alu instid0(VALU_DEP_2) | instskip(SKIP_1) | instid1(VALU_DEP_3)
	v_sub_nc_u32_e32 v26, 0x79, v31
	v_cmp_gt_u32_e32 vcc_lo, 0x7a, v31
	v_or_b32_e32 v32, 0x800000, v3
	s_delay_alu instid0(VALU_DEP_3) | instskip(SKIP_1) | instid1(VALU_DEP_3)
	v_cndmask_b32_e32 v26, 0, v26, vcc_lo
	v_cmp_eq_u32_e32 vcc_lo, 0, v31
	v_cndmask_b32_e32 v96, v32, v3, vcc_lo
	s_delay_alu instid0(VALU_DEP_3) | instskip(NEXT) | instid1(VALU_DEP_1)
	v_cndmask_b32_e64 v54, v26, 0x78, vcc_lo
	v_dual_add_nc_u32 v26, 20, v54 :: v_dual_add_nc_u32 v33, 19, v54
	s_delay_alu instid0(VALU_DEP_1) | instskip(NEXT) | instid1(VALU_DEP_2)
	v_lshlrev_b64_e64 v[26:27], v26, -1
	v_lshlrev_b64_e64 v[32:33], v33, 1
	s_delay_alu instid0(VALU_DEP_2) | instskip(NEXT) | instid1(VALU_DEP_3)
	v_bfi_b32 v113, v27, 0, 0
	v_bfi_b32 v112, v26, 0, v96
	v_lshrrev_b64 v[26:27], v54, v[96:97]
	s_delay_alu instid0(VALU_DEP_2) | instskip(NEXT) | instid1(VALU_DEP_2)
	v_cmp_eq_u64_e64 s10, v[112:113], v[32:33]
	v_mov_b64_e32 v[32:33], v[26:27]
	s_and_saveexec_b32 s40, s10
; %bb.952:                              ;   in Loop: Header=BB6_128 Depth=2
	v_bfe_u32 v96, v26, 20, 1
	s_delay_alu instid0(VALU_DEP_1) | instskip(NEXT) | instid1(VALU_DEP_1)
	v_add_nc_u64_e32 v[32:33], v[26:27], v[96:97]
	v_add_nc_u64_e32 v[32:33], -1, v[32:33]
; %bb.953:                              ;   in Loop: Header=BB6_128 Depth=2
	s_or_b32 exec_lo, exec_lo, s40
	v_add_nc_u32_e32 v3, 0xffffff81, v31
	v_lshrrev_b32_e32 v27, 23, v26
	s_mov_b32 s10, exec_lo
	s_delay_alu instid0(VALU_DEP_2) | instskip(NEXT) | instid1(VALU_DEP_1)
	v_cndmask_b32_e64 v3, v3, 0xffffff82, vcc_lo
	v_add3_u32 v31, v54, v3, v27
	v_and_b32_e32 v3, 0xfffff, v32
	s_delay_alu instid0(VALU_DEP_1) | instskip(NEXT) | instid1(VALU_DEP_1)
	v_dual_add_nc_u32 v32, 6, v31 :: v_dual_add_nc_u32 v96, v3, v26
                                        ; implicit-def: $vgpr26_vgpr27
                                        ; implicit-def: $vgpr3
	v_cmpx_ne_u32_e32 0, v32
	s_xor_b32 s10, exec_lo, s10
; %bb.954:                              ;   in Loop: Header=BB6_128 Depth=2
	s_delay_alu instid0(VALU_DEP_2) | instskip(SKIP_2) | instid1(VALU_DEP_2)
	v_cmp_lt_u64_e32 vcc_lo, 0xffffff, v[96:97]
	v_add_nc_u32_e32 v3, 7, v31
	v_cndmask_b32_e64 v26, 0, 1, vcc_lo
	v_cndmask_b32_e32 v3, v32, v3, vcc_lo
	s_delay_alu instid0(VALU_DEP_2)
	v_lshrrev_b64 v[26:27], v26, v[96:97]
; %bb.955:                              ;   in Loop: Header=BB6_128 Depth=2
	s_and_not1_saveexec_b32 s10, s10
; %bb.956:                              ;   in Loop: Header=BB6_128 Depth=2
	v_mov_b64_e32 v[26:27], v[96:97]
	v_bfe_u32 v3, v96, 23, 1
; %bb.957:                              ;   in Loop: Header=BB6_128 Depth=2
	s_or_b32 exec_lo, exec_lo, s10
	s_delay_alu instid0(VALU_DEP_2) | instskip(NEXT) | instid1(VALU_DEP_2)
	v_lshrrev_b64 v[26:27], 20, v[26:27]
	v_cmp_gt_i32_e32 vcc_lo, 16, v3
	v_min_i32_e32 v31, 15, v3
	v_cmp_eq_u32_e64 s10, 0, v3
	s_delay_alu instid0(VALU_DEP_2) | instskip(SKIP_1) | instid1(VALU_DEP_2)
	v_dual_cndmask_b32 v26, 7, v26 :: v_dual_lshlrev_b32 v31, 3, v31
	v_cndmask_b32_e32 v27, 0, v27, vcc_lo
	v_and_b32_e32 v31, 0xf8, v31
	s_delay_alu instid0(VALU_DEP_2) | instskip(NEXT) | instid1(VALU_DEP_2)
	v_cmp_eq_u64_e32 vcc_lo, 0, v[26:27]
	v_and_or_b32 v3, v26, 7, v31
	s_and_b32 s10, s10, vcc_lo
	s_delay_alu instid0(VALU_DEP_1) | instid1(SALU_CYCLE_1)
	v_cndmask_b32_e64 v3, v3, 0, s10
	s_delay_alu instid0(VALU_DEP_1)
	v_or_b32_e32 v108, v3, v2
.LBB6_958:                              ;   in Loop: Header=BB6_128 Depth=2
	s_or_b32 exec_lo, exec_lo, s29
                                        ; implicit-def: $vgpr2
.LBB6_959:                              ;   in Loop: Header=BB6_128 Depth=2
	s_and_not1_saveexec_b32 s10, s28
; %bb.960:                              ;   in Loop: Header=BB6_128 Depth=2
	v_or_b32_e32 v108, 0x7e, v2
; %bb.961:                              ;   in Loop: Header=BB6_128 Depth=2
	s_or_b32 exec_lo, exec_lo, s10
                                        ; implicit-def: $vgpr2
.LBB6_962:                              ;   in Loop: Header=BB6_128 Depth=2
	s_and_not1_saveexec_b32 s10, s27
; %bb.963:                              ;   in Loop: Header=BB6_128 Depth=2
	v_or_b32_e32 v108, 0x7f, v2
; %bb.964:                              ;   in Loop: Header=BB6_128 Depth=2
	s_or_b32 exec_lo, exec_lo, s10
	v_dual_mov_b32 v2, 0 :: v_dual_mov_b32 v3, 0
	s_mov_b32 s10, exec_lo
	v_cmpx_lt_u32_e32 0xffffff, v34
	s_cbranch_execz .LBB6_972
; %bb.965:                              ;   in Loop: Header=BB6_128 Depth=2
	v_lshrrev_b32_e32 v26, 24, v34
	v_bfrev_b32_e32 v3, 1
	s_mov_b32 s27, exec_lo
	s_delay_alu instid0(VALU_DEP_2)
	v_cmpx_ne_u32_e32 0x80, v26
	s_cbranch_execz .LBB6_971
; %bb.966:                              ;   in Loop: Header=BB6_128 Depth=2
	v_bfe_u32 v27, v34, 24, 7
	v_mov_b32_e32 v3, 0x7f800001
	s_mov_b32 s28, exec_lo
	s_delay_alu instid0(VALU_DEP_2)
	v_cmpx_ne_u32_e32 0x7f, v27
	s_cbranch_execz .LBB6_970
; %bb.967:                              ;   in Loop: Header=BB6_128 Depth=2
	v_dual_lshrrev_b32 v3, 3, v27 :: v_dual_bitop2_b32 v96, 7, v26 bitop3:0x40
	s_mov_b32 s29, exec_lo
	v_cmpx_gt_u32_e32 8, v27
; %bb.968:                              ;   in Loop: Header=BB6_128 Depth=2
	s_delay_alu instid0(VALU_DEP_2) | instskip(NEXT) | instid1(VALU_DEP_1)
	v_clz_i32_u32_e32 v3, v96
	v_min_u32_e32 v3, 32, v3
	s_delay_alu instid0(VALU_DEP_1) | instskip(NEXT) | instid1(VALU_DEP_1)
	v_subrev_nc_u32_e32 v27, 28, v3
	v_lshlrev_b64_e32 v[32:33], v27, v[96:97]
	s_delay_alu instid0(VALU_DEP_1)
	v_dual_sub_nc_u32 v3, 29, v3 :: v_dual_bitop2_b32 v96, 7, v32 bitop3:0x40
; %bb.969:                              ;   in Loop: Header=BB6_128 Depth=2
	s_or_b32 exec_lo, exec_lo, s29
	s_delay_alu instid0(VALU_DEP_1) | instskip(NEXT) | instid1(VALU_DEP_2)
	v_dual_lshlrev_b32 v26, 24, v26 :: v_dual_lshlrev_b32 v27, 20, v96
	v_lshl_add_u32 v3, v3, 23, 0x3c000000
	s_delay_alu instid0(VALU_DEP_2) | instskip(NEXT) | instid1(VALU_DEP_1)
	v_and_b32_e32 v26, 0x80000000, v26
	v_or3_b32 v3, v27, v26, v3
.LBB6_970:                              ;   in Loop: Header=BB6_128 Depth=2
	s_or_b32 exec_lo, exec_lo, s28
.LBB6_971:                              ;   in Loop: Header=BB6_128 Depth=2
	s_delay_alu instid0(SALU_CYCLE_1)
	s_or_b32 exec_lo, exec_lo, s27
.LBB6_972:                              ;   in Loop: Header=BB6_128 Depth=2
	s_delay_alu instid0(SALU_CYCLE_1) | instskip(NEXT) | instid1(SALU_CYCLE_1)
	s_or_b32 exec_lo, exec_lo, s10
	s_mov_b32 s10, exec_lo
	v_cmpx_lt_u32_e32 0xffffff, v28
	s_cbranch_execz .LBB6_980
; %bb.973:                              ;   in Loop: Header=BB6_128 Depth=2
	v_lshrrev_b32_e32 v26, 24, v28
	v_bfrev_b32_e32 v2, 1
	s_mov_b32 s27, exec_lo
	s_delay_alu instid0(VALU_DEP_2)
	v_cmpx_ne_u32_e32 0x80, v26
	s_cbranch_execz .LBB6_979
; %bb.974:                              ;   in Loop: Header=BB6_128 Depth=2
	v_bfe_u32 v27, v28, 24, 7
	v_mov_b32_e32 v2, 0x7f800001
	s_mov_b32 s28, exec_lo
	s_delay_alu instid0(VALU_DEP_2)
	v_cmpx_ne_u32_e32 0x7f, v27
	s_cbranch_execz .LBB6_978
; %bb.975:                              ;   in Loop: Header=BB6_128 Depth=2
	v_dual_lshrrev_b32 v2, 3, v27 :: v_dual_bitop2_b32 v96, 7, v26 bitop3:0x40
	s_mov_b32 s29, exec_lo
	v_cmpx_gt_u32_e32 8, v27
; %bb.976:                              ;   in Loop: Header=BB6_128 Depth=2
	s_delay_alu instid0(VALU_DEP_2) | instskip(NEXT) | instid1(VALU_DEP_1)
	v_clz_i32_u32_e32 v2, v96
	v_min_u32_e32 v2, 32, v2
	s_delay_alu instid0(VALU_DEP_1) | instskip(NEXT) | instid1(VALU_DEP_1)
	v_subrev_nc_u32_e32 v27, 28, v2
	v_lshlrev_b64_e32 v[32:33], v27, v[96:97]
	s_delay_alu instid0(VALU_DEP_1)
	v_dual_sub_nc_u32 v2, 29, v2 :: v_dual_bitop2_b32 v96, 7, v32 bitop3:0x40
; %bb.977:                              ;   in Loop: Header=BB6_128 Depth=2
	s_or_b32 exec_lo, exec_lo, s29
	s_delay_alu instid0(VALU_DEP_1) | instskip(NEXT) | instid1(VALU_DEP_2)
	v_dual_lshlrev_b32 v26, 24, v26 :: v_dual_lshlrev_b32 v27, 20, v96
	v_lshl_add_u32 v2, v2, 23, 0x3c000000
	s_delay_alu instid0(VALU_DEP_2) | instskip(NEXT) | instid1(VALU_DEP_1)
	v_and_b32_e32 v26, 0x80000000, v26
	v_or3_b32 v2, v27, v26, v2
.LBB6_978:                              ;   in Loop: Header=BB6_128 Depth=2
	s_or_b32 exec_lo, exec_lo, s28
.LBB6_979:                              ;   in Loop: Header=BB6_128 Depth=2
	s_delay_alu instid0(SALU_CYCLE_1)
	s_or_b32 exec_lo, exec_lo, s27
.LBB6_980:                              ;   in Loop: Header=BB6_128 Depth=2
	s_delay_alu instid0(SALU_CYCLE_1) | instskip(NEXT) | instid1(VALU_DEP_1)
	s_or_b32 exec_lo, exec_lo, s10
	v_mul_f32_e32 v3, v3, v2
                                        ; implicit-def: $vgpr109
	s_mov_b32 s10, exec_lo
	s_delay_alu instid0(VALU_DEP_1) | instskip(SKIP_1) | instid1(VALU_DEP_2)
	v_and_b32_e32 v96, 0x7f800000, v3
	v_lshrrev_b32_e32 v2, 24, v3
	v_cmpx_ne_u64_e32 0x7f800000, v[96:97]
	s_xor_b32 s27, exec_lo, s10
	s_cbranch_execz .LBB6_994
; %bb.981:                              ;   in Loop: Header=BB6_128 Depth=2
	v_and_b32_e32 v96, 0x7fffffff, v3
	v_and_b32_e32 v2, 0x80, v2
                                        ; implicit-def: $vgpr109
	s_mov_b32 s10, exec_lo
	s_delay_alu instid0(VALU_DEP_2)
	v_cmpx_gt_u64_e32 0x43e00001, v[96:97]
	s_xor_b32 s28, exec_lo, s10
	s_cbranch_execz .LBB6_991
; %bb.982:                              ;   in Loop: Header=BB6_128 Depth=2
	v_mov_b32_e32 v109, 0
	s_mov_b32 s29, exec_lo
	v_cmpx_ne_u32_e32 0, v3
	s_cbranch_execz .LBB6_990
; %bb.983:                              ;   in Loop: Header=BB6_128 Depth=2
	v_bfe_u32 v31, v3, 23, 8
	v_and_b32_e32 v3, 0x7fffff, v3
	s_delay_alu instid0(VALU_DEP_2) | instskip(SKIP_1) | instid1(VALU_DEP_3)
	v_sub_nc_u32_e32 v26, 0x79, v31
	v_cmp_gt_u32_e32 vcc_lo, 0x7a, v31
	v_or_b32_e32 v32, 0x800000, v3
	s_delay_alu instid0(VALU_DEP_3) | instskip(SKIP_1) | instid1(VALU_DEP_3)
	v_cndmask_b32_e32 v26, 0, v26, vcc_lo
	v_cmp_eq_u32_e32 vcc_lo, 0, v31
	v_cndmask_b32_e32 v96, v32, v3, vcc_lo
	s_delay_alu instid0(VALU_DEP_3) | instskip(NEXT) | instid1(VALU_DEP_1)
	v_cndmask_b32_e64 v54, v26, 0x78, vcc_lo
	v_dual_add_nc_u32 v26, 20, v54 :: v_dual_add_nc_u32 v33, 19, v54
	s_delay_alu instid0(VALU_DEP_1) | instskip(NEXT) | instid1(VALU_DEP_2)
	v_lshlrev_b64_e64 v[26:27], v26, -1
	v_lshlrev_b64_e64 v[32:33], v33, 1
	s_delay_alu instid0(VALU_DEP_2) | instskip(NEXT) | instid1(VALU_DEP_3)
	v_bfi_b32 v113, v27, 0, 0
	v_bfi_b32 v112, v26, 0, v96
	v_lshrrev_b64 v[26:27], v54, v[96:97]
	s_delay_alu instid0(VALU_DEP_2) | instskip(NEXT) | instid1(VALU_DEP_2)
	v_cmp_eq_u64_e64 s10, v[112:113], v[32:33]
	v_mov_b64_e32 v[32:33], v[26:27]
	s_and_saveexec_b32 s40, s10
; %bb.984:                              ;   in Loop: Header=BB6_128 Depth=2
	v_bfe_u32 v96, v26, 20, 1
	s_delay_alu instid0(VALU_DEP_1) | instskip(NEXT) | instid1(VALU_DEP_1)
	v_add_nc_u64_e32 v[32:33], v[26:27], v[96:97]
	v_add_nc_u64_e32 v[32:33], -1, v[32:33]
; %bb.985:                              ;   in Loop: Header=BB6_128 Depth=2
	s_or_b32 exec_lo, exec_lo, s40
	v_add_nc_u32_e32 v3, 0xffffff81, v31
	v_lshrrev_b32_e32 v27, 23, v26
	s_mov_b32 s10, exec_lo
	s_delay_alu instid0(VALU_DEP_2) | instskip(NEXT) | instid1(VALU_DEP_1)
	v_cndmask_b32_e64 v3, v3, 0xffffff82, vcc_lo
	v_add3_u32 v31, v54, v3, v27
	v_and_b32_e32 v3, 0xfffff, v32
	s_delay_alu instid0(VALU_DEP_1) | instskip(NEXT) | instid1(VALU_DEP_1)
	v_dual_add_nc_u32 v32, 6, v31 :: v_dual_add_nc_u32 v96, v3, v26
                                        ; implicit-def: $vgpr26_vgpr27
                                        ; implicit-def: $vgpr3
	v_cmpx_ne_u32_e32 0, v32
	s_xor_b32 s10, exec_lo, s10
; %bb.986:                              ;   in Loop: Header=BB6_128 Depth=2
	s_delay_alu instid0(VALU_DEP_2) | instskip(SKIP_2) | instid1(VALU_DEP_2)
	v_cmp_lt_u64_e32 vcc_lo, 0xffffff, v[96:97]
	v_add_nc_u32_e32 v3, 7, v31
	v_cndmask_b32_e64 v26, 0, 1, vcc_lo
	v_cndmask_b32_e32 v3, v32, v3, vcc_lo
	s_delay_alu instid0(VALU_DEP_2)
	v_lshrrev_b64 v[26:27], v26, v[96:97]
; %bb.987:                              ;   in Loop: Header=BB6_128 Depth=2
	s_and_not1_saveexec_b32 s10, s10
; %bb.988:                              ;   in Loop: Header=BB6_128 Depth=2
	v_mov_b64_e32 v[26:27], v[96:97]
	v_bfe_u32 v3, v96, 23, 1
; %bb.989:                              ;   in Loop: Header=BB6_128 Depth=2
	s_or_b32 exec_lo, exec_lo, s10
	s_delay_alu instid0(VALU_DEP_2) | instskip(NEXT) | instid1(VALU_DEP_2)
	v_lshrrev_b64 v[26:27], 20, v[26:27]
	v_cmp_gt_i32_e32 vcc_lo, 16, v3
	v_min_i32_e32 v31, 15, v3
	v_cmp_eq_u32_e64 s10, 0, v3
	s_delay_alu instid0(VALU_DEP_2) | instskip(SKIP_1) | instid1(VALU_DEP_2)
	v_dual_cndmask_b32 v26, 7, v26 :: v_dual_lshlrev_b32 v31, 3, v31
	v_cndmask_b32_e32 v27, 0, v27, vcc_lo
	v_and_b32_e32 v31, 0xf8, v31
	s_delay_alu instid0(VALU_DEP_2) | instskip(NEXT) | instid1(VALU_DEP_2)
	v_cmp_eq_u64_e32 vcc_lo, 0, v[26:27]
	v_and_or_b32 v3, v26, 7, v31
	s_and_b32 s10, s10, vcc_lo
	s_delay_alu instid0(VALU_DEP_1) | instid1(SALU_CYCLE_1)
	v_cndmask_b32_e64 v3, v3, 0, s10
	s_delay_alu instid0(VALU_DEP_1)
	v_or_b32_e32 v109, v3, v2
.LBB6_990:                              ;   in Loop: Header=BB6_128 Depth=2
	s_or_b32 exec_lo, exec_lo, s29
                                        ; implicit-def: $vgpr2
.LBB6_991:                              ;   in Loop: Header=BB6_128 Depth=2
	s_and_not1_saveexec_b32 s10, s28
; %bb.992:                              ;   in Loop: Header=BB6_128 Depth=2
	v_or_b32_e32 v109, 0x7e, v2
; %bb.993:                              ;   in Loop: Header=BB6_128 Depth=2
	s_or_b32 exec_lo, exec_lo, s10
                                        ; implicit-def: $vgpr2
.LBB6_994:                              ;   in Loop: Header=BB6_128 Depth=2
	s_and_not1_saveexec_b32 s10, s27
; %bb.995:                              ;   in Loop: Header=BB6_128 Depth=2
	v_or_b32_e32 v109, 0x7f, v2
; %bb.996:                              ;   in Loop: Header=BB6_128 Depth=2
	s_or_b32 exec_lo, exec_lo, s10
	v_and_b32_e32 v26, 0xff, v35
	v_dual_mov_b32 v96, v35 :: v_dual_mov_b32 v3, 0
	v_mov_b32_e32 v2, 0
	s_mov_b32 s10, exec_lo
	s_delay_alu instid0(VALU_DEP_3)
	v_cmpx_ne_u16_e32 0, v26
	s_cbranch_execz .LBB6_1002
; %bb.997:                              ;   in Loop: Header=BB6_128 Depth=2
	v_bfrev_b32_e32 v2, 1
	s_mov_b32 s27, exec_lo
	v_cmpx_ne_u16_e32 0x80, v26
	s_cbranch_execz .LBB6_1001
; %bb.998:                              ;   in Loop: Header=BB6_128 Depth=2
	v_and_b32_e32 v26, 0x7f, v35
	v_mov_b32_e32 v2, 0x7f800001
	s_mov_b32 s28, exec_lo
	s_delay_alu instid0(VALU_DEP_2)
	v_cmpx_ne_u32_e32 0x7f, v26
	s_cbranch_execz .LBB6_1000
; %bb.999:                              ;   in Loop: Header=BB6_128 Depth=2
	v_dual_lshrrev_b32 v27, 3, v26 :: v_dual_bitop2_b32 v2, 7, v35 bitop3:0x40
	v_cmp_gt_u32_e32 vcc_lo, 8, v26
	s_delay_alu instid0(VALU_DEP_2) | instskip(NEXT) | instid1(VALU_DEP_1)
	v_clz_i32_u32_e32 v2, v2
	v_min_u32_e32 v2, 32, v2
	s_delay_alu instid0(VALU_DEP_1) | instskip(NEXT) | instid1(VALU_DEP_1)
	v_subrev_nc_u32_e32 v31, 28, v2
	v_dual_sub_nc_u32 v2, 29, v2 :: v_dual_cndmask_b32 v26, 0, v31, vcc_lo
	s_delay_alu instid0(VALU_DEP_1) | instskip(NEXT) | instid1(VALU_DEP_2)
	v_cndmask_b32_e32 v2, v27, v2, vcc_lo
	v_lshlrev_b64_e32 v[26:27], v26, v[96:97]
	v_lshlrev_b32_e32 v27, 24, v96
	s_delay_alu instid0(VALU_DEP_3) | instskip(NEXT) | instid1(VALU_DEP_2)
	v_lshl_add_u32 v2, v2, 23, 0x3c000000
	v_and_b32_e32 v27, 0x80000000, v27
	s_delay_alu instid0(VALU_DEP_4) | instskip(NEXT) | instid1(VALU_DEP_1)
	v_lshlrev_b32_e32 v26, 20, v26
	v_and_b32_e32 v26, 0x700000, v26
	s_delay_alu instid0(VALU_DEP_1)
	v_or3_b32 v2, v26, v27, v2
.LBB6_1000:                             ;   in Loop: Header=BB6_128 Depth=2
	s_or_b32 exec_lo, exec_lo, s28
.LBB6_1001:                             ;   in Loop: Header=BB6_128 Depth=2
	s_delay_alu instid0(SALU_CYCLE_1)
	s_or_b32 exec_lo, exec_lo, s27
.LBB6_1002:                             ;   in Loop: Header=BB6_128 Depth=2
	s_delay_alu instid0(SALU_CYCLE_1) | instskip(SKIP_2) | instid1(VALU_DEP_1)
	s_or_b32 exec_lo, exec_lo, s10
	v_and_b32_e32 v26, 0xff, v29
	s_mov_b32 s10, exec_lo
	v_cmpx_ne_u16_e32 0, v26
	s_cbranch_execz .LBB6_1008
; %bb.1003:                             ;   in Loop: Header=BB6_128 Depth=2
	v_bfrev_b32_e32 v3, 1
	s_mov_b32 s27, exec_lo
	v_cmpx_ne_u16_e32 0x80, v26
	s_cbranch_execz .LBB6_1007
; %bb.1004:                             ;   in Loop: Header=BB6_128 Depth=2
	v_and_b32_e32 v26, 0x7f, v29
	v_mov_b32_e32 v3, 0x7f800001
	s_mov_b32 s28, exec_lo
	s_delay_alu instid0(VALU_DEP_2)
	v_cmpx_ne_u32_e32 0x7f, v26
	s_cbranch_execz .LBB6_1006
; %bb.1005:                             ;   in Loop: Header=BB6_128 Depth=2
	v_dual_lshrrev_b32 v31, 3, v26 :: v_dual_bitop2_b32 v3, 7, v29 bitop3:0x40
	v_cmp_gt_u32_e32 vcc_lo, 8, v26
	v_mov_b32_e32 v26, v29
	s_delay_alu instid0(VALU_DEP_3) | instskip(NEXT) | instid1(VALU_DEP_1)
	v_clz_i32_u32_e32 v3, v3
	v_min_u32_e32 v3, 32, v3
	s_delay_alu instid0(VALU_DEP_1) | instskip(SKIP_1) | instid1(VALU_DEP_2)
	v_sub_nc_u32_e32 v32, 29, v3
	v_subrev_nc_u32_e32 v3, 28, v3
	v_dual_mov_b32 v27, v97 :: v_dual_cndmask_b32 v31, v31, v32, vcc_lo
	s_delay_alu instid0(VALU_DEP_2) | instskip(NEXT) | instid1(VALU_DEP_1)
	v_cndmask_b32_e32 v3, 0, v3, vcc_lo
	v_lshlrev_b64_e32 v[32:33], v3, v[26:27]
	v_lshlrev_b32_e32 v3, 24, v26
	s_delay_alu instid0(VALU_DEP_4) | instskip(NEXT) | instid1(VALU_DEP_2)
	v_lshl_add_u32 v27, v31, 23, 0x3c000000
	v_and_b32_e32 v3, 0x80000000, v3
	s_delay_alu instid0(VALU_DEP_4) | instskip(NEXT) | instid1(VALU_DEP_1)
	v_lshlrev_b32_e32 v26, 20, v32
	v_and_b32_e32 v26, 0x700000, v26
	s_delay_alu instid0(VALU_DEP_1)
	v_or3_b32 v3, v26, v3, v27
.LBB6_1006:                             ;   in Loop: Header=BB6_128 Depth=2
	s_or_b32 exec_lo, exec_lo, s28
.LBB6_1007:                             ;   in Loop: Header=BB6_128 Depth=2
	s_delay_alu instid0(SALU_CYCLE_1)
	s_or_b32 exec_lo, exec_lo, s27
.LBB6_1008:                             ;   in Loop: Header=BB6_128 Depth=2
	s_delay_alu instid0(SALU_CYCLE_1) | instskip(NEXT) | instid1(VALU_DEP_1)
	s_or_b32 exec_lo, exec_lo, s10
	v_dual_mul_f32 v3, v2, v3 :: v_dual_mov_b32 v27, v97
                                        ; implicit-def: $vgpr110
	s_mov_b32 s10, exec_lo
	s_delay_alu instid0(VALU_DEP_1) | instskip(SKIP_1) | instid1(VALU_DEP_2)
	v_and_b32_e32 v26, 0x7f800000, v3
	v_lshrrev_b32_e32 v2, 24, v3
	v_cmpx_ne_u64_e32 0x7f800000, v[26:27]
	s_xor_b32 s27, exec_lo, s10
	s_cbranch_execz .LBB6_1022
; %bb.1009:                             ;   in Loop: Header=BB6_128 Depth=2
	v_and_b32_e32 v26, 0x7fffffff, v3
	v_mov_b32_e32 v27, v97
	v_and_b32_e32 v2, 0x80, v2
                                        ; implicit-def: $vgpr110
	s_mov_b32 s10, exec_lo
	s_delay_alu instid0(VALU_DEP_2)
	v_cmpx_gt_u64_e32 0x43e00001, v[26:27]
	s_xor_b32 s28, exec_lo, s10
	s_cbranch_execz .LBB6_1019
; %bb.1010:                             ;   in Loop: Header=BB6_128 Depth=2
	v_mov_b32_e32 v110, 0
	s_mov_b32 s29, exec_lo
	v_cmpx_ne_u32_e32 0, v3
	s_cbranch_execz .LBB6_1018
; %bb.1011:                             ;   in Loop: Header=BB6_128 Depth=2
	v_bfe_u32 v31, v3, 23, 8
	v_and_b32_e32 v3, 0x7fffff, v3
	s_mov_b32 s40, exec_lo
	s_delay_alu instid0(VALU_DEP_2) | instskip(SKIP_1) | instid1(VALU_DEP_3)
	v_dual_mov_b32 v33, v97 :: v_dual_sub_nc_u32 v26, 0x79, v31
	v_cmp_gt_u32_e32 vcc_lo, 0x7a, v31
	v_or_b32_e32 v32, 0x800000, v3
	s_delay_alu instid0(VALU_DEP_3) | instskip(SKIP_1) | instid1(VALU_DEP_3)
	v_cndmask_b32_e32 v26, 0, v26, vcc_lo
	v_cmp_eq_u32_e32 vcc_lo, 0, v31
	v_cndmask_b32_e32 v32, v32, v3, vcc_lo
	s_delay_alu instid0(VALU_DEP_3) | instskip(NEXT) | instid1(VALU_DEP_1)
	v_cndmask_b32_e64 v54, v26, 0x78, vcc_lo
	v_dual_add_nc_u32 v26, 20, v54 :: v_dual_add_nc_u32 v55, 19, v54
	s_delay_alu instid0(VALU_DEP_1) | instskip(NEXT) | instid1(VALU_DEP_2)
	v_lshlrev_b64_e64 v[26:27], v26, -1
	v_lshlrev_b64_e64 v[112:113], v55, 1
	s_delay_alu instid0(VALU_DEP_2) | instskip(NEXT) | instid1(VALU_DEP_3)
	v_bfi_b32 v73, v27, 0, 0
	v_bfi_b32 v72, v26, 0, v32
	v_lshrrev_b64 v[26:27], v54, v[32:33]
	s_delay_alu instid0(VALU_DEP_1) | instskip(NEXT) | instid1(VALU_DEP_3)
	v_mov_b64_e32 v[32:33], v[26:27]
	v_cmpx_eq_u64_e64 v[72:73], v[112:113]
; %bb.1012:                             ;   in Loop: Header=BB6_128 Depth=2
	v_bfe_u32 v32, v26, 20, 1
	v_mov_b32_e32 v33, v97
	s_delay_alu instid0(VALU_DEP_1) | instskip(NEXT) | instid1(VALU_DEP_1)
	v_add_nc_u64_e32 v[32:33], v[26:27], v[32:33]
	v_add_nc_u64_e32 v[32:33], -1, v[32:33]
; %bb.1013:                             ;   in Loop: Header=BB6_128 Depth=2
	s_or_b32 exec_lo, exec_lo, s40
	v_add_nc_u32_e32 v3, 0xffffff81, v31
	v_lshrrev_b32_e32 v27, 23, v26
	s_mov_b32 s10, exec_lo
	s_delay_alu instid0(VALU_DEP_2) | instskip(NEXT) | instid1(VALU_DEP_1)
	v_cndmask_b32_e64 v3, v3, 0xffffff82, vcc_lo
	v_add3_u32 v31, v54, v3, v27
	v_and_b32_e32 v3, 0xfffff, v32
	s_delay_alu instid0(VALU_DEP_2) | instskip(NEXT) | instid1(VALU_DEP_2)
	v_dual_mov_b32 v27, v97 :: v_dual_add_nc_u32 v32, 6, v31
	v_add_nc_u32_e32 v26, v3, v26
                                        ; implicit-def: $vgpr3
	s_delay_alu instid0(VALU_DEP_2)
	v_cmpx_ne_u32_e32 0, v32
	s_xor_b32 s10, exec_lo, s10
; %bb.1014:                             ;   in Loop: Header=BB6_128 Depth=2
	s_delay_alu instid0(VALU_DEP_2) | instskip(SKIP_2) | instid1(VALU_DEP_2)
	v_cmp_lt_u64_e32 vcc_lo, 0xffffff, v[26:27]
	v_add_nc_u32_e32 v3, 7, v31
	v_cndmask_b32_e64 v31, 0, 1, vcc_lo
	v_cndmask_b32_e32 v3, v32, v3, vcc_lo
	s_delay_alu instid0(VALU_DEP_2)
	v_lshrrev_b64 v[26:27], v31, v[26:27]
; %bb.1015:                             ;   in Loop: Header=BB6_128 Depth=2
	s_and_not1_saveexec_b32 s10, s10
; %bb.1016:                             ;   in Loop: Header=BB6_128 Depth=2
	s_delay_alu instid0(VALU_DEP_1)
	v_bfe_u32 v3, v26, 23, 1
; %bb.1017:                             ;   in Loop: Header=BB6_128 Depth=2
	s_or_b32 exec_lo, exec_lo, s10
	s_delay_alu instid0(VALU_DEP_2) | instskip(NEXT) | instid1(VALU_DEP_2)
	v_lshrrev_b64 v[26:27], 20, v[26:27]
	v_cmp_gt_i32_e32 vcc_lo, 16, v3
	v_min_i32_e32 v31, 15, v3
	v_cmp_eq_u32_e64 s10, 0, v3
	s_delay_alu instid0(VALU_DEP_2) | instskip(SKIP_1) | instid1(VALU_DEP_2)
	v_dual_cndmask_b32 v26, 7, v26 :: v_dual_lshlrev_b32 v31, 3, v31
	v_cndmask_b32_e32 v27, 0, v27, vcc_lo
	v_and_b32_e32 v31, 0xf8, v31
	s_delay_alu instid0(VALU_DEP_2) | instskip(NEXT) | instid1(VALU_DEP_2)
	v_cmp_eq_u64_e32 vcc_lo, 0, v[26:27]
	v_and_or_b32 v3, v26, 7, v31
	s_and_b32 s10, s10, vcc_lo
	s_delay_alu instid0(VALU_DEP_1) | instid1(SALU_CYCLE_1)
	v_cndmask_b32_e64 v3, v3, 0, s10
	s_delay_alu instid0(VALU_DEP_1)
	v_or_b32_e32 v110, v3, v2
.LBB6_1018:                             ;   in Loop: Header=BB6_128 Depth=2
	s_or_b32 exec_lo, exec_lo, s29
                                        ; implicit-def: $vgpr2
.LBB6_1019:                             ;   in Loop: Header=BB6_128 Depth=2
	s_and_not1_saveexec_b32 s10, s28
; %bb.1020:                             ;   in Loop: Header=BB6_128 Depth=2
	v_or_b32_e32 v110, 0x7e, v2
; %bb.1021:                             ;   in Loop: Header=BB6_128 Depth=2
	s_or_b32 exec_lo, exec_lo, s10
                                        ; implicit-def: $vgpr2
.LBB6_1022:                             ;   in Loop: Header=BB6_128 Depth=2
	s_and_not1_saveexec_b32 s10, s27
; %bb.1023:                             ;   in Loop: Header=BB6_128 Depth=2
	v_or_b32_e32 v110, 0x7f, v2
; %bb.1024:                             ;   in Loop: Header=BB6_128 Depth=2
	s_or_b32 exec_lo, exec_lo, s10
	v_lshrrev_b16 v26, 8, v96
	v_dual_mov_b32 v2, 0 :: v_dual_mov_b32 v3, 0
	s_mov_b32 s10, exec_lo
	s_delay_alu instid0(VALU_DEP_2)
	v_cmpx_ne_u16_e32 0, v26
	s_cbranch_execz .LBB6_1032
; %bb.1025:                             ;   in Loop: Header=BB6_128 Depth=2
	v_bfrev_b32_e32 v3, 1
	s_mov_b32 s27, exec_lo
	v_cmpx_ne_u16_e32 0x80, v26
	s_cbranch_execz .LBB6_1031
; %bb.1026:                             ;   in Loop: Header=BB6_128 Depth=2
	v_and_b32_e32 v26, 0xffff, v26
	v_mov_b32_e32 v3, 0x7f800001
	s_mov_b32 s28, exec_lo
	s_delay_alu instid0(VALU_DEP_2) | instskip(NEXT) | instid1(VALU_DEP_1)
	v_and_b32_e32 v31, 0x7f, v26
	v_cmpx_ne_u32_e32 0x7f, v31
	s_cbranch_execz .LBB6_1030
; %bb.1027:                             ;   in Loop: Header=BB6_128 Depth=2
	v_dual_mov_b32 v27, v97 :: v_dual_bitop2_b32 v26, 7, v26 bitop3:0x40
	v_lshrrev_b32_e32 v3, 3, v31
	s_mov_b32 s29, exec_lo
	v_cmpx_gt_u32_e32 8, v31
; %bb.1028:                             ;   in Loop: Header=BB6_128 Depth=2
	s_delay_alu instid0(VALU_DEP_3) | instskip(NEXT) | instid1(VALU_DEP_1)
	v_clz_i32_u32_e32 v3, v26
	v_min_u32_e32 v3, 32, v3
	s_delay_alu instid0(VALU_DEP_1) | instskip(NEXT) | instid1(VALU_DEP_1)
	v_subrev_nc_u32_e32 v31, 28, v3
	v_lshlrev_b64_e32 v[26:27], v31, v[26:27]
	s_delay_alu instid0(VALU_DEP_1)
	v_dual_sub_nc_u32 v3, 29, v3 :: v_dual_bitop2_b32 v26, 7, v26 bitop3:0x40
; %bb.1029:                             ;   in Loop: Header=BB6_128 Depth=2
	s_or_b32 exec_lo, exec_lo, s29
	s_delay_alu instid0(VALU_DEP_1) | instskip(NEXT) | instid1(VALU_DEP_2)
	v_dual_lshlrev_b32 v27, 16, v96 :: v_dual_lshlrev_b32 v26, 20, v26
	v_lshl_add_u32 v3, v3, 23, 0x3c000000
	s_delay_alu instid0(VALU_DEP_2) | instskip(NEXT) | instid1(VALU_DEP_1)
	v_and_b32_e32 v27, 0x80000000, v27
	v_or3_b32 v3, v26, v27, v3
.LBB6_1030:                             ;   in Loop: Header=BB6_128 Depth=2
	s_or_b32 exec_lo, exec_lo, s28
.LBB6_1031:                             ;   in Loop: Header=BB6_128 Depth=2
	s_delay_alu instid0(SALU_CYCLE_1)
	s_or_b32 exec_lo, exec_lo, s27
.LBB6_1032:                             ;   in Loop: Header=BB6_128 Depth=2
	s_delay_alu instid0(SALU_CYCLE_1) | instskip(SKIP_2) | instid1(VALU_DEP_1)
	s_or_b32 exec_lo, exec_lo, s10
	v_lshrrev_b16 v26, 8, v29
	s_mov_b32 s10, exec_lo
	v_cmpx_ne_u16_e32 0, v26
	s_cbranch_execz .LBB6_1040
; %bb.1033:                             ;   in Loop: Header=BB6_128 Depth=2
	v_bfrev_b32_e32 v2, 1
	s_mov_b32 s27, exec_lo
	v_cmpx_ne_u16_e32 0x80, v26
	s_cbranch_execz .LBB6_1039
; %bb.1034:                             ;   in Loop: Header=BB6_128 Depth=2
	v_and_b32_e32 v27, 0xffff, v26
	v_mov_b32_e32 v2, 0x7f800001
	s_mov_b32 s28, exec_lo
	s_delay_alu instid0(VALU_DEP_2) | instskip(NEXT) | instid1(VALU_DEP_1)
	v_and_b32_e32 v26, 0x7f, v27
	v_cmpx_ne_u32_e32 0x7f, v26
	s_cbranch_execz .LBB6_1038
; %bb.1035:                             ;   in Loop: Header=BB6_128 Depth=2
	v_dual_lshrrev_b32 v2, 3, v26 :: v_dual_bitop2_b32 v96, 7, v27 bitop3:0x40
	s_mov_b32 s29, exec_lo
	v_cmpx_gt_u32_e32 8, v26
; %bb.1036:                             ;   in Loop: Header=BB6_128 Depth=2
	s_delay_alu instid0(VALU_DEP_2) | instskip(NEXT) | instid1(VALU_DEP_1)
	v_clz_i32_u32_e32 v2, v96
	v_min_u32_e32 v2, 32, v2
	s_delay_alu instid0(VALU_DEP_1) | instskip(SKIP_1) | instid1(VALU_DEP_2)
	v_subrev_nc_u32_e32 v26, 28, v2
	v_sub_nc_u32_e32 v2, 29, v2
	v_lshlrev_b64_e32 v[26:27], v26, v[96:97]
	s_delay_alu instid0(VALU_DEP_1)
	v_and_b32_e32 v96, 7, v26
; %bb.1037:                             ;   in Loop: Header=BB6_128 Depth=2
	s_or_b32 exec_lo, exec_lo, s29
	s_delay_alu instid0(VALU_DEP_1) | instskip(SKIP_1) | instid1(VALU_DEP_2)
	v_dual_lshlrev_b32 v26, 16, v29 :: v_dual_lshlrev_b32 v27, 20, v96
	v_lshl_add_u32 v2, v2, 23, 0x3c000000
	v_and_b32_e32 v26, 0x80000000, v26
	s_delay_alu instid0(VALU_DEP_1)
	v_or3_b32 v2, v27, v26, v2
.LBB6_1038:                             ;   in Loop: Header=BB6_128 Depth=2
	s_or_b32 exec_lo, exec_lo, s28
.LBB6_1039:                             ;   in Loop: Header=BB6_128 Depth=2
	s_delay_alu instid0(SALU_CYCLE_1)
	s_or_b32 exec_lo, exec_lo, s27
.LBB6_1040:                             ;   in Loop: Header=BB6_128 Depth=2
	s_delay_alu instid0(SALU_CYCLE_1) | instskip(NEXT) | instid1(VALU_DEP_1)
	s_or_b32 exec_lo, exec_lo, s10
	v_mul_f32_e32 v3, v3, v2
                                        ; implicit-def: $vgpr111
	s_mov_b32 s10, exec_lo
	s_delay_alu instid0(VALU_DEP_1) | instskip(SKIP_1) | instid1(VALU_DEP_2)
	v_and_b32_e32 v96, 0x7f800000, v3
	v_lshrrev_b32_e32 v2, 24, v3
	v_cmpx_ne_u64_e32 0x7f800000, v[96:97]
	s_xor_b32 s27, exec_lo, s10
	s_cbranch_execz .LBB6_1054
; %bb.1041:                             ;   in Loop: Header=BB6_128 Depth=2
	v_and_b32_e32 v96, 0x7fffffff, v3
	v_and_b32_e32 v2, 0x80, v2
                                        ; implicit-def: $vgpr111
	s_mov_b32 s10, exec_lo
	s_delay_alu instid0(VALU_DEP_2)
	v_cmpx_gt_u64_e32 0x43e00001, v[96:97]
	s_xor_b32 s28, exec_lo, s10
	s_cbranch_execz .LBB6_1051
; %bb.1042:                             ;   in Loop: Header=BB6_128 Depth=2
	v_mov_b32_e32 v111, 0
	s_mov_b32 s29, exec_lo
	v_cmpx_ne_u32_e32 0, v3
	s_cbranch_execz .LBB6_1050
; %bb.1043:                             ;   in Loop: Header=BB6_128 Depth=2
	v_bfe_u32 v31, v3, 23, 8
	v_and_b32_e32 v3, 0x7fffff, v3
	s_delay_alu instid0(VALU_DEP_2) | instskip(SKIP_1) | instid1(VALU_DEP_3)
	v_sub_nc_u32_e32 v26, 0x79, v31
	v_cmp_gt_u32_e32 vcc_lo, 0x7a, v31
	v_or_b32_e32 v32, 0x800000, v3
	s_delay_alu instid0(VALU_DEP_3) | instskip(SKIP_1) | instid1(VALU_DEP_3)
	v_cndmask_b32_e32 v26, 0, v26, vcc_lo
	v_cmp_eq_u32_e32 vcc_lo, 0, v31
	v_cndmask_b32_e32 v96, v32, v3, vcc_lo
	s_delay_alu instid0(VALU_DEP_3) | instskip(NEXT) | instid1(VALU_DEP_1)
	v_cndmask_b32_e64 v54, v26, 0x78, vcc_lo
	v_dual_add_nc_u32 v26, 20, v54 :: v_dual_add_nc_u32 v33, 19, v54
	s_delay_alu instid0(VALU_DEP_1) | instskip(NEXT) | instid1(VALU_DEP_2)
	v_lshlrev_b64_e64 v[26:27], v26, -1
	v_lshlrev_b64_e64 v[32:33], v33, 1
	s_delay_alu instid0(VALU_DEP_2) | instskip(NEXT) | instid1(VALU_DEP_3)
	v_bfi_b32 v113, v27, 0, 0
	v_bfi_b32 v112, v26, 0, v96
	v_lshrrev_b64 v[26:27], v54, v[96:97]
	s_delay_alu instid0(VALU_DEP_2) | instskip(NEXT) | instid1(VALU_DEP_2)
	v_cmp_eq_u64_e64 s10, v[112:113], v[32:33]
	v_mov_b64_e32 v[32:33], v[26:27]
	s_and_saveexec_b32 s40, s10
; %bb.1044:                             ;   in Loop: Header=BB6_128 Depth=2
	v_bfe_u32 v96, v26, 20, 1
	s_delay_alu instid0(VALU_DEP_1) | instskip(NEXT) | instid1(VALU_DEP_1)
	v_add_nc_u64_e32 v[32:33], v[26:27], v[96:97]
	v_add_nc_u64_e32 v[32:33], -1, v[32:33]
; %bb.1045:                             ;   in Loop: Header=BB6_128 Depth=2
	s_or_b32 exec_lo, exec_lo, s40
	v_add_nc_u32_e32 v3, 0xffffff81, v31
	v_lshrrev_b32_e32 v27, 23, v26
	s_mov_b32 s10, exec_lo
	s_delay_alu instid0(VALU_DEP_2) | instskip(NEXT) | instid1(VALU_DEP_1)
	v_cndmask_b32_e64 v3, v3, 0xffffff82, vcc_lo
	v_add3_u32 v31, v54, v3, v27
	v_and_b32_e32 v3, 0xfffff, v32
	s_delay_alu instid0(VALU_DEP_1) | instskip(NEXT) | instid1(VALU_DEP_1)
	v_dual_add_nc_u32 v32, 6, v31 :: v_dual_add_nc_u32 v96, v3, v26
                                        ; implicit-def: $vgpr26_vgpr27
                                        ; implicit-def: $vgpr3
	v_cmpx_ne_u32_e32 0, v32
	s_xor_b32 s10, exec_lo, s10
; %bb.1046:                             ;   in Loop: Header=BB6_128 Depth=2
	s_delay_alu instid0(VALU_DEP_2) | instskip(SKIP_2) | instid1(VALU_DEP_2)
	v_cmp_lt_u64_e32 vcc_lo, 0xffffff, v[96:97]
	v_add_nc_u32_e32 v3, 7, v31
	v_cndmask_b32_e64 v26, 0, 1, vcc_lo
	v_cndmask_b32_e32 v3, v32, v3, vcc_lo
	s_delay_alu instid0(VALU_DEP_2)
	v_lshrrev_b64 v[26:27], v26, v[96:97]
; %bb.1047:                             ;   in Loop: Header=BB6_128 Depth=2
	s_and_not1_saveexec_b32 s10, s10
; %bb.1048:                             ;   in Loop: Header=BB6_128 Depth=2
	v_mov_b64_e32 v[26:27], v[96:97]
	v_bfe_u32 v3, v96, 23, 1
; %bb.1049:                             ;   in Loop: Header=BB6_128 Depth=2
	s_or_b32 exec_lo, exec_lo, s10
	s_delay_alu instid0(VALU_DEP_2) | instskip(NEXT) | instid1(VALU_DEP_2)
	v_lshrrev_b64 v[26:27], 20, v[26:27]
	v_cmp_gt_i32_e32 vcc_lo, 16, v3
	v_min_i32_e32 v31, 15, v3
	v_cmp_eq_u32_e64 s10, 0, v3
	s_delay_alu instid0(VALU_DEP_2) | instskip(SKIP_1) | instid1(VALU_DEP_2)
	v_dual_cndmask_b32 v26, 7, v26 :: v_dual_lshlrev_b32 v31, 3, v31
	v_cndmask_b32_e32 v27, 0, v27, vcc_lo
	v_and_b32_e32 v31, 0xf8, v31
	s_delay_alu instid0(VALU_DEP_2) | instskip(NEXT) | instid1(VALU_DEP_2)
	v_cmp_eq_u64_e32 vcc_lo, 0, v[26:27]
	v_and_or_b32 v3, v26, 7, v31
	s_and_b32 s10, s10, vcc_lo
	s_delay_alu instid0(VALU_DEP_1) | instid1(SALU_CYCLE_1)
	v_cndmask_b32_e64 v3, v3, 0, s10
	s_delay_alu instid0(VALU_DEP_1)
	v_or_b32_e32 v111, v3, v2
.LBB6_1050:                             ;   in Loop: Header=BB6_128 Depth=2
	s_or_b32 exec_lo, exec_lo, s29
                                        ; implicit-def: $vgpr2
.LBB6_1051:                             ;   in Loop: Header=BB6_128 Depth=2
	s_and_not1_saveexec_b32 s10, s28
; %bb.1052:                             ;   in Loop: Header=BB6_128 Depth=2
	v_or_b32_e32 v111, 0x7e, v2
; %bb.1053:                             ;   in Loop: Header=BB6_128 Depth=2
	s_or_b32 exec_lo, exec_lo, s10
                                        ; implicit-def: $vgpr2
.LBB6_1054:                             ;   in Loop: Header=BB6_128 Depth=2
	s_and_not1_saveexec_b32 s10, s27
; %bb.1055:                             ;   in Loop: Header=BB6_128 Depth=2
	v_or_b32_e32 v111, 0x7f, v2
; %bb.1056:                             ;   in Loop: Header=BB6_128 Depth=2
	s_or_b32 exec_lo, exec_lo, s10
	v_dual_lshrrev_b32 v26, 16, v35 :: v_dual_mov_b32 v2, 0
	v_mov_b32_e32 v3, 0
	s_mov_b32 s10, exec_lo
	s_delay_alu instid0(VALU_DEP_2) | instskip(NEXT) | instid1(VALU_DEP_1)
	v_and_b32_e32 v27, 0xff, v26
	v_cmpx_ne_u16_e32 0, v27
	s_cbranch_execz .LBB6_1064
; %bb.1057:                             ;   in Loop: Header=BB6_128 Depth=2
	v_bfrev_b32_e32 v3, 1
	s_mov_b32 s27, exec_lo
	v_cmpx_ne_u16_e32 0x80, v27
	s_cbranch_execz .LBB6_1063
; %bb.1058:                             ;   in Loop: Header=BB6_128 Depth=2
	v_bfe_u32 v27, v35, 16, 7
	v_mov_b32_e32 v3, 0x7f800001
	s_mov_b32 s28, exec_lo
	s_delay_alu instid0(VALU_DEP_2)
	v_cmpx_ne_u32_e32 0x7f, v27
	s_cbranch_execz .LBB6_1062
; %bb.1059:                             ;   in Loop: Header=BB6_128 Depth=2
	v_dual_lshrrev_b32 v3, 3, v27 :: v_dual_bitop2_b32 v96, 7, v26 bitop3:0x40
	s_mov_b32 s29, exec_lo
	v_cmpx_gt_u32_e32 8, v27
; %bb.1060:                             ;   in Loop: Header=BB6_128 Depth=2
	s_delay_alu instid0(VALU_DEP_2) | instskip(NEXT) | instid1(VALU_DEP_1)
	v_clz_i32_u32_e32 v3, v96
	v_min_u32_e32 v3, 32, v3
	s_delay_alu instid0(VALU_DEP_1) | instskip(NEXT) | instid1(VALU_DEP_1)
	v_subrev_nc_u32_e32 v27, 28, v3
	v_lshlrev_b64_e32 v[32:33], v27, v[96:97]
	s_delay_alu instid0(VALU_DEP_1)
	v_dual_sub_nc_u32 v3, 29, v3 :: v_dual_bitop2_b32 v96, 7, v32 bitop3:0x40
; %bb.1061:                             ;   in Loop: Header=BB6_128 Depth=2
	s_or_b32 exec_lo, exec_lo, s29
	s_delay_alu instid0(VALU_DEP_1) | instskip(NEXT) | instid1(VALU_DEP_2)
	v_dual_lshlrev_b32 v26, 24, v26 :: v_dual_lshlrev_b32 v27, 20, v96
	v_lshl_add_u32 v3, v3, 23, 0x3c000000
	s_delay_alu instid0(VALU_DEP_2) | instskip(NEXT) | instid1(VALU_DEP_1)
	v_and_b32_e32 v26, 0x80000000, v26
	v_or3_b32 v3, v27, v26, v3
.LBB6_1062:                             ;   in Loop: Header=BB6_128 Depth=2
	s_or_b32 exec_lo, exec_lo, s28
.LBB6_1063:                             ;   in Loop: Header=BB6_128 Depth=2
	s_delay_alu instid0(SALU_CYCLE_1)
	s_or_b32 exec_lo, exec_lo, s27
.LBB6_1064:                             ;   in Loop: Header=BB6_128 Depth=2
	s_delay_alu instid0(SALU_CYCLE_1) | instskip(SKIP_2) | instid1(VALU_DEP_1)
	s_or_b32 exec_lo, exec_lo, s10
	v_lshrrev_b32_e32 v26, 16, v29
	s_mov_b32 s10, exec_lo
	v_and_b32_e32 v27, 0xff, v26
	s_delay_alu instid0(VALU_DEP_1)
	v_cmpx_ne_u16_e32 0, v27
	s_cbranch_execz .LBB6_1072
; %bb.1065:                             ;   in Loop: Header=BB6_128 Depth=2
	v_bfrev_b32_e32 v2, 1
	s_mov_b32 s27, exec_lo
	v_cmpx_ne_u16_e32 0x80, v27
	s_cbranch_execz .LBB6_1071
; %bb.1066:                             ;   in Loop: Header=BB6_128 Depth=2
	v_bfe_u32 v27, v29, 16, 7
	v_mov_b32_e32 v2, 0x7f800001
	s_mov_b32 s28, exec_lo
	s_delay_alu instid0(VALU_DEP_2)
	v_cmpx_ne_u32_e32 0x7f, v27
	s_cbranch_execz .LBB6_1070
; %bb.1067:                             ;   in Loop: Header=BB6_128 Depth=2
	v_dual_lshrrev_b32 v2, 3, v27 :: v_dual_bitop2_b32 v96, 7, v26 bitop3:0x40
	s_mov_b32 s29, exec_lo
	v_cmpx_gt_u32_e32 8, v27
; %bb.1068:                             ;   in Loop: Header=BB6_128 Depth=2
	s_delay_alu instid0(VALU_DEP_2) | instskip(NEXT) | instid1(VALU_DEP_1)
	v_clz_i32_u32_e32 v2, v96
	v_min_u32_e32 v2, 32, v2
	s_delay_alu instid0(VALU_DEP_1) | instskip(SKIP_1) | instid1(VALU_DEP_2)
	v_subrev_nc_u32_e32 v26, 28, v2
	v_sub_nc_u32_e32 v2, 29, v2
	v_lshlrev_b64_e32 v[26:27], v26, v[96:97]
	s_delay_alu instid0(VALU_DEP_1)
	v_and_b32_e32 v96, 7, v26
; %bb.1069:                             ;   in Loop: Header=BB6_128 Depth=2
	s_or_b32 exec_lo, exec_lo, s29
	s_delay_alu instid0(VALU_DEP_1) | instskip(SKIP_1) | instid1(VALU_DEP_2)
	v_dual_lshlrev_b32 v26, 8, v29 :: v_dual_lshlrev_b32 v27, 20, v96
	v_lshl_add_u32 v2, v2, 23, 0x3c000000
	v_and_b32_e32 v26, 0x80000000, v26
	s_delay_alu instid0(VALU_DEP_1)
	v_or3_b32 v2, v27, v26, v2
.LBB6_1070:                             ;   in Loop: Header=BB6_128 Depth=2
	s_or_b32 exec_lo, exec_lo, s28
.LBB6_1071:                             ;   in Loop: Header=BB6_128 Depth=2
	s_delay_alu instid0(SALU_CYCLE_1)
	s_or_b32 exec_lo, exec_lo, s27
.LBB6_1072:                             ;   in Loop: Header=BB6_128 Depth=2
	s_delay_alu instid0(SALU_CYCLE_1) | instskip(NEXT) | instid1(VALU_DEP_1)
	s_or_b32 exec_lo, exec_lo, s10
	v_mul_f32_e32 v3, v3, v2
                                        ; implicit-def: $vgpr32
	s_mov_b32 s10, exec_lo
	s_delay_alu instid0(VALU_DEP_1) | instskip(SKIP_1) | instid1(VALU_DEP_2)
	v_and_b32_e32 v96, 0x7f800000, v3
	v_lshrrev_b32_e32 v2, 24, v3
	v_cmpx_ne_u64_e32 0x7f800000, v[96:97]
	s_xor_b32 s27, exec_lo, s10
	s_cbranch_execz .LBB6_1086
; %bb.1073:                             ;   in Loop: Header=BB6_128 Depth=2
	v_and_b32_e32 v96, 0x7fffffff, v3
	v_and_b32_e32 v2, 0x80, v2
                                        ; implicit-def: $vgpr32
	s_mov_b32 s10, exec_lo
	s_delay_alu instid0(VALU_DEP_2)
	v_cmpx_gt_u64_e32 0x43e00001, v[96:97]
	s_xor_b32 s28, exec_lo, s10
	s_cbranch_execz .LBB6_1083
; %bb.1074:                             ;   in Loop: Header=BB6_128 Depth=2
	v_mov_b32_e32 v32, 0
	s_mov_b32 s29, exec_lo
	v_cmpx_ne_u32_e32 0, v3
	s_cbranch_execz .LBB6_1082
; %bb.1075:                             ;   in Loop: Header=BB6_128 Depth=2
	v_bfe_u32 v31, v3, 23, 8
	v_and_b32_e32 v3, 0x7fffff, v3
	s_delay_alu instid0(VALU_DEP_2) | instskip(SKIP_1) | instid1(VALU_DEP_3)
	v_sub_nc_u32_e32 v26, 0x79, v31
	v_cmp_gt_u32_e32 vcc_lo, 0x7a, v31
	v_or_b32_e32 v32, 0x800000, v3
	s_delay_alu instid0(VALU_DEP_3) | instskip(SKIP_1) | instid1(VALU_DEP_3)
	v_cndmask_b32_e32 v26, 0, v26, vcc_lo
	v_cmp_eq_u32_e32 vcc_lo, 0, v31
	v_cndmask_b32_e32 v96, v32, v3, vcc_lo
	s_delay_alu instid0(VALU_DEP_3) | instskip(NEXT) | instid1(VALU_DEP_1)
	v_cndmask_b32_e64 v54, v26, 0x78, vcc_lo
	v_dual_add_nc_u32 v26, 20, v54 :: v_dual_add_nc_u32 v33, 19, v54
	s_delay_alu instid0(VALU_DEP_1) | instskip(NEXT) | instid1(VALU_DEP_2)
	v_lshlrev_b64_e64 v[26:27], v26, -1
	v_lshlrev_b64_e64 v[32:33], v33, 1
	s_delay_alu instid0(VALU_DEP_2) | instskip(NEXT) | instid1(VALU_DEP_3)
	v_bfi_b32 v113, v27, 0, 0
	v_bfi_b32 v112, v26, 0, v96
	v_lshrrev_b64 v[26:27], v54, v[96:97]
	s_delay_alu instid0(VALU_DEP_2) | instskip(NEXT) | instid1(VALU_DEP_2)
	v_cmp_eq_u64_e64 s10, v[112:113], v[32:33]
	v_mov_b64_e32 v[32:33], v[26:27]
	s_and_saveexec_b32 s40, s10
; %bb.1076:                             ;   in Loop: Header=BB6_128 Depth=2
	v_bfe_u32 v96, v26, 20, 1
	s_delay_alu instid0(VALU_DEP_1) | instskip(NEXT) | instid1(VALU_DEP_1)
	v_add_nc_u64_e32 v[32:33], v[26:27], v[96:97]
	v_add_nc_u64_e32 v[32:33], -1, v[32:33]
; %bb.1077:                             ;   in Loop: Header=BB6_128 Depth=2
	s_or_b32 exec_lo, exec_lo, s40
	v_add_nc_u32_e32 v3, 0xffffff81, v31
	v_lshrrev_b32_e32 v27, 23, v26
	s_mov_b32 s10, exec_lo
	s_delay_alu instid0(VALU_DEP_2) | instskip(NEXT) | instid1(VALU_DEP_1)
	v_cndmask_b32_e64 v3, v3, 0xffffff82, vcc_lo
	v_add3_u32 v31, v54, v3, v27
	v_and_b32_e32 v3, 0xfffff, v32
	s_delay_alu instid0(VALU_DEP_1) | instskip(NEXT) | instid1(VALU_DEP_1)
	v_dual_add_nc_u32 v32, 6, v31 :: v_dual_add_nc_u32 v96, v3, v26
                                        ; implicit-def: $vgpr26_vgpr27
                                        ; implicit-def: $vgpr3
	v_cmpx_ne_u32_e32 0, v32
	s_xor_b32 s10, exec_lo, s10
; %bb.1078:                             ;   in Loop: Header=BB6_128 Depth=2
	s_delay_alu instid0(VALU_DEP_2) | instskip(SKIP_2) | instid1(VALU_DEP_2)
	v_cmp_lt_u64_e32 vcc_lo, 0xffffff, v[96:97]
	v_add_nc_u32_e32 v3, 7, v31
	v_cndmask_b32_e64 v26, 0, 1, vcc_lo
	v_cndmask_b32_e32 v3, v32, v3, vcc_lo
	s_delay_alu instid0(VALU_DEP_2)
	v_lshrrev_b64 v[26:27], v26, v[96:97]
; %bb.1079:                             ;   in Loop: Header=BB6_128 Depth=2
	s_and_not1_saveexec_b32 s10, s10
; %bb.1080:                             ;   in Loop: Header=BB6_128 Depth=2
	v_mov_b64_e32 v[26:27], v[96:97]
	v_bfe_u32 v3, v96, 23, 1
; %bb.1081:                             ;   in Loop: Header=BB6_128 Depth=2
	s_or_b32 exec_lo, exec_lo, s10
	s_delay_alu instid0(VALU_DEP_2) | instskip(NEXT) | instid1(VALU_DEP_2)
	v_lshrrev_b64 v[26:27], 20, v[26:27]
	v_cmp_gt_i32_e32 vcc_lo, 16, v3
	v_min_i32_e32 v31, 15, v3
	v_cmp_eq_u32_e64 s10, 0, v3
	s_delay_alu instid0(VALU_DEP_2) | instskip(SKIP_1) | instid1(VALU_DEP_2)
	v_dual_cndmask_b32 v26, 7, v26 :: v_dual_lshlrev_b32 v31, 3, v31
	v_cndmask_b32_e32 v27, 0, v27, vcc_lo
	v_and_b32_e32 v31, 0xf8, v31
	s_delay_alu instid0(VALU_DEP_2) | instskip(NEXT) | instid1(VALU_DEP_2)
	v_cmp_eq_u64_e32 vcc_lo, 0, v[26:27]
	v_and_or_b32 v3, v26, 7, v31
	s_and_b32 s10, s10, vcc_lo
	s_delay_alu instid0(VALU_DEP_1) | instid1(SALU_CYCLE_1)
	v_cndmask_b32_e64 v3, v3, 0, s10
	s_delay_alu instid0(VALU_DEP_1)
	v_or_b32_e32 v32, v3, v2
.LBB6_1082:                             ;   in Loop: Header=BB6_128 Depth=2
	s_or_b32 exec_lo, exec_lo, s29
                                        ; implicit-def: $vgpr2
.LBB6_1083:                             ;   in Loop: Header=BB6_128 Depth=2
	s_and_not1_saveexec_b32 s10, s28
; %bb.1084:                             ;   in Loop: Header=BB6_128 Depth=2
	v_or_b32_e32 v32, 0x7e, v2
; %bb.1085:                             ;   in Loop: Header=BB6_128 Depth=2
	s_or_b32 exec_lo, exec_lo, s10
                                        ; implicit-def: $vgpr2
.LBB6_1086:                             ;   in Loop: Header=BB6_128 Depth=2
	s_and_not1_saveexec_b32 s10, s27
; %bb.1087:                             ;   in Loop: Header=BB6_128 Depth=2
	v_or_b32_e32 v32, 0x7f, v2
; %bb.1088:                             ;   in Loop: Header=BB6_128 Depth=2
	s_or_b32 exec_lo, exec_lo, s10
	v_dual_mov_b32 v2, 0 :: v_dual_mov_b32 v3, 0
	s_mov_b32 s10, exec_lo
	v_cmpx_lt_u64_e64 s[14:15], v[34:35]
	s_cbranch_execz .LBB6_1096
; %bb.1089:                             ;   in Loop: Header=BB6_128 Depth=2
	v_lshrrev_b32_e32 v26, 24, v35
	v_bfrev_b32_e32 v3, 1
	s_mov_b32 s27, exec_lo
	s_delay_alu instid0(VALU_DEP_2)
	v_cmpx_ne_u32_e32 0x80, v26
	s_cbranch_execz .LBB6_1095
; %bb.1090:                             ;   in Loop: Header=BB6_128 Depth=2
	v_bfe_u32 v27, v35, 24, 7
	v_mov_b32_e32 v3, 0x7f800001
	s_mov_b32 s28, exec_lo
	s_delay_alu instid0(VALU_DEP_2)
	v_cmpx_ne_u32_e32 0x7f, v27
	s_cbranch_execz .LBB6_1094
; %bb.1091:                             ;   in Loop: Header=BB6_128 Depth=2
	v_dual_lshrrev_b32 v3, 3, v27 :: v_dual_bitop2_b32 v96, 7, v26 bitop3:0x40
	s_mov_b32 s29, exec_lo
	v_cmpx_gt_u32_e32 8, v27
; %bb.1092:                             ;   in Loop: Header=BB6_128 Depth=2
	s_delay_alu instid0(VALU_DEP_2) | instskip(NEXT) | instid1(VALU_DEP_1)
	v_clz_i32_u32_e32 v3, v96
	v_min_u32_e32 v3, 32, v3
	s_delay_alu instid0(VALU_DEP_1) | instskip(NEXT) | instid1(VALU_DEP_1)
	v_subrev_nc_u32_e32 v27, 28, v3
	v_lshlrev_b64_e32 v[34:35], v27, v[96:97]
	s_delay_alu instid0(VALU_DEP_1)
	v_dual_sub_nc_u32 v3, 29, v3 :: v_dual_bitop2_b32 v96, 7, v34 bitop3:0x40
; %bb.1093:                             ;   in Loop: Header=BB6_128 Depth=2
	s_or_b32 exec_lo, exec_lo, s29
	s_delay_alu instid0(VALU_DEP_1) | instskip(NEXT) | instid1(VALU_DEP_2)
	v_dual_lshlrev_b32 v26, 24, v26 :: v_dual_lshlrev_b32 v27, 20, v96
	v_lshl_add_u32 v3, v3, 23, 0x3c000000
	s_delay_alu instid0(VALU_DEP_2) | instskip(NEXT) | instid1(VALU_DEP_1)
	v_and_b32_e32 v26, 0x80000000, v26
	v_or3_b32 v3, v27, v26, v3
.LBB6_1094:                             ;   in Loop: Header=BB6_128 Depth=2
	s_or_b32 exec_lo, exec_lo, s28
.LBB6_1095:                             ;   in Loop: Header=BB6_128 Depth=2
	s_delay_alu instid0(SALU_CYCLE_1)
	s_or_b32 exec_lo, exec_lo, s27
.LBB6_1096:                             ;   in Loop: Header=BB6_128 Depth=2
	s_delay_alu instid0(SALU_CYCLE_1) | instskip(NEXT) | instid1(SALU_CYCLE_1)
	s_or_b32 exec_lo, exec_lo, s10
	s_mov_b32 s10, exec_lo
	v_cmpx_lt_u64_e64 s[14:15], v[28:29]
	s_cbranch_execz .LBB6_1104
; %bb.1097:                             ;   in Loop: Header=BB6_128 Depth=2
	v_lshrrev_b32_e32 v26, 24, v29
	v_bfrev_b32_e32 v2, 1
	s_mov_b32 s27, exec_lo
	s_delay_alu instid0(VALU_DEP_2)
	v_cmpx_ne_u32_e32 0x80, v26
	s_cbranch_execz .LBB6_1103
; %bb.1098:                             ;   in Loop: Header=BB6_128 Depth=2
	v_bfe_u32 v27, v29, 24, 7
	v_mov_b32_e32 v2, 0x7f800001
	s_mov_b32 s28, exec_lo
	s_delay_alu instid0(VALU_DEP_2)
	v_cmpx_ne_u32_e32 0x7f, v27
	s_cbranch_execz .LBB6_1102
; %bb.1099:                             ;   in Loop: Header=BB6_128 Depth=2
	v_dual_lshrrev_b32 v2, 3, v27 :: v_dual_bitop2_b32 v96, 7, v26 bitop3:0x40
	s_mov_b32 s29, exec_lo
	v_cmpx_gt_u32_e32 8, v27
; %bb.1100:                             ;   in Loop: Header=BB6_128 Depth=2
	s_delay_alu instid0(VALU_DEP_2) | instskip(NEXT) | instid1(VALU_DEP_1)
	v_clz_i32_u32_e32 v2, v96
	v_min_u32_e32 v2, 32, v2
	s_delay_alu instid0(VALU_DEP_1) | instskip(NEXT) | instid1(VALU_DEP_1)
	v_subrev_nc_u32_e32 v27, 28, v2
	v_lshlrev_b64_e32 v[28:29], v27, v[96:97]
	s_delay_alu instid0(VALU_DEP_1)
	v_dual_sub_nc_u32 v2, 29, v2 :: v_dual_bitop2_b32 v96, 7, v28 bitop3:0x40
; %bb.1101:                             ;   in Loop: Header=BB6_128 Depth=2
	s_or_b32 exec_lo, exec_lo, s29
	s_delay_alu instid0(VALU_DEP_1) | instskip(NEXT) | instid1(VALU_DEP_2)
	v_dual_lshlrev_b32 v26, 24, v26 :: v_dual_lshlrev_b32 v27, 20, v96
	v_lshl_add_u32 v2, v2, 23, 0x3c000000
	s_delay_alu instid0(VALU_DEP_2) | instskip(NEXT) | instid1(VALU_DEP_1)
	v_and_b32_e32 v26, 0x80000000, v26
	v_or3_b32 v2, v27, v26, v2
.LBB6_1102:                             ;   in Loop: Header=BB6_128 Depth=2
	s_or_b32 exec_lo, exec_lo, s28
.LBB6_1103:                             ;   in Loop: Header=BB6_128 Depth=2
	s_delay_alu instid0(SALU_CYCLE_1)
	s_or_b32 exec_lo, exec_lo, s27
.LBB6_1104:                             ;   in Loop: Header=BB6_128 Depth=2
	s_delay_alu instid0(SALU_CYCLE_1) | instskip(NEXT) | instid1(VALU_DEP_1)
	s_or_b32 exec_lo, exec_lo, s10
	v_mul_f32_e32 v3, v3, v2
                                        ; implicit-def: $vgpr33
	s_mov_b32 s10, exec_lo
	s_delay_alu instid0(VALU_DEP_1) | instskip(SKIP_1) | instid1(VALU_DEP_2)
	v_and_b32_e32 v96, 0x7f800000, v3
	v_lshrrev_b32_e32 v2, 24, v3
	v_cmpx_ne_u64_e32 0x7f800000, v[96:97]
	s_xor_b32 s27, exec_lo, s10
	s_cbranch_execz .LBB6_1118
; %bb.1105:                             ;   in Loop: Header=BB6_128 Depth=2
	v_and_b32_e32 v96, 0x7fffffff, v3
	v_and_b32_e32 v2, 0x80, v2
                                        ; implicit-def: $vgpr33
	s_mov_b32 s10, exec_lo
	s_delay_alu instid0(VALU_DEP_2)
	v_cmpx_gt_u64_e32 0x43e00001, v[96:97]
	s_xor_b32 s28, exec_lo, s10
	s_cbranch_execz .LBB6_1115
; %bb.1106:                             ;   in Loop: Header=BB6_128 Depth=2
	v_mov_b32_e32 v33, 0
	s_mov_b32 s29, exec_lo
	v_cmpx_ne_u32_e32 0, v3
	s_cbranch_execz .LBB6_1114
; %bb.1107:                             ;   in Loop: Header=BB6_128 Depth=2
	v_bfe_u32 v31, v3, 23, 8
	v_and_b32_e32 v3, 0x7fffff, v3
	s_delay_alu instid0(VALU_DEP_2) | instskip(SKIP_1) | instid1(VALU_DEP_3)
	v_sub_nc_u32_e32 v26, 0x79, v31
	v_cmp_gt_u32_e32 vcc_lo, 0x7a, v31
	v_or_b32_e32 v28, 0x800000, v3
	s_delay_alu instid0(VALU_DEP_3) | instskip(SKIP_1) | instid1(VALU_DEP_2)
	v_cndmask_b32_e32 v26, 0, v26, vcc_lo
	v_cmp_eq_u32_e32 vcc_lo, 0, v31
	v_cndmask_b32_e64 v33, v26, 0x78, vcc_lo
	s_delay_alu instid0(VALU_DEP_1) | instskip(SKIP_1) | instid1(VALU_DEP_2)
	v_dual_cndmask_b32 v96, v28, v3, vcc_lo :: v_dual_add_nc_u32 v26, 20, v33
	v_add_nc_u32_e32 v29, 19, v33
	v_lshlrev_b64_e64 v[26:27], v26, -1
	s_delay_alu instid0(VALU_DEP_2) | instskip(NEXT) | instid1(VALU_DEP_2)
	v_lshlrev_b64_e64 v[28:29], v29, 1
	v_bfi_b32 v35, v27, 0, 0
	s_delay_alu instid0(VALU_DEP_3) | instskip(SKIP_1) | instid1(VALU_DEP_2)
	v_bfi_b32 v34, v26, 0, v96
	v_lshrrev_b64 v[26:27], v33, v[96:97]
	v_cmp_eq_u64_e64 s10, v[34:35], v[28:29]
	s_delay_alu instid0(VALU_DEP_2)
	v_mov_b64_e32 v[28:29], v[26:27]
	s_and_saveexec_b32 s40, s10
; %bb.1108:                             ;   in Loop: Header=BB6_128 Depth=2
	v_bfe_u32 v96, v26, 20, 1
	s_delay_alu instid0(VALU_DEP_1) | instskip(NEXT) | instid1(VALU_DEP_1)
	v_add_nc_u64_e32 v[28:29], v[26:27], v[96:97]
	v_add_nc_u64_e32 v[28:29], -1, v[28:29]
; %bb.1109:                             ;   in Loop: Header=BB6_128 Depth=2
	s_or_b32 exec_lo, exec_lo, s40
	v_add_nc_u32_e32 v3, 0xffffff81, v31
	v_lshrrev_b32_e32 v27, 23, v26
	s_mov_b32 s10, exec_lo
	s_delay_alu instid0(VALU_DEP_2) | instskip(NEXT) | instid1(VALU_DEP_1)
	v_cndmask_b32_e64 v3, v3, 0xffffff82, vcc_lo
	v_add3_u32 v29, v33, v3, v27
	v_and_b32_e32 v3, 0xfffff, v28
	s_delay_alu instid0(VALU_DEP_1) | instskip(NEXT) | instid1(VALU_DEP_1)
	v_dual_add_nc_u32 v28, 6, v29 :: v_dual_add_nc_u32 v96, v3, v26
                                        ; implicit-def: $vgpr26_vgpr27
                                        ; implicit-def: $vgpr3
	v_cmpx_ne_u32_e32 0, v28
	s_xor_b32 s10, exec_lo, s10
; %bb.1110:                             ;   in Loop: Header=BB6_128 Depth=2
	s_delay_alu instid0(VALU_DEP_2) | instskip(SKIP_2) | instid1(VALU_DEP_2)
	v_cmp_lt_u64_e32 vcc_lo, 0xffffff, v[96:97]
	v_add_nc_u32_e32 v3, 7, v29
	v_cndmask_b32_e64 v26, 0, 1, vcc_lo
	v_cndmask_b32_e32 v3, v28, v3, vcc_lo
	s_delay_alu instid0(VALU_DEP_2)
	v_lshrrev_b64 v[26:27], v26, v[96:97]
; %bb.1111:                             ;   in Loop: Header=BB6_128 Depth=2
	s_and_not1_saveexec_b32 s10, s10
; %bb.1112:                             ;   in Loop: Header=BB6_128 Depth=2
	v_mov_b64_e32 v[26:27], v[96:97]
	v_bfe_u32 v3, v96, 23, 1
; %bb.1113:                             ;   in Loop: Header=BB6_128 Depth=2
	s_or_b32 exec_lo, exec_lo, s10
	s_delay_alu instid0(VALU_DEP_2) | instskip(NEXT) | instid1(VALU_DEP_2)
	v_lshrrev_b64 v[26:27], 20, v[26:27]
	v_cmp_gt_i32_e32 vcc_lo, 16, v3
	v_min_i32_e32 v28, 15, v3
	v_cmp_eq_u32_e64 s10, 0, v3
	s_delay_alu instid0(VALU_DEP_2) | instskip(SKIP_1) | instid1(VALU_DEP_2)
	v_dual_cndmask_b32 v26, 7, v26, vcc_lo :: v_dual_lshlrev_b32 v28, 3, v28
	v_cndmask_b32_e32 v27, 0, v27, vcc_lo
	v_and_b32_e32 v28, 0xf8, v28
	s_delay_alu instid0(VALU_DEP_2) | instskip(NEXT) | instid1(VALU_DEP_2)
	v_cmp_eq_u64_e32 vcc_lo, 0, v[26:27]
	v_and_or_b32 v3, v26, 7, v28
	s_and_b32 s10, s10, vcc_lo
	s_delay_alu instid0(VALU_DEP_1) | instid1(SALU_CYCLE_1)
	v_cndmask_b32_e64 v3, v3, 0, s10
	s_delay_alu instid0(VALU_DEP_1)
	v_or_b32_e32 v33, v3, v2
.LBB6_1114:                             ;   in Loop: Header=BB6_128 Depth=2
	s_or_b32 exec_lo, exec_lo, s29
                                        ; implicit-def: $vgpr2
.LBB6_1115:                             ;   in Loop: Header=BB6_128 Depth=2
	s_and_not1_saveexec_b32 s10, s28
; %bb.1116:                             ;   in Loop: Header=BB6_128 Depth=2
	v_or_b32_e32 v33, 0x7e, v2
; %bb.1117:                             ;   in Loop: Header=BB6_128 Depth=2
	s_or_b32 exec_lo, exec_lo, s10
                                        ; implicit-def: $vgpr2
.LBB6_1118:                             ;   in Loop: Header=BB6_128 Depth=2
	s_and_not1_saveexec_b32 s10, s27
; %bb.1119:                             ;   in Loop: Header=BB6_128 Depth=2
	v_or_b32_e32 v33, 0x7f, v2
; %bb.1120:                             ;   in Loop: Header=BB6_128 Depth=2
	s_or_b32 exec_lo, exec_lo, s10
	v_and_b32_e32 v26, 0xff, v22
	v_dual_mov_b32 v2, 0 :: v_dual_mov_b32 v3, 0
	s_mov_b32 s10, exec_lo
	s_delay_alu instid0(VALU_DEP_2)
	v_cmpx_ne_u16_e32 0, v26
	s_cbranch_execz .LBB6_1126
; %bb.1121:                             ;   in Loop: Header=BB6_128 Depth=2
	v_bfrev_b32_e32 v3, 1
	s_mov_b32 s27, exec_lo
	v_cmpx_ne_u16_e32 0x80, v26
	s_cbranch_execz .LBB6_1125
; %bb.1122:                             ;   in Loop: Header=BB6_128 Depth=2
	v_and_b32_e32 v26, 0x7f, v22
	v_mov_b32_e32 v3, 0x7f800001
	s_mov_b32 s28, exec_lo
	s_delay_alu instid0(VALU_DEP_2)
	v_cmpx_ne_u32_e32 0x7f, v26
	s_cbranch_execz .LBB6_1124
; %bb.1123:                             ;   in Loop: Header=BB6_128 Depth=2
	v_cmp_gt_u32_e32 vcc_lo, 8, v26
	v_and_b32_e32 v3, 7, v22
	s_delay_alu instid0(VALU_DEP_1) | instskip(NEXT) | instid1(VALU_DEP_1)
	v_clz_i32_u32_e32 v3, v3
	v_min_u32_e32 v3, 32, v3
	v_lshrrev_b32_e32 v27, 3, v26
	s_delay_alu instid0(VALU_DEP_2) | instskip(NEXT) | instid1(VALU_DEP_1)
	v_subrev_nc_u32_e32 v28, 28, v3
	v_dual_cndmask_b32 v26, 0, v28 :: v_dual_sub_nc_u32 v3, 29, v3
	s_delay_alu instid0(VALU_DEP_1) | instskip(NEXT) | instid1(VALU_DEP_2)
	v_cndmask_b32_e32 v3, v27, v3, vcc_lo
	v_lshlrev_b64_e32 v[26:27], v26, v[22:23]
	v_lshlrev_b32_e32 v27, 24, v22
	s_delay_alu instid0(VALU_DEP_3) | instskip(NEXT) | instid1(VALU_DEP_2)
	v_lshl_add_u32 v3, v3, 23, 0x3c000000
	v_and_b32_e32 v27, 0x80000000, v27
	s_delay_alu instid0(VALU_DEP_4) | instskip(NEXT) | instid1(VALU_DEP_1)
	v_lshlrev_b32_e32 v26, 20, v26
	v_and_b32_e32 v26, 0x700000, v26
	s_delay_alu instid0(VALU_DEP_1)
	v_or3_b32 v3, v26, v27, v3
.LBB6_1124:                             ;   in Loop: Header=BB6_128 Depth=2
	s_or_b32 exec_lo, exec_lo, s28
.LBB6_1125:                             ;   in Loop: Header=BB6_128 Depth=2
	s_delay_alu instid0(SALU_CYCLE_1)
	s_or_b32 exec_lo, exec_lo, s27
.LBB6_1126:                             ;   in Loop: Header=BB6_128 Depth=2
	s_delay_alu instid0(SALU_CYCLE_1) | instskip(SKIP_3) | instid1(VALU_DEP_1)
	s_or_b32 exec_lo, exec_lo, s10
	s_wait_loadcnt 0x1
	v_and_b32_e32 v26, 0xff, v18
	s_mov_b32 s10, exec_lo
	v_cmpx_ne_u16_e32 0, v26
	s_cbranch_execz .LBB6_1132
; %bb.1127:                             ;   in Loop: Header=BB6_128 Depth=2
	v_bfrev_b32_e32 v2, 1
	s_mov_b32 s27, exec_lo
	v_cmpx_ne_u16_e32 0x80, v26
	s_cbranch_execz .LBB6_1131
; %bb.1128:                             ;   in Loop: Header=BB6_128 Depth=2
	v_and_b32_e32 v26, 0x7f, v18
	v_mov_b32_e32 v2, 0x7f800001
	s_mov_b32 s28, exec_lo
	s_delay_alu instid0(VALU_DEP_2)
	v_cmpx_ne_u32_e32 0x7f, v26
	s_cbranch_execz .LBB6_1130
; %bb.1129:                             ;   in Loop: Header=BB6_128 Depth=2
	v_cmp_gt_u32_e32 vcc_lo, 8, v26
	v_and_b32_e32 v2, 7, v18
	v_lshrrev_b32_e32 v27, 3, v26
	s_delay_alu instid0(VALU_DEP_2) | instskip(NEXT) | instid1(VALU_DEP_1)
	v_clz_i32_u32_e32 v2, v2
	v_min_u32_e32 v2, 32, v2
	s_delay_alu instid0(VALU_DEP_1) | instskip(NEXT) | instid1(VALU_DEP_1)
	v_subrev_nc_u32_e32 v28, 28, v2
	v_dual_sub_nc_u32 v2, 29, v2 :: v_dual_cndmask_b32 v26, 0, v28, vcc_lo
	s_delay_alu instid0(VALU_DEP_1) | instskip(NEXT) | instid1(VALU_DEP_2)
	v_cndmask_b32_e32 v2, v27, v2, vcc_lo
	v_lshlrev_b64_e32 v[26:27], v26, v[18:19]
	v_lshlrev_b32_e32 v27, 24, v18
	s_delay_alu instid0(VALU_DEP_3) | instskip(NEXT) | instid1(VALU_DEP_2)
	v_lshl_add_u32 v2, v2, 23, 0x3c000000
	v_and_b32_e32 v27, 0x80000000, v27
	s_delay_alu instid0(VALU_DEP_4) | instskip(NEXT) | instid1(VALU_DEP_1)
	v_lshlrev_b32_e32 v26, 20, v26
	v_and_b32_e32 v26, 0x700000, v26
	s_delay_alu instid0(VALU_DEP_1)
	v_or3_b32 v2, v26, v27, v2
.LBB6_1130:                             ;   in Loop: Header=BB6_128 Depth=2
	s_or_b32 exec_lo, exec_lo, s28
.LBB6_1131:                             ;   in Loop: Header=BB6_128 Depth=2
	s_delay_alu instid0(SALU_CYCLE_1)
	s_or_b32 exec_lo, exec_lo, s27
.LBB6_1132:                             ;   in Loop: Header=BB6_128 Depth=2
	s_delay_alu instid0(SALU_CYCLE_1) | instskip(NEXT) | instid1(VALU_DEP_1)
	s_or_b32 exec_lo, exec_lo, s10
	v_mul_f32_e32 v3, v3, v2
                                        ; implicit-def: $vgpr34
	s_mov_b32 s10, exec_lo
	s_delay_alu instid0(VALU_DEP_1) | instskip(SKIP_1) | instid1(VALU_DEP_2)
	v_and_b32_e32 v96, 0x7f800000, v3
	v_lshrrev_b32_e32 v2, 24, v3
	v_cmpx_ne_u64_e32 0x7f800000, v[96:97]
	s_xor_b32 s27, exec_lo, s10
	s_cbranch_execz .LBB6_1146
; %bb.1133:                             ;   in Loop: Header=BB6_128 Depth=2
	v_and_b32_e32 v96, 0x7fffffff, v3
	v_and_b32_e32 v2, 0x80, v2
                                        ; implicit-def: $vgpr34
	s_mov_b32 s10, exec_lo
	s_delay_alu instid0(VALU_DEP_2)
	v_cmpx_gt_u64_e32 0x43e00001, v[96:97]
	s_xor_b32 s28, exec_lo, s10
	s_cbranch_execz .LBB6_1143
; %bb.1134:                             ;   in Loop: Header=BB6_128 Depth=2
	v_mov_b32_e32 v34, 0
	s_mov_b32 s29, exec_lo
	v_cmpx_ne_u32_e32 0, v3
	s_cbranch_execz .LBB6_1142
; %bb.1135:                             ;   in Loop: Header=BB6_128 Depth=2
	v_bfe_u32 v31, v3, 23, 8
	v_and_b32_e32 v3, 0x7fffff, v3
	s_delay_alu instid0(VALU_DEP_2) | instskip(SKIP_1) | instid1(VALU_DEP_3)
	v_sub_nc_u32_e32 v26, 0x79, v31
	v_cmp_gt_u32_e32 vcc_lo, 0x7a, v31
	v_or_b32_e32 v28, 0x800000, v3
	s_delay_alu instid0(VALU_DEP_3) | instskip(SKIP_1) | instid1(VALU_DEP_3)
	v_cndmask_b32_e32 v26, 0, v26, vcc_lo
	v_cmp_eq_u32_e32 vcc_lo, 0, v31
	v_cndmask_b32_e32 v96, v28, v3, vcc_lo
	s_delay_alu instid0(VALU_DEP_3) | instskip(NEXT) | instid1(VALU_DEP_1)
	v_cndmask_b32_e64 v34, v26, 0x78, vcc_lo
	v_dual_add_nc_u32 v26, 20, v34 :: v_dual_add_nc_u32 v29, 19, v34
	s_delay_alu instid0(VALU_DEP_1) | instskip(NEXT) | instid1(VALU_DEP_2)
	v_lshlrev_b64_e64 v[26:27], v26, -1
	v_lshlrev_b64_e64 v[28:29], v29, 1
	s_delay_alu instid0(VALU_DEP_2) | instskip(NEXT) | instid1(VALU_DEP_3)
	v_bfi_b32 v55, v27, 0, 0
	v_bfi_b32 v54, v26, 0, v96
	v_lshrrev_b64 v[26:27], v34, v[96:97]
	s_delay_alu instid0(VALU_DEP_2) | instskip(NEXT) | instid1(VALU_DEP_2)
	v_cmp_eq_u64_e64 s10, v[54:55], v[28:29]
	v_mov_b64_e32 v[28:29], v[26:27]
	s_and_saveexec_b32 s40, s10
; %bb.1136:                             ;   in Loop: Header=BB6_128 Depth=2
	v_bfe_u32 v96, v26, 20, 1
	s_delay_alu instid0(VALU_DEP_1) | instskip(NEXT) | instid1(VALU_DEP_1)
	v_add_nc_u64_e32 v[28:29], v[26:27], v[96:97]
	v_add_nc_u64_e32 v[28:29], -1, v[28:29]
; %bb.1137:                             ;   in Loop: Header=BB6_128 Depth=2
	s_or_b32 exec_lo, exec_lo, s40
	v_add_nc_u32_e32 v3, 0xffffff81, v31
	v_lshrrev_b32_e32 v27, 23, v26
	s_mov_b32 s10, exec_lo
	s_delay_alu instid0(VALU_DEP_2) | instskip(NEXT) | instid1(VALU_DEP_1)
	v_cndmask_b32_e64 v3, v3, 0xffffff82, vcc_lo
	v_add3_u32 v29, v34, v3, v27
	v_and_b32_e32 v3, 0xfffff, v28
	s_delay_alu instid0(VALU_DEP_1) | instskip(NEXT) | instid1(VALU_DEP_1)
	v_dual_add_nc_u32 v28, 6, v29 :: v_dual_add_nc_u32 v96, v3, v26
                                        ; implicit-def: $vgpr26_vgpr27
                                        ; implicit-def: $vgpr3
	v_cmpx_ne_u32_e32 0, v28
	s_xor_b32 s10, exec_lo, s10
; %bb.1138:                             ;   in Loop: Header=BB6_128 Depth=2
	s_delay_alu instid0(VALU_DEP_2) | instskip(SKIP_2) | instid1(VALU_DEP_2)
	v_cmp_lt_u64_e32 vcc_lo, 0xffffff, v[96:97]
	v_add_nc_u32_e32 v3, 7, v29
	v_cndmask_b32_e64 v26, 0, 1, vcc_lo
	v_cndmask_b32_e32 v3, v28, v3, vcc_lo
	s_delay_alu instid0(VALU_DEP_2)
	v_lshrrev_b64 v[26:27], v26, v[96:97]
; %bb.1139:                             ;   in Loop: Header=BB6_128 Depth=2
	s_and_not1_saveexec_b32 s10, s10
; %bb.1140:                             ;   in Loop: Header=BB6_128 Depth=2
	v_mov_b64_e32 v[26:27], v[96:97]
	v_bfe_u32 v3, v96, 23, 1
; %bb.1141:                             ;   in Loop: Header=BB6_128 Depth=2
	s_or_b32 exec_lo, exec_lo, s10
	s_delay_alu instid0(VALU_DEP_2) | instskip(NEXT) | instid1(VALU_DEP_2)
	v_lshrrev_b64 v[26:27], 20, v[26:27]
	v_cmp_gt_i32_e32 vcc_lo, 16, v3
	v_min_i32_e32 v28, 15, v3
	v_cmp_eq_u32_e64 s10, 0, v3
	s_delay_alu instid0(VALU_DEP_2) | instskip(SKIP_1) | instid1(VALU_DEP_2)
	v_dual_cndmask_b32 v26, 7, v26, vcc_lo :: v_dual_lshlrev_b32 v28, 3, v28
	v_cndmask_b32_e32 v27, 0, v27, vcc_lo
	v_and_b32_e32 v28, 0xf8, v28
	s_delay_alu instid0(VALU_DEP_2) | instskip(NEXT) | instid1(VALU_DEP_2)
	v_cmp_eq_u64_e32 vcc_lo, 0, v[26:27]
	v_and_or_b32 v3, v26, 7, v28
	s_and_b32 s10, s10, vcc_lo
	s_delay_alu instid0(VALU_DEP_1) | instid1(SALU_CYCLE_1)
	v_cndmask_b32_e64 v3, v3, 0, s10
	s_delay_alu instid0(VALU_DEP_1)
	v_or_b32_e32 v34, v3, v2
.LBB6_1142:                             ;   in Loop: Header=BB6_128 Depth=2
	s_or_b32 exec_lo, exec_lo, s29
                                        ; implicit-def: $vgpr2
.LBB6_1143:                             ;   in Loop: Header=BB6_128 Depth=2
	s_and_not1_saveexec_b32 s10, s28
; %bb.1144:                             ;   in Loop: Header=BB6_128 Depth=2
	v_or_b32_e32 v34, 0x7e, v2
; %bb.1145:                             ;   in Loop: Header=BB6_128 Depth=2
	s_or_b32 exec_lo, exec_lo, s10
                                        ; implicit-def: $vgpr2
.LBB6_1146:                             ;   in Loop: Header=BB6_128 Depth=2
	s_and_not1_saveexec_b32 s10, s27
; %bb.1147:                             ;   in Loop: Header=BB6_128 Depth=2
	v_or_b32_e32 v34, 0x7f, v2
; %bb.1148:                             ;   in Loop: Header=BB6_128 Depth=2
	s_or_b32 exec_lo, exec_lo, s10
	v_lshrrev_b16 v26, 8, v22
	v_dual_mov_b32 v2, 0 :: v_dual_mov_b32 v3, 0
	s_mov_b32 s10, exec_lo
	s_delay_alu instid0(VALU_DEP_2)
	v_cmpx_ne_u16_e32 0, v26
	s_cbranch_execz .LBB6_1156
; %bb.1149:                             ;   in Loop: Header=BB6_128 Depth=2
	v_bfrev_b32_e32 v3, 1
	s_mov_b32 s27, exec_lo
	v_cmpx_ne_u16_e32 0x80, v26
	s_cbranch_execz .LBB6_1155
; %bb.1150:                             ;   in Loop: Header=BB6_128 Depth=2
	v_and_b32_e32 v27, 0xffff, v26
	v_mov_b32_e32 v3, 0x7f800001
	s_mov_b32 s28, exec_lo
	s_delay_alu instid0(VALU_DEP_2) | instskip(NEXT) | instid1(VALU_DEP_1)
	v_and_b32_e32 v26, 0x7f, v27
	v_cmpx_ne_u32_e32 0x7f, v26
	s_cbranch_execz .LBB6_1154
; %bb.1151:                             ;   in Loop: Header=BB6_128 Depth=2
	v_dual_lshrrev_b32 v3, 3, v26 :: v_dual_bitop2_b32 v96, 7, v27 bitop3:0x40
	s_mov_b32 s29, exec_lo
	v_cmpx_gt_u32_e32 8, v26
; %bb.1152:                             ;   in Loop: Header=BB6_128 Depth=2
	s_delay_alu instid0(VALU_DEP_2) | instskip(NEXT) | instid1(VALU_DEP_1)
	v_clz_i32_u32_e32 v3, v96
	v_min_u32_e32 v3, 32, v3
	s_delay_alu instid0(VALU_DEP_1) | instskip(NEXT) | instid1(VALU_DEP_1)
	v_subrev_nc_u32_e32 v26, 28, v3
	v_lshlrev_b64_e32 v[26:27], v26, v[96:97]
	s_delay_alu instid0(VALU_DEP_1)
	v_dual_sub_nc_u32 v3, 29, v3 :: v_dual_bitop2_b32 v96, 7, v26 bitop3:0x40
; %bb.1153:                             ;   in Loop: Header=BB6_128 Depth=2
	s_or_b32 exec_lo, exec_lo, s29
	s_delay_alu instid0(VALU_DEP_1) | instskip(NEXT) | instid1(VALU_DEP_2)
	v_dual_lshlrev_b32 v26, 16, v22 :: v_dual_lshlrev_b32 v27, 20, v96
	v_lshl_add_u32 v3, v3, 23, 0x3c000000
	s_delay_alu instid0(VALU_DEP_2) | instskip(NEXT) | instid1(VALU_DEP_1)
	v_and_b32_e32 v26, 0x80000000, v26
	v_or3_b32 v3, v27, v26, v3
.LBB6_1154:                             ;   in Loop: Header=BB6_128 Depth=2
	s_or_b32 exec_lo, exec_lo, s28
.LBB6_1155:                             ;   in Loop: Header=BB6_128 Depth=2
	s_delay_alu instid0(SALU_CYCLE_1)
	s_or_b32 exec_lo, exec_lo, s27
.LBB6_1156:                             ;   in Loop: Header=BB6_128 Depth=2
	s_delay_alu instid0(SALU_CYCLE_1) | instskip(SKIP_2) | instid1(VALU_DEP_1)
	s_or_b32 exec_lo, exec_lo, s10
	v_lshrrev_b16 v26, 8, v18
	s_mov_b32 s10, exec_lo
	v_cmpx_ne_u16_e32 0, v26
	s_cbranch_execz .LBB6_1164
; %bb.1157:                             ;   in Loop: Header=BB6_128 Depth=2
	v_bfrev_b32_e32 v2, 1
	s_mov_b32 s27, exec_lo
	v_cmpx_ne_u16_e32 0x80, v26
	s_cbranch_execz .LBB6_1163
; %bb.1158:                             ;   in Loop: Header=BB6_128 Depth=2
	v_and_b32_e32 v27, 0xffff, v26
	v_mov_b32_e32 v2, 0x7f800001
	s_mov_b32 s28, exec_lo
	s_delay_alu instid0(VALU_DEP_2) | instskip(NEXT) | instid1(VALU_DEP_1)
	v_and_b32_e32 v26, 0x7f, v27
	v_cmpx_ne_u32_e32 0x7f, v26
	s_cbranch_execz .LBB6_1162
; %bb.1159:                             ;   in Loop: Header=BB6_128 Depth=2
	v_dual_lshrrev_b32 v2, 3, v26 :: v_dual_bitop2_b32 v96, 7, v27 bitop3:0x40
	s_mov_b32 s29, exec_lo
	v_cmpx_gt_u32_e32 8, v26
; %bb.1160:                             ;   in Loop: Header=BB6_128 Depth=2
	s_delay_alu instid0(VALU_DEP_2) | instskip(NEXT) | instid1(VALU_DEP_1)
	v_clz_i32_u32_e32 v2, v96
	v_min_u32_e32 v2, 32, v2
	s_delay_alu instid0(VALU_DEP_1) | instskip(SKIP_1) | instid1(VALU_DEP_2)
	v_subrev_nc_u32_e32 v26, 28, v2
	v_sub_nc_u32_e32 v2, 29, v2
	v_lshlrev_b64_e32 v[26:27], v26, v[96:97]
	s_delay_alu instid0(VALU_DEP_1)
	v_and_b32_e32 v96, 7, v26
; %bb.1161:                             ;   in Loop: Header=BB6_128 Depth=2
	s_or_b32 exec_lo, exec_lo, s29
	s_delay_alu instid0(VALU_DEP_1) | instskip(SKIP_1) | instid1(VALU_DEP_2)
	v_dual_lshlrev_b32 v26, 16, v18 :: v_dual_lshlrev_b32 v27, 20, v96
	v_lshl_add_u32 v2, v2, 23, 0x3c000000
	v_and_b32_e32 v26, 0x80000000, v26
	s_delay_alu instid0(VALU_DEP_1)
	v_or3_b32 v2, v27, v26, v2
.LBB6_1162:                             ;   in Loop: Header=BB6_128 Depth=2
	s_or_b32 exec_lo, exec_lo, s28
.LBB6_1163:                             ;   in Loop: Header=BB6_128 Depth=2
	s_delay_alu instid0(SALU_CYCLE_1)
	s_or_b32 exec_lo, exec_lo, s27
.LBB6_1164:                             ;   in Loop: Header=BB6_128 Depth=2
	s_delay_alu instid0(SALU_CYCLE_1) | instskip(NEXT) | instid1(VALU_DEP_1)
	s_or_b32 exec_lo, exec_lo, s10
	v_mul_f32_e32 v3, v3, v2
                                        ; implicit-def: $vgpr35
	s_mov_b32 s10, exec_lo
	s_delay_alu instid0(VALU_DEP_1) | instskip(SKIP_1) | instid1(VALU_DEP_2)
	v_and_b32_e32 v96, 0x7f800000, v3
	v_lshrrev_b32_e32 v2, 24, v3
	v_cmpx_ne_u64_e32 0x7f800000, v[96:97]
	s_xor_b32 s27, exec_lo, s10
	s_cbranch_execz .LBB6_1178
; %bb.1165:                             ;   in Loop: Header=BB6_128 Depth=2
	v_and_b32_e32 v96, 0x7fffffff, v3
	v_and_b32_e32 v2, 0x80, v2
                                        ; implicit-def: $vgpr35
	s_mov_b32 s10, exec_lo
	s_delay_alu instid0(VALU_DEP_2)
	v_cmpx_gt_u64_e32 0x43e00001, v[96:97]
	s_xor_b32 s28, exec_lo, s10
	s_cbranch_execz .LBB6_1175
; %bb.1166:                             ;   in Loop: Header=BB6_128 Depth=2
	v_mov_b32_e32 v35, 0
	s_mov_b32 s29, exec_lo
	v_cmpx_ne_u32_e32 0, v3
	s_cbranch_execz .LBB6_1174
; %bb.1167:                             ;   in Loop: Header=BB6_128 Depth=2
	v_bfe_u32 v31, v3, 23, 8
	v_and_b32_e32 v3, 0x7fffff, v3
	s_delay_alu instid0(VALU_DEP_2) | instskip(SKIP_1) | instid1(VALU_DEP_3)
	v_sub_nc_u32_e32 v26, 0x79, v31
	v_cmp_gt_u32_e32 vcc_lo, 0x7a, v31
	v_or_b32_e32 v28, 0x800000, v3
	s_delay_alu instid0(VALU_DEP_3) | instskip(SKIP_1) | instid1(VALU_DEP_2)
	v_cndmask_b32_e32 v26, 0, v26, vcc_lo
	v_cmp_eq_u32_e32 vcc_lo, 0, v31
	v_cndmask_b32_e64 v35, v26, 0x78, vcc_lo
	s_delay_alu instid0(VALU_DEP_4) | instskip(NEXT) | instid1(VALU_DEP_2)
	v_cndmask_b32_e32 v96, v28, v3, vcc_lo
	v_dual_add_nc_u32 v26, 20, v35 :: v_dual_add_nc_u32 v29, 19, v35
	s_delay_alu instid0(VALU_DEP_1) | instskip(NEXT) | instid1(VALU_DEP_2)
	v_lshlrev_b64_e64 v[26:27], v26, -1
	v_lshlrev_b64_e64 v[28:29], v29, 1
	s_delay_alu instid0(VALU_DEP_2) | instskip(NEXT) | instid1(VALU_DEP_3)
	v_bfi_b32 v55, v27, 0, 0
	v_bfi_b32 v54, v26, 0, v96
	v_lshrrev_b64 v[26:27], v35, v[96:97]
	s_delay_alu instid0(VALU_DEP_2) | instskip(NEXT) | instid1(VALU_DEP_2)
	v_cmp_eq_u64_e64 s10, v[54:55], v[28:29]
	v_mov_b64_e32 v[28:29], v[26:27]
	s_and_saveexec_b32 s40, s10
; %bb.1168:                             ;   in Loop: Header=BB6_128 Depth=2
	v_bfe_u32 v96, v26, 20, 1
	s_delay_alu instid0(VALU_DEP_1) | instskip(NEXT) | instid1(VALU_DEP_1)
	v_add_nc_u64_e32 v[28:29], v[26:27], v[96:97]
	v_add_nc_u64_e32 v[28:29], -1, v[28:29]
; %bb.1169:                             ;   in Loop: Header=BB6_128 Depth=2
	s_or_b32 exec_lo, exec_lo, s40
	v_add_nc_u32_e32 v3, 0xffffff81, v31
	v_lshrrev_b32_e32 v27, 23, v26
	s_mov_b32 s10, exec_lo
	s_delay_alu instid0(VALU_DEP_2) | instskip(NEXT) | instid1(VALU_DEP_1)
	v_cndmask_b32_e64 v3, v3, 0xffffff82, vcc_lo
	v_add3_u32 v29, v35, v3, v27
	v_and_b32_e32 v3, 0xfffff, v28
	s_delay_alu instid0(VALU_DEP_1) | instskip(NEXT) | instid1(VALU_DEP_1)
	v_dual_add_nc_u32 v28, 6, v29 :: v_dual_add_nc_u32 v96, v3, v26
                                        ; implicit-def: $vgpr26_vgpr27
                                        ; implicit-def: $vgpr3
	v_cmpx_ne_u32_e32 0, v28
	s_xor_b32 s10, exec_lo, s10
; %bb.1170:                             ;   in Loop: Header=BB6_128 Depth=2
	s_delay_alu instid0(VALU_DEP_2) | instskip(SKIP_2) | instid1(VALU_DEP_2)
	v_cmp_lt_u64_e32 vcc_lo, 0xffffff, v[96:97]
	v_add_nc_u32_e32 v3, 7, v29
	v_cndmask_b32_e64 v26, 0, 1, vcc_lo
	v_cndmask_b32_e32 v3, v28, v3, vcc_lo
	s_delay_alu instid0(VALU_DEP_2)
	v_lshrrev_b64 v[26:27], v26, v[96:97]
; %bb.1171:                             ;   in Loop: Header=BB6_128 Depth=2
	s_and_not1_saveexec_b32 s10, s10
; %bb.1172:                             ;   in Loop: Header=BB6_128 Depth=2
	v_mov_b64_e32 v[26:27], v[96:97]
	v_bfe_u32 v3, v96, 23, 1
; %bb.1173:                             ;   in Loop: Header=BB6_128 Depth=2
	s_or_b32 exec_lo, exec_lo, s10
	s_delay_alu instid0(VALU_DEP_2) | instskip(NEXT) | instid1(VALU_DEP_2)
	v_lshrrev_b64 v[26:27], 20, v[26:27]
	v_cmp_gt_i32_e32 vcc_lo, 16, v3
	v_min_i32_e32 v28, 15, v3
	v_cmp_eq_u32_e64 s10, 0, v3
	s_delay_alu instid0(VALU_DEP_2) | instskip(SKIP_1) | instid1(VALU_DEP_2)
	v_dual_cndmask_b32 v26, 7, v26, vcc_lo :: v_dual_lshlrev_b32 v28, 3, v28
	v_cndmask_b32_e32 v27, 0, v27, vcc_lo
	v_and_b32_e32 v28, 0xf8, v28
	s_delay_alu instid0(VALU_DEP_2) | instskip(NEXT) | instid1(VALU_DEP_2)
	v_cmp_eq_u64_e32 vcc_lo, 0, v[26:27]
	v_and_or_b32 v3, v26, 7, v28
	s_and_b32 s10, s10, vcc_lo
	s_delay_alu instid0(VALU_DEP_1) | instid1(SALU_CYCLE_1)
	v_cndmask_b32_e64 v3, v3, 0, s10
	s_delay_alu instid0(VALU_DEP_1)
	v_or_b32_e32 v35, v3, v2
.LBB6_1174:                             ;   in Loop: Header=BB6_128 Depth=2
	s_or_b32 exec_lo, exec_lo, s29
                                        ; implicit-def: $vgpr2
.LBB6_1175:                             ;   in Loop: Header=BB6_128 Depth=2
	s_and_not1_saveexec_b32 s10, s28
; %bb.1176:                             ;   in Loop: Header=BB6_128 Depth=2
	v_or_b32_e32 v35, 0x7e, v2
; %bb.1177:                             ;   in Loop: Header=BB6_128 Depth=2
	s_or_b32 exec_lo, exec_lo, s10
                                        ; implicit-def: $vgpr2
.LBB6_1178:                             ;   in Loop: Header=BB6_128 Depth=2
	s_and_not1_saveexec_b32 s10, s27
; %bb.1179:                             ;   in Loop: Header=BB6_128 Depth=2
	v_or_b32_e32 v35, 0x7f, v2
; %bb.1180:                             ;   in Loop: Header=BB6_128 Depth=2
	s_or_b32 exec_lo, exec_lo, s10
	v_dual_lshrrev_b32 v26, 16, v22 :: v_dual_mov_b32 v2, 0
	v_mov_b32_e32 v3, 0
	s_mov_b32 s10, exec_lo
	s_delay_alu instid0(VALU_DEP_2) | instskip(NEXT) | instid1(VALU_DEP_1)
	v_and_b32_e32 v27, 0xff, v26
	v_cmpx_ne_u16_e32 0, v27
	s_cbranch_execz .LBB6_1188
; %bb.1181:                             ;   in Loop: Header=BB6_128 Depth=2
	v_bfrev_b32_e32 v3, 1
	s_mov_b32 s27, exec_lo
	v_cmpx_ne_u16_e32 0x80, v27
	s_cbranch_execz .LBB6_1187
; %bb.1182:                             ;   in Loop: Header=BB6_128 Depth=2
	v_bfe_u32 v27, v22, 16, 7
	v_mov_b32_e32 v3, 0x7f800001
	s_mov_b32 s28, exec_lo
	s_delay_alu instid0(VALU_DEP_2)
	v_cmpx_ne_u32_e32 0x7f, v27
	s_cbranch_execz .LBB6_1186
; %bb.1183:                             ;   in Loop: Header=BB6_128 Depth=2
	v_dual_lshrrev_b32 v3, 3, v27 :: v_dual_bitop2_b32 v96, 7, v26 bitop3:0x40
	s_mov_b32 s29, exec_lo
	v_cmpx_gt_u32_e32 8, v27
; %bb.1184:                             ;   in Loop: Header=BB6_128 Depth=2
	s_delay_alu instid0(VALU_DEP_2) | instskip(NEXT) | instid1(VALU_DEP_1)
	v_clz_i32_u32_e32 v3, v96
	v_min_u32_e32 v3, 32, v3
	s_delay_alu instid0(VALU_DEP_1) | instskip(NEXT) | instid1(VALU_DEP_1)
	v_subrev_nc_u32_e32 v27, 28, v3
	v_lshlrev_b64_e32 v[28:29], v27, v[96:97]
	s_delay_alu instid0(VALU_DEP_1)
	v_dual_sub_nc_u32 v3, 29, v3 :: v_dual_bitop2_b32 v96, 7, v28 bitop3:0x40
; %bb.1185:                             ;   in Loop: Header=BB6_128 Depth=2
	s_or_b32 exec_lo, exec_lo, s29
	s_delay_alu instid0(VALU_DEP_1) | instskip(NEXT) | instid1(VALU_DEP_2)
	v_dual_lshlrev_b32 v26, 24, v26 :: v_dual_lshlrev_b32 v27, 20, v96
	v_lshl_add_u32 v3, v3, 23, 0x3c000000
	s_delay_alu instid0(VALU_DEP_2) | instskip(NEXT) | instid1(VALU_DEP_1)
	v_and_b32_e32 v26, 0x80000000, v26
	v_or3_b32 v3, v27, v26, v3
.LBB6_1186:                             ;   in Loop: Header=BB6_128 Depth=2
	s_or_b32 exec_lo, exec_lo, s28
.LBB6_1187:                             ;   in Loop: Header=BB6_128 Depth=2
	s_delay_alu instid0(SALU_CYCLE_1)
	s_or_b32 exec_lo, exec_lo, s27
.LBB6_1188:                             ;   in Loop: Header=BB6_128 Depth=2
	s_delay_alu instid0(SALU_CYCLE_1) | instskip(SKIP_2) | instid1(VALU_DEP_1)
	s_or_b32 exec_lo, exec_lo, s10
	v_lshrrev_b32_e32 v26, 16, v18
	s_mov_b32 s10, exec_lo
	v_and_b32_e32 v27, 0xff, v26
	s_delay_alu instid0(VALU_DEP_1)
	v_cmpx_ne_u16_e32 0, v27
	s_cbranch_execz .LBB6_1196
; %bb.1189:                             ;   in Loop: Header=BB6_128 Depth=2
	v_bfrev_b32_e32 v2, 1
	s_mov_b32 s27, exec_lo
	v_cmpx_ne_u16_e32 0x80, v27
	s_cbranch_execz .LBB6_1195
; %bb.1190:                             ;   in Loop: Header=BB6_128 Depth=2
	v_bfe_u32 v27, v18, 16, 7
	v_mov_b32_e32 v2, 0x7f800001
	s_mov_b32 s28, exec_lo
	s_delay_alu instid0(VALU_DEP_2)
	v_cmpx_ne_u32_e32 0x7f, v27
	s_cbranch_execz .LBB6_1194
; %bb.1191:                             ;   in Loop: Header=BB6_128 Depth=2
	v_dual_lshrrev_b32 v2, 3, v27 :: v_dual_bitop2_b32 v96, 7, v26 bitop3:0x40
	s_mov_b32 s29, exec_lo
	v_cmpx_gt_u32_e32 8, v27
; %bb.1192:                             ;   in Loop: Header=BB6_128 Depth=2
	s_delay_alu instid0(VALU_DEP_2) | instskip(NEXT) | instid1(VALU_DEP_1)
	v_clz_i32_u32_e32 v2, v96
	v_min_u32_e32 v2, 32, v2
	s_delay_alu instid0(VALU_DEP_1) | instskip(SKIP_1) | instid1(VALU_DEP_2)
	v_subrev_nc_u32_e32 v26, 28, v2
	v_sub_nc_u32_e32 v2, 29, v2
	v_lshlrev_b64_e32 v[26:27], v26, v[96:97]
	s_delay_alu instid0(VALU_DEP_1)
	v_and_b32_e32 v96, 7, v26
; %bb.1193:                             ;   in Loop: Header=BB6_128 Depth=2
	s_or_b32 exec_lo, exec_lo, s29
	s_delay_alu instid0(VALU_DEP_1) | instskip(SKIP_1) | instid1(VALU_DEP_2)
	v_dual_lshlrev_b32 v26, 8, v18 :: v_dual_lshlrev_b32 v27, 20, v96
	v_lshl_add_u32 v2, v2, 23, 0x3c000000
	v_and_b32_e32 v26, 0x80000000, v26
	s_delay_alu instid0(VALU_DEP_1)
	v_or3_b32 v2, v27, v26, v2
.LBB6_1194:                             ;   in Loop: Header=BB6_128 Depth=2
	s_or_b32 exec_lo, exec_lo, s28
.LBB6_1195:                             ;   in Loop: Header=BB6_128 Depth=2
	s_delay_alu instid0(SALU_CYCLE_1)
	s_or_b32 exec_lo, exec_lo, s27
.LBB6_1196:                             ;   in Loop: Header=BB6_128 Depth=2
	s_delay_alu instid0(SALU_CYCLE_1) | instskip(NEXT) | instid1(VALU_DEP_1)
	s_or_b32 exec_lo, exec_lo, s10
	v_mul_f32_e32 v3, v3, v2
                                        ; implicit-def: $vgpr120
	s_mov_b32 s10, exec_lo
	s_delay_alu instid0(VALU_DEP_1) | instskip(SKIP_1) | instid1(VALU_DEP_2)
	v_and_b32_e32 v96, 0x7f800000, v3
	v_lshrrev_b32_e32 v2, 24, v3
	v_cmpx_ne_u64_e32 0x7f800000, v[96:97]
	s_xor_b32 s27, exec_lo, s10
	s_cbranch_execz .LBB6_1210
; %bb.1197:                             ;   in Loop: Header=BB6_128 Depth=2
	v_and_b32_e32 v96, 0x7fffffff, v3
	v_and_b32_e32 v2, 0x80, v2
                                        ; implicit-def: $vgpr120
	s_mov_b32 s10, exec_lo
	s_delay_alu instid0(VALU_DEP_2)
	v_cmpx_gt_u64_e32 0x43e00001, v[96:97]
	s_xor_b32 s28, exec_lo, s10
	s_cbranch_execz .LBB6_1207
; %bb.1198:                             ;   in Loop: Header=BB6_128 Depth=2
	v_mov_b32_e32 v120, 0
	s_mov_b32 s29, exec_lo
	v_cmpx_ne_u32_e32 0, v3
	s_cbranch_execz .LBB6_1206
; %bb.1199:                             ;   in Loop: Header=BB6_128 Depth=2
	v_bfe_u32 v31, v3, 23, 8
	v_and_b32_e32 v3, 0x7fffff, v3
	s_delay_alu instid0(VALU_DEP_2) | instskip(SKIP_1) | instid1(VALU_DEP_3)
	v_sub_nc_u32_e32 v26, 0x79, v31
	v_cmp_gt_u32_e32 vcc_lo, 0x7a, v31
	v_or_b32_e32 v28, 0x800000, v3
	s_delay_alu instid0(VALU_DEP_3) | instskip(SKIP_1) | instid1(VALU_DEP_3)
	v_cndmask_b32_e32 v26, 0, v26, vcc_lo
	v_cmp_eq_u32_e32 vcc_lo, 0, v31
	v_cndmask_b32_e32 v96, v28, v3, vcc_lo
	s_delay_alu instid0(VALU_DEP_3) | instskip(NEXT) | instid1(VALU_DEP_1)
	v_cndmask_b32_e64 v54, v26, 0x78, vcc_lo
	v_dual_add_nc_u32 v26, 20, v54 :: v_dual_add_nc_u32 v29, 19, v54
	s_delay_alu instid0(VALU_DEP_1) | instskip(NEXT) | instid1(VALU_DEP_2)
	v_lshlrev_b64_e64 v[26:27], v26, -1
	v_lshlrev_b64_e64 v[28:29], v29, 1
	s_delay_alu instid0(VALU_DEP_2) | instskip(NEXT) | instid1(VALU_DEP_3)
	v_bfi_b32 v113, v27, 0, 0
	v_bfi_b32 v112, v26, 0, v96
	v_lshrrev_b64 v[26:27], v54, v[96:97]
	s_delay_alu instid0(VALU_DEP_2) | instskip(NEXT) | instid1(VALU_DEP_2)
	v_cmp_eq_u64_e64 s10, v[112:113], v[28:29]
	v_mov_b64_e32 v[28:29], v[26:27]
	s_and_saveexec_b32 s40, s10
; %bb.1200:                             ;   in Loop: Header=BB6_128 Depth=2
	v_bfe_u32 v96, v26, 20, 1
	s_delay_alu instid0(VALU_DEP_1) | instskip(NEXT) | instid1(VALU_DEP_1)
	v_add_nc_u64_e32 v[28:29], v[26:27], v[96:97]
	v_add_nc_u64_e32 v[28:29], -1, v[28:29]
; %bb.1201:                             ;   in Loop: Header=BB6_128 Depth=2
	s_or_b32 exec_lo, exec_lo, s40
	v_add_nc_u32_e32 v3, 0xffffff81, v31
	v_lshrrev_b32_e32 v27, 23, v26
	s_mov_b32 s10, exec_lo
	s_delay_alu instid0(VALU_DEP_2) | instskip(NEXT) | instid1(VALU_DEP_1)
	v_cndmask_b32_e64 v3, v3, 0xffffff82, vcc_lo
	v_add3_u32 v29, v54, v3, v27
	v_and_b32_e32 v3, 0xfffff, v28
	s_delay_alu instid0(VALU_DEP_1) | instskip(NEXT) | instid1(VALU_DEP_1)
	v_dual_add_nc_u32 v28, 6, v29 :: v_dual_add_nc_u32 v96, v3, v26
                                        ; implicit-def: $vgpr26_vgpr27
                                        ; implicit-def: $vgpr3
	v_cmpx_ne_u32_e32 0, v28
	s_xor_b32 s10, exec_lo, s10
; %bb.1202:                             ;   in Loop: Header=BB6_128 Depth=2
	s_delay_alu instid0(VALU_DEP_2) | instskip(SKIP_2) | instid1(VALU_DEP_2)
	v_cmp_lt_u64_e32 vcc_lo, 0xffffff, v[96:97]
	v_add_nc_u32_e32 v3, 7, v29
	v_cndmask_b32_e64 v26, 0, 1, vcc_lo
	v_cndmask_b32_e32 v3, v28, v3, vcc_lo
	s_delay_alu instid0(VALU_DEP_2)
	v_lshrrev_b64 v[26:27], v26, v[96:97]
; %bb.1203:                             ;   in Loop: Header=BB6_128 Depth=2
	s_and_not1_saveexec_b32 s10, s10
; %bb.1204:                             ;   in Loop: Header=BB6_128 Depth=2
	v_mov_b64_e32 v[26:27], v[96:97]
	v_bfe_u32 v3, v96, 23, 1
; %bb.1205:                             ;   in Loop: Header=BB6_128 Depth=2
	s_or_b32 exec_lo, exec_lo, s10
	s_delay_alu instid0(VALU_DEP_2) | instskip(NEXT) | instid1(VALU_DEP_2)
	v_lshrrev_b64 v[26:27], 20, v[26:27]
	v_cmp_gt_i32_e32 vcc_lo, 16, v3
	v_min_i32_e32 v28, 15, v3
	v_cmp_eq_u32_e64 s10, 0, v3
	s_delay_alu instid0(VALU_DEP_2) | instskip(SKIP_1) | instid1(VALU_DEP_2)
	v_dual_cndmask_b32 v26, 7, v26, vcc_lo :: v_dual_lshlrev_b32 v28, 3, v28
	v_cndmask_b32_e32 v27, 0, v27, vcc_lo
	v_and_b32_e32 v28, 0xf8, v28
	s_delay_alu instid0(VALU_DEP_2) | instskip(NEXT) | instid1(VALU_DEP_2)
	v_cmp_eq_u64_e32 vcc_lo, 0, v[26:27]
	v_and_or_b32 v3, v26, 7, v28
	s_and_b32 s10, s10, vcc_lo
	s_delay_alu instid0(VALU_DEP_1) | instid1(SALU_CYCLE_1)
	v_cndmask_b32_e64 v3, v3, 0, s10
	s_delay_alu instid0(VALU_DEP_1)
	v_or_b32_e32 v120, v3, v2
.LBB6_1206:                             ;   in Loop: Header=BB6_128 Depth=2
	s_or_b32 exec_lo, exec_lo, s29
                                        ; implicit-def: $vgpr2
.LBB6_1207:                             ;   in Loop: Header=BB6_128 Depth=2
	s_and_not1_saveexec_b32 s10, s28
; %bb.1208:                             ;   in Loop: Header=BB6_128 Depth=2
	v_or_b32_e32 v120, 0x7e, v2
; %bb.1209:                             ;   in Loop: Header=BB6_128 Depth=2
	s_or_b32 exec_lo, exec_lo, s10
                                        ; implicit-def: $vgpr2
.LBB6_1210:                             ;   in Loop: Header=BB6_128 Depth=2
	s_and_not1_saveexec_b32 s10, s27
; %bb.1211:                             ;   in Loop: Header=BB6_128 Depth=2
	v_or_b32_e32 v120, 0x7f, v2
; %bb.1212:                             ;   in Loop: Header=BB6_128 Depth=2
	s_or_b32 exec_lo, exec_lo, s10
	v_dual_mov_b32 v2, 0 :: v_dual_mov_b32 v3, 0
	s_mov_b32 s10, exec_lo
	v_cmpx_lt_u32_e32 0xffffff, v22
	s_cbranch_execz .LBB6_1220
; %bb.1213:                             ;   in Loop: Header=BB6_128 Depth=2
	v_lshrrev_b32_e32 v26, 24, v22
	v_bfrev_b32_e32 v3, 1
	s_mov_b32 s27, exec_lo
	s_delay_alu instid0(VALU_DEP_2)
	v_cmpx_ne_u32_e32 0x80, v26
	s_cbranch_execz .LBB6_1219
; %bb.1214:                             ;   in Loop: Header=BB6_128 Depth=2
	v_bfe_u32 v27, v22, 24, 7
	v_mov_b32_e32 v3, 0x7f800001
	s_mov_b32 s28, exec_lo
	s_delay_alu instid0(VALU_DEP_2)
	v_cmpx_ne_u32_e32 0x7f, v27
	s_cbranch_execz .LBB6_1218
; %bb.1215:                             ;   in Loop: Header=BB6_128 Depth=2
	v_dual_lshrrev_b32 v3, 3, v27 :: v_dual_bitop2_b32 v96, 7, v26 bitop3:0x40
	s_mov_b32 s29, exec_lo
	v_cmpx_gt_u32_e32 8, v27
; %bb.1216:                             ;   in Loop: Header=BB6_128 Depth=2
	s_delay_alu instid0(VALU_DEP_2) | instskip(NEXT) | instid1(VALU_DEP_1)
	v_clz_i32_u32_e32 v3, v96
	v_min_u32_e32 v3, 32, v3
	s_delay_alu instid0(VALU_DEP_1) | instskip(NEXT) | instid1(VALU_DEP_1)
	v_subrev_nc_u32_e32 v27, 28, v3
	v_lshlrev_b64_e32 v[28:29], v27, v[96:97]
	s_delay_alu instid0(VALU_DEP_1)
	v_dual_sub_nc_u32 v3, 29, v3 :: v_dual_bitop2_b32 v96, 7, v28 bitop3:0x40
; %bb.1217:                             ;   in Loop: Header=BB6_128 Depth=2
	s_or_b32 exec_lo, exec_lo, s29
	s_delay_alu instid0(VALU_DEP_1) | instskip(NEXT) | instid1(VALU_DEP_2)
	v_dual_lshlrev_b32 v26, 24, v26 :: v_dual_lshlrev_b32 v27, 20, v96
	v_lshl_add_u32 v3, v3, 23, 0x3c000000
	s_delay_alu instid0(VALU_DEP_2) | instskip(NEXT) | instid1(VALU_DEP_1)
	v_and_b32_e32 v26, 0x80000000, v26
	v_or3_b32 v3, v27, v26, v3
.LBB6_1218:                             ;   in Loop: Header=BB6_128 Depth=2
	s_or_b32 exec_lo, exec_lo, s28
.LBB6_1219:                             ;   in Loop: Header=BB6_128 Depth=2
	s_delay_alu instid0(SALU_CYCLE_1)
	s_or_b32 exec_lo, exec_lo, s27
.LBB6_1220:                             ;   in Loop: Header=BB6_128 Depth=2
	s_delay_alu instid0(SALU_CYCLE_1) | instskip(NEXT) | instid1(SALU_CYCLE_1)
	s_or_b32 exec_lo, exec_lo, s10
	s_mov_b32 s10, exec_lo
	v_cmpx_lt_u32_e32 0xffffff, v18
	s_cbranch_execz .LBB6_1228
; %bb.1221:                             ;   in Loop: Header=BB6_128 Depth=2
	v_lshrrev_b32_e32 v26, 24, v18
	v_bfrev_b32_e32 v2, 1
	s_mov_b32 s27, exec_lo
	s_delay_alu instid0(VALU_DEP_2)
	v_cmpx_ne_u32_e32 0x80, v26
	s_cbranch_execz .LBB6_1227
; %bb.1222:                             ;   in Loop: Header=BB6_128 Depth=2
	v_bfe_u32 v27, v18, 24, 7
	v_mov_b32_e32 v2, 0x7f800001
	s_mov_b32 s28, exec_lo
	s_delay_alu instid0(VALU_DEP_2)
	v_cmpx_ne_u32_e32 0x7f, v27
	s_cbranch_execz .LBB6_1226
; %bb.1223:                             ;   in Loop: Header=BB6_128 Depth=2
	v_dual_lshrrev_b32 v2, 3, v27 :: v_dual_bitop2_b32 v96, 7, v26 bitop3:0x40
	s_mov_b32 s29, exec_lo
	v_cmpx_gt_u32_e32 8, v27
; %bb.1224:                             ;   in Loop: Header=BB6_128 Depth=2
	s_delay_alu instid0(VALU_DEP_2) | instskip(NEXT) | instid1(VALU_DEP_1)
	v_clz_i32_u32_e32 v2, v96
	v_min_u32_e32 v2, 32, v2
	s_delay_alu instid0(VALU_DEP_1) | instskip(NEXT) | instid1(VALU_DEP_1)
	v_subrev_nc_u32_e32 v27, 28, v2
	v_lshlrev_b64_e32 v[28:29], v27, v[96:97]
	s_delay_alu instid0(VALU_DEP_1)
	v_dual_sub_nc_u32 v2, 29, v2 :: v_dual_bitop2_b32 v96, 7, v28 bitop3:0x40
; %bb.1225:                             ;   in Loop: Header=BB6_128 Depth=2
	s_or_b32 exec_lo, exec_lo, s29
	s_delay_alu instid0(VALU_DEP_1) | instskip(NEXT) | instid1(VALU_DEP_2)
	v_dual_lshlrev_b32 v26, 24, v26 :: v_dual_lshlrev_b32 v27, 20, v96
	v_lshl_add_u32 v2, v2, 23, 0x3c000000
	s_delay_alu instid0(VALU_DEP_2) | instskip(NEXT) | instid1(VALU_DEP_1)
	v_and_b32_e32 v26, 0x80000000, v26
	v_or3_b32 v2, v27, v26, v2
.LBB6_1226:                             ;   in Loop: Header=BB6_128 Depth=2
	s_or_b32 exec_lo, exec_lo, s28
.LBB6_1227:                             ;   in Loop: Header=BB6_128 Depth=2
	s_delay_alu instid0(SALU_CYCLE_1)
	s_or_b32 exec_lo, exec_lo, s27
.LBB6_1228:                             ;   in Loop: Header=BB6_128 Depth=2
	s_delay_alu instid0(SALU_CYCLE_1) | instskip(NEXT) | instid1(VALU_DEP_1)
	s_or_b32 exec_lo, exec_lo, s10
	v_mul_f32_e32 v3, v3, v2
                                        ; implicit-def: $vgpr121
	s_mov_b32 s10, exec_lo
	s_delay_alu instid0(VALU_DEP_1) | instskip(SKIP_1) | instid1(VALU_DEP_2)
	v_and_b32_e32 v96, 0x7f800000, v3
	v_lshrrev_b32_e32 v2, 24, v3
	v_cmpx_ne_u64_e32 0x7f800000, v[96:97]
	s_xor_b32 s27, exec_lo, s10
	s_cbranch_execz .LBB6_1242
; %bb.1229:                             ;   in Loop: Header=BB6_128 Depth=2
	v_and_b32_e32 v96, 0x7fffffff, v3
	v_and_b32_e32 v2, 0x80, v2
                                        ; implicit-def: $vgpr121
	s_mov_b32 s10, exec_lo
	s_delay_alu instid0(VALU_DEP_2)
	v_cmpx_gt_u64_e32 0x43e00001, v[96:97]
	s_xor_b32 s28, exec_lo, s10
	s_cbranch_execz .LBB6_1239
; %bb.1230:                             ;   in Loop: Header=BB6_128 Depth=2
	v_mov_b32_e32 v121, 0
	s_mov_b32 s29, exec_lo
	v_cmpx_ne_u32_e32 0, v3
	s_cbranch_execz .LBB6_1238
; %bb.1231:                             ;   in Loop: Header=BB6_128 Depth=2
	v_bfe_u32 v31, v3, 23, 8
	v_and_b32_e32 v3, 0x7fffff, v3
	s_delay_alu instid0(VALU_DEP_2) | instskip(SKIP_1) | instid1(VALU_DEP_3)
	v_sub_nc_u32_e32 v26, 0x79, v31
	v_cmp_gt_u32_e32 vcc_lo, 0x7a, v31
	v_or_b32_e32 v28, 0x800000, v3
	s_delay_alu instid0(VALU_DEP_3) | instskip(SKIP_1) | instid1(VALU_DEP_3)
	v_cndmask_b32_e32 v26, 0, v26, vcc_lo
	v_cmp_eq_u32_e32 vcc_lo, 0, v31
	v_cndmask_b32_e32 v96, v28, v3, vcc_lo
	s_delay_alu instid0(VALU_DEP_3) | instskip(NEXT) | instid1(VALU_DEP_1)
	v_cndmask_b32_e64 v54, v26, 0x78, vcc_lo
	v_dual_add_nc_u32 v26, 20, v54 :: v_dual_add_nc_u32 v29, 19, v54
	s_delay_alu instid0(VALU_DEP_1) | instskip(NEXT) | instid1(VALU_DEP_2)
	v_lshlrev_b64_e64 v[26:27], v26, -1
	v_lshlrev_b64_e64 v[28:29], v29, 1
	s_delay_alu instid0(VALU_DEP_2) | instskip(NEXT) | instid1(VALU_DEP_3)
	v_bfi_b32 v113, v27, 0, 0
	v_bfi_b32 v112, v26, 0, v96
	v_lshrrev_b64 v[26:27], v54, v[96:97]
	s_delay_alu instid0(VALU_DEP_2) | instskip(NEXT) | instid1(VALU_DEP_2)
	v_cmp_eq_u64_e64 s10, v[112:113], v[28:29]
	v_mov_b64_e32 v[28:29], v[26:27]
	s_and_saveexec_b32 s40, s10
; %bb.1232:                             ;   in Loop: Header=BB6_128 Depth=2
	v_bfe_u32 v96, v26, 20, 1
	s_delay_alu instid0(VALU_DEP_1) | instskip(NEXT) | instid1(VALU_DEP_1)
	v_add_nc_u64_e32 v[28:29], v[26:27], v[96:97]
	v_add_nc_u64_e32 v[28:29], -1, v[28:29]
; %bb.1233:                             ;   in Loop: Header=BB6_128 Depth=2
	s_or_b32 exec_lo, exec_lo, s40
	v_add_nc_u32_e32 v3, 0xffffff81, v31
	v_lshrrev_b32_e32 v27, 23, v26
	s_mov_b32 s10, exec_lo
	s_delay_alu instid0(VALU_DEP_2) | instskip(NEXT) | instid1(VALU_DEP_1)
	v_cndmask_b32_e64 v3, v3, 0xffffff82, vcc_lo
	v_add3_u32 v29, v54, v3, v27
	v_and_b32_e32 v3, 0xfffff, v28
	s_delay_alu instid0(VALU_DEP_1) | instskip(NEXT) | instid1(VALU_DEP_1)
	v_dual_add_nc_u32 v28, 6, v29 :: v_dual_add_nc_u32 v96, v3, v26
                                        ; implicit-def: $vgpr26_vgpr27
                                        ; implicit-def: $vgpr3
	v_cmpx_ne_u32_e32 0, v28
	s_xor_b32 s10, exec_lo, s10
; %bb.1234:                             ;   in Loop: Header=BB6_128 Depth=2
	s_delay_alu instid0(VALU_DEP_2) | instskip(SKIP_2) | instid1(VALU_DEP_2)
	v_cmp_lt_u64_e32 vcc_lo, 0xffffff, v[96:97]
	v_add_nc_u32_e32 v3, 7, v29
	v_cndmask_b32_e64 v26, 0, 1, vcc_lo
	v_cndmask_b32_e32 v3, v28, v3, vcc_lo
	s_delay_alu instid0(VALU_DEP_2)
	v_lshrrev_b64 v[26:27], v26, v[96:97]
; %bb.1235:                             ;   in Loop: Header=BB6_128 Depth=2
	s_and_not1_saveexec_b32 s10, s10
; %bb.1236:                             ;   in Loop: Header=BB6_128 Depth=2
	v_mov_b64_e32 v[26:27], v[96:97]
	v_bfe_u32 v3, v96, 23, 1
; %bb.1237:                             ;   in Loop: Header=BB6_128 Depth=2
	s_or_b32 exec_lo, exec_lo, s10
	s_delay_alu instid0(VALU_DEP_2) | instskip(NEXT) | instid1(VALU_DEP_2)
	v_lshrrev_b64 v[26:27], 20, v[26:27]
	v_cmp_gt_i32_e32 vcc_lo, 16, v3
	v_min_i32_e32 v28, 15, v3
	v_cmp_eq_u32_e64 s10, 0, v3
	s_delay_alu instid0(VALU_DEP_2) | instskip(SKIP_1) | instid1(VALU_DEP_2)
	v_dual_cndmask_b32 v26, 7, v26, vcc_lo :: v_dual_lshlrev_b32 v28, 3, v28
	v_cndmask_b32_e32 v27, 0, v27, vcc_lo
	v_and_b32_e32 v28, 0xf8, v28
	s_delay_alu instid0(VALU_DEP_2) | instskip(NEXT) | instid1(VALU_DEP_2)
	v_cmp_eq_u64_e32 vcc_lo, 0, v[26:27]
	v_and_or_b32 v3, v26, 7, v28
	s_and_b32 s10, s10, vcc_lo
	s_delay_alu instid0(VALU_DEP_1) | instid1(SALU_CYCLE_1)
	v_cndmask_b32_e64 v3, v3, 0, s10
	s_delay_alu instid0(VALU_DEP_1)
	v_or_b32_e32 v121, v3, v2
.LBB6_1238:                             ;   in Loop: Header=BB6_128 Depth=2
	s_or_b32 exec_lo, exec_lo, s29
                                        ; implicit-def: $vgpr2
.LBB6_1239:                             ;   in Loop: Header=BB6_128 Depth=2
	s_and_not1_saveexec_b32 s10, s28
; %bb.1240:                             ;   in Loop: Header=BB6_128 Depth=2
	v_or_b32_e32 v121, 0x7e, v2
; %bb.1241:                             ;   in Loop: Header=BB6_128 Depth=2
	s_or_b32 exec_lo, exec_lo, s10
                                        ; implicit-def: $vgpr2
.LBB6_1242:                             ;   in Loop: Header=BB6_128 Depth=2
	s_and_not1_saveexec_b32 s10, s27
; %bb.1243:                             ;   in Loop: Header=BB6_128 Depth=2
	v_or_b32_e32 v121, 0x7f, v2
; %bb.1244:                             ;   in Loop: Header=BB6_128 Depth=2
	s_or_b32 exec_lo, exec_lo, s10
	v_and_b32_e32 v26, 0xff, v23
	v_dual_mov_b32 v96, v23 :: v_dual_mov_b32 v3, 0
	v_mov_b32_e32 v2, 0
	s_mov_b32 s10, exec_lo
	s_delay_alu instid0(VALU_DEP_3)
	v_cmpx_ne_u16_e32 0, v26
	s_cbranch_execz .LBB6_1250
; %bb.1245:                             ;   in Loop: Header=BB6_128 Depth=2
	v_bfrev_b32_e32 v2, 1
	s_mov_b32 s27, exec_lo
	v_cmpx_ne_u16_e32 0x80, v26
	s_cbranch_execz .LBB6_1249
; %bb.1246:                             ;   in Loop: Header=BB6_128 Depth=2
	v_and_b32_e32 v26, 0x7f, v23
	v_mov_b32_e32 v2, 0x7f800001
	s_mov_b32 s28, exec_lo
	s_delay_alu instid0(VALU_DEP_2)
	v_cmpx_ne_u32_e32 0x7f, v26
	s_cbranch_execz .LBB6_1248
; %bb.1247:                             ;   in Loop: Header=BB6_128 Depth=2
	v_dual_lshrrev_b32 v27, 3, v26 :: v_dual_bitop2_b32 v2, 7, v23 bitop3:0x40
	v_cmp_gt_u32_e32 vcc_lo, 8, v26
	s_delay_alu instid0(VALU_DEP_2) | instskip(NEXT) | instid1(VALU_DEP_1)
	v_clz_i32_u32_e32 v2, v2
	v_min_u32_e32 v2, 32, v2
	s_delay_alu instid0(VALU_DEP_1) | instskip(NEXT) | instid1(VALU_DEP_1)
	v_subrev_nc_u32_e32 v28, 28, v2
	v_dual_sub_nc_u32 v2, 29, v2 :: v_dual_cndmask_b32 v26, 0, v28, vcc_lo
	s_delay_alu instid0(VALU_DEP_1) | instskip(NEXT) | instid1(VALU_DEP_2)
	v_cndmask_b32_e32 v2, v27, v2, vcc_lo
	v_lshlrev_b64_e32 v[26:27], v26, v[96:97]
	v_lshlrev_b32_e32 v27, 24, v96
	s_delay_alu instid0(VALU_DEP_3) | instskip(NEXT) | instid1(VALU_DEP_2)
	v_lshl_add_u32 v2, v2, 23, 0x3c000000
	v_and_b32_e32 v27, 0x80000000, v27
	s_delay_alu instid0(VALU_DEP_4) | instskip(NEXT) | instid1(VALU_DEP_1)
	v_lshlrev_b32_e32 v26, 20, v26
	v_and_b32_e32 v26, 0x700000, v26
	s_delay_alu instid0(VALU_DEP_1)
	v_or3_b32 v2, v26, v27, v2
.LBB6_1248:                             ;   in Loop: Header=BB6_128 Depth=2
	s_or_b32 exec_lo, exec_lo, s28
.LBB6_1249:                             ;   in Loop: Header=BB6_128 Depth=2
	s_delay_alu instid0(SALU_CYCLE_1)
	s_or_b32 exec_lo, exec_lo, s27
.LBB6_1250:                             ;   in Loop: Header=BB6_128 Depth=2
	s_delay_alu instid0(SALU_CYCLE_1) | instskip(SKIP_2) | instid1(VALU_DEP_1)
	s_or_b32 exec_lo, exec_lo, s10
	v_and_b32_e32 v26, 0xff, v19
	s_mov_b32 s10, exec_lo
	v_cmpx_ne_u16_e32 0, v26
	s_cbranch_execz .LBB6_1256
; %bb.1251:                             ;   in Loop: Header=BB6_128 Depth=2
	v_bfrev_b32_e32 v3, 1
	s_mov_b32 s27, exec_lo
	v_cmpx_ne_u16_e32 0x80, v26
	s_cbranch_execz .LBB6_1255
; %bb.1252:                             ;   in Loop: Header=BB6_128 Depth=2
	v_and_b32_e32 v26, 0x7f, v19
	v_mov_b32_e32 v3, 0x7f800001
	s_mov_b32 s28, exec_lo
	s_delay_alu instid0(VALU_DEP_2)
	v_cmpx_ne_u32_e32 0x7f, v26
	s_cbranch_execz .LBB6_1254
; %bb.1253:                             ;   in Loop: Header=BB6_128 Depth=2
	v_dual_lshrrev_b32 v28, 3, v26 :: v_dual_bitop2_b32 v3, 7, v19 bitop3:0x40
	v_cmp_gt_u32_e32 vcc_lo, 8, v26
	v_mov_b32_e32 v26, v19
	s_delay_alu instid0(VALU_DEP_3) | instskip(NEXT) | instid1(VALU_DEP_1)
	v_clz_i32_u32_e32 v3, v3
	v_min_u32_e32 v3, 32, v3
	s_delay_alu instid0(VALU_DEP_1) | instskip(SKIP_1) | instid1(VALU_DEP_2)
	v_sub_nc_u32_e32 v29, 29, v3
	v_subrev_nc_u32_e32 v3, 28, v3
	v_dual_mov_b32 v27, v97 :: v_dual_cndmask_b32 v31, v28, v29, vcc_lo
	s_delay_alu instid0(VALU_DEP_2) | instskip(NEXT) | instid1(VALU_DEP_1)
	v_cndmask_b32_e32 v3, 0, v3, vcc_lo
	v_lshlrev_b64_e32 v[28:29], v3, v[26:27]
	v_lshlrev_b32_e32 v3, 24, v26
	s_delay_alu instid0(VALU_DEP_4) | instskip(NEXT) | instid1(VALU_DEP_2)
	v_lshl_add_u32 v27, v31, 23, 0x3c000000
	v_and_b32_e32 v3, 0x80000000, v3
	s_delay_alu instid0(VALU_DEP_4) | instskip(NEXT) | instid1(VALU_DEP_1)
	v_lshlrev_b32_e32 v26, 20, v28
	v_and_b32_e32 v26, 0x700000, v26
	s_delay_alu instid0(VALU_DEP_1)
	v_or3_b32 v3, v26, v3, v27
.LBB6_1254:                             ;   in Loop: Header=BB6_128 Depth=2
	s_or_b32 exec_lo, exec_lo, s28
.LBB6_1255:                             ;   in Loop: Header=BB6_128 Depth=2
	s_delay_alu instid0(SALU_CYCLE_1)
	s_or_b32 exec_lo, exec_lo, s27
.LBB6_1256:                             ;   in Loop: Header=BB6_128 Depth=2
	s_delay_alu instid0(SALU_CYCLE_1) | instskip(NEXT) | instid1(VALU_DEP_1)
	s_or_b32 exec_lo, exec_lo, s10
	v_dual_mul_f32 v3, v2, v3 :: v_dual_mov_b32 v27, v97
                                        ; implicit-def: $vgpr122
	s_mov_b32 s10, exec_lo
	s_delay_alu instid0(VALU_DEP_1) | instskip(SKIP_1) | instid1(VALU_DEP_2)
	v_and_b32_e32 v26, 0x7f800000, v3
	v_lshrrev_b32_e32 v2, 24, v3
	v_cmpx_ne_u64_e32 0x7f800000, v[26:27]
	s_xor_b32 s27, exec_lo, s10
	s_cbranch_execz .LBB6_1270
; %bb.1257:                             ;   in Loop: Header=BB6_128 Depth=2
	v_and_b32_e32 v26, 0x7fffffff, v3
	v_mov_b32_e32 v27, v97
	v_and_b32_e32 v2, 0x80, v2
                                        ; implicit-def: $vgpr122
	s_mov_b32 s10, exec_lo
	s_delay_alu instid0(VALU_DEP_2)
	v_cmpx_gt_u64_e32 0x43e00001, v[26:27]
	s_xor_b32 s28, exec_lo, s10
	s_cbranch_execz .LBB6_1267
; %bb.1258:                             ;   in Loop: Header=BB6_128 Depth=2
	v_mov_b32_e32 v122, 0
	s_mov_b32 s29, exec_lo
	v_cmpx_ne_u32_e32 0, v3
	s_cbranch_execz .LBB6_1266
; %bb.1259:                             ;   in Loop: Header=BB6_128 Depth=2
	v_and_b32_e32 v26, 0x7fffff, v3
	v_bfe_u32 v3, v3, 23, 8
	s_delay_alu instid0(VALU_DEP_2) | instskip(NEXT) | instid1(VALU_DEP_2)
	v_or_b32_e32 v28, 0x800000, v26
	v_cmp_eq_u32_e32 vcc_lo, 0, v3
	v_cmp_gt_u32_e64 s10, 0x7a, v3
	s_delay_alu instid0(VALU_DEP_3) | instskip(NEXT) | instid1(VALU_DEP_1)
	v_dual_cndmask_b32 v26, v28, v26 :: v_dual_sub_nc_u32 v27, 0x79, v3
	v_cndmask_b32_e64 v27, 0, v27, s10
	s_delay_alu instid0(VALU_DEP_1) | instskip(NEXT) | instid1(VALU_DEP_1)
	v_cndmask_b32_e64 v31, v27, 0x78, vcc_lo
	v_dual_mov_b32 v27, v97 :: v_dual_add_nc_u32 v28, 20, v31
	v_add_nc_u32_e32 v54, 19, v31
	s_delay_alu instid0(VALU_DEP_2) | instskip(NEXT) | instid1(VALU_DEP_2)
	v_lshlrev_b64_e64 v[28:29], v28, -1
	v_lshlrev_b64_e64 v[54:55], v54, 1
	s_delay_alu instid0(VALU_DEP_2) | instskip(SKIP_1) | instid1(VALU_DEP_4)
	v_bfi_b32 v28, v28, 0, v26
	v_lshrrev_b64 v[26:27], v31, v[26:27]
	v_bfi_b32 v29, v29, 0, 0
	s_delay_alu instid0(VALU_DEP_1) | instskip(NEXT) | instid1(VALU_DEP_3)
	v_cmp_eq_u64_e64 s10, v[28:29], v[54:55]
	v_mov_b64_e32 v[28:29], v[26:27]
	s_and_saveexec_b32 s40, s10
; %bb.1260:                             ;   in Loop: Header=BB6_128 Depth=2
	v_bfe_u32 v28, v26, 20, 1
	v_mov_b32_e32 v29, v97
	s_delay_alu instid0(VALU_DEP_1) | instskip(NEXT) | instid1(VALU_DEP_1)
	v_add_nc_u64_e32 v[28:29], v[26:27], v[28:29]
	v_add_nc_u64_e32 v[28:29], -1, v[28:29]
; %bb.1261:                             ;   in Loop: Header=BB6_128 Depth=2
	s_or_b32 exec_lo, exec_lo, s40
	v_add_nc_u32_e32 v3, 0xffffff81, v3
	v_lshrrev_b32_e32 v27, 23, v26
	s_mov_b32 s10, exec_lo
	s_delay_alu instid0(VALU_DEP_2) | instskip(NEXT) | instid1(VALU_DEP_1)
	v_cndmask_b32_e64 v3, v3, 0xffffff82, vcc_lo
	v_add3_u32 v29, v31, v3, v27
	v_and_b32_e32 v3, 0xfffff, v28
	s_delay_alu instid0(VALU_DEP_2) | instskip(NEXT) | instid1(VALU_DEP_2)
	v_dual_mov_b32 v27, v97 :: v_dual_add_nc_u32 v28, 6, v29
	v_add_nc_u32_e32 v26, v3, v26
                                        ; implicit-def: $vgpr3
	s_delay_alu instid0(VALU_DEP_2)
	v_cmpx_ne_u32_e32 0, v28
	s_xor_b32 s10, exec_lo, s10
; %bb.1262:                             ;   in Loop: Header=BB6_128 Depth=2
	s_delay_alu instid0(VALU_DEP_2) | instskip(SKIP_1) | instid1(VALU_DEP_1)
	v_cmp_lt_u64_e32 vcc_lo, 0xffffff, v[26:27]
	v_add_nc_u32_e32 v3, 7, v29
	v_cndmask_b32_e32 v3, v28, v3, vcc_lo
	v_cndmask_b32_e64 v28, 0, 1, vcc_lo
	s_delay_alu instid0(VALU_DEP_1)
	v_lshrrev_b64 v[26:27], v28, v[26:27]
; %bb.1263:                             ;   in Loop: Header=BB6_128 Depth=2
	s_and_not1_saveexec_b32 s10, s10
; %bb.1264:                             ;   in Loop: Header=BB6_128 Depth=2
	s_delay_alu instid0(VALU_DEP_1)
	v_bfe_u32 v3, v26, 23, 1
; %bb.1265:                             ;   in Loop: Header=BB6_128 Depth=2
	s_or_b32 exec_lo, exec_lo, s10
	s_delay_alu instid0(VALU_DEP_2) | instskip(NEXT) | instid1(VALU_DEP_2)
	v_lshrrev_b64 v[26:27], 20, v[26:27]
	v_cmp_gt_i32_e32 vcc_lo, 16, v3
	v_min_i32_e32 v28, 15, v3
	v_cmp_eq_u32_e64 s10, 0, v3
	s_delay_alu instid0(VALU_DEP_2) | instskip(SKIP_1) | instid1(VALU_DEP_2)
	v_dual_cndmask_b32 v26, 7, v26, vcc_lo :: v_dual_lshlrev_b32 v28, 3, v28
	v_cndmask_b32_e32 v27, 0, v27, vcc_lo
	v_and_b32_e32 v28, 0xf8, v28
	s_delay_alu instid0(VALU_DEP_2) | instskip(NEXT) | instid1(VALU_DEP_2)
	v_cmp_eq_u64_e32 vcc_lo, 0, v[26:27]
	v_and_or_b32 v3, v26, 7, v28
	s_and_b32 s10, s10, vcc_lo
	s_delay_alu instid0(VALU_DEP_1) | instid1(SALU_CYCLE_1)
	v_cndmask_b32_e64 v3, v3, 0, s10
	s_delay_alu instid0(VALU_DEP_1)
	v_or_b32_e32 v122, v3, v2
.LBB6_1266:                             ;   in Loop: Header=BB6_128 Depth=2
	s_or_b32 exec_lo, exec_lo, s29
                                        ; implicit-def: $vgpr2
.LBB6_1267:                             ;   in Loop: Header=BB6_128 Depth=2
	s_and_not1_saveexec_b32 s10, s28
; %bb.1268:                             ;   in Loop: Header=BB6_128 Depth=2
	v_or_b32_e32 v122, 0x7e, v2
; %bb.1269:                             ;   in Loop: Header=BB6_128 Depth=2
	s_or_b32 exec_lo, exec_lo, s10
                                        ; implicit-def: $vgpr2
.LBB6_1270:                             ;   in Loop: Header=BB6_128 Depth=2
	s_and_not1_saveexec_b32 s10, s27
; %bb.1271:                             ;   in Loop: Header=BB6_128 Depth=2
	v_or_b32_e32 v122, 0x7f, v2
; %bb.1272:                             ;   in Loop: Header=BB6_128 Depth=2
	s_or_b32 exec_lo, exec_lo, s10
	v_lshrrev_b16 v26, 8, v96
	v_dual_mov_b32 v2, 0 :: v_dual_mov_b32 v3, 0
	s_mov_b32 s10, exec_lo
	s_delay_alu instid0(VALU_DEP_2)
	v_cmpx_ne_u16_e32 0, v26
	s_cbranch_execz .LBB6_1280
; %bb.1273:                             ;   in Loop: Header=BB6_128 Depth=2
	v_bfrev_b32_e32 v3, 1
	s_mov_b32 s27, exec_lo
	v_cmpx_ne_u16_e32 0x80, v26
	s_cbranch_execz .LBB6_1279
; %bb.1274:                             ;   in Loop: Header=BB6_128 Depth=2
	v_and_b32_e32 v26, 0xffff, v26
	v_mov_b32_e32 v3, 0x7f800001
	s_mov_b32 s28, exec_lo
	s_delay_alu instid0(VALU_DEP_2) | instskip(NEXT) | instid1(VALU_DEP_1)
	v_and_b32_e32 v28, 0x7f, v26
	v_cmpx_ne_u32_e32 0x7f, v28
	s_cbranch_execz .LBB6_1278
; %bb.1275:                             ;   in Loop: Header=BB6_128 Depth=2
	v_dual_mov_b32 v27, v97 :: v_dual_bitop2_b32 v26, 7, v26 bitop3:0x40
	v_lshrrev_b32_e32 v3, 3, v28
	s_mov_b32 s29, exec_lo
	v_cmpx_gt_u32_e32 8, v28
; %bb.1276:                             ;   in Loop: Header=BB6_128 Depth=2
	s_delay_alu instid0(VALU_DEP_3) | instskip(NEXT) | instid1(VALU_DEP_1)
	v_clz_i32_u32_e32 v3, v26
	v_min_u32_e32 v3, 32, v3
	s_delay_alu instid0(VALU_DEP_1) | instskip(NEXT) | instid1(VALU_DEP_1)
	v_subrev_nc_u32_e32 v28, 28, v3
	v_lshlrev_b64_e32 v[26:27], v28, v[26:27]
	s_delay_alu instid0(VALU_DEP_1)
	v_dual_sub_nc_u32 v3, 29, v3 :: v_dual_bitop2_b32 v26, 7, v26 bitop3:0x40
; %bb.1277:                             ;   in Loop: Header=BB6_128 Depth=2
	s_or_b32 exec_lo, exec_lo, s29
	s_delay_alu instid0(VALU_DEP_1) | instskip(NEXT) | instid1(VALU_DEP_2)
	v_dual_lshlrev_b32 v27, 16, v96 :: v_dual_lshlrev_b32 v26, 20, v26
	v_lshl_add_u32 v3, v3, 23, 0x3c000000
	s_delay_alu instid0(VALU_DEP_2) | instskip(NEXT) | instid1(VALU_DEP_1)
	v_and_b32_e32 v27, 0x80000000, v27
	v_or3_b32 v3, v26, v27, v3
.LBB6_1278:                             ;   in Loop: Header=BB6_128 Depth=2
	s_or_b32 exec_lo, exec_lo, s28
.LBB6_1279:                             ;   in Loop: Header=BB6_128 Depth=2
	s_delay_alu instid0(SALU_CYCLE_1)
	s_or_b32 exec_lo, exec_lo, s27
.LBB6_1280:                             ;   in Loop: Header=BB6_128 Depth=2
	s_delay_alu instid0(SALU_CYCLE_1) | instskip(SKIP_2) | instid1(VALU_DEP_1)
	s_or_b32 exec_lo, exec_lo, s10
	v_lshrrev_b16 v26, 8, v19
	s_mov_b32 s10, exec_lo
	v_cmpx_ne_u16_e32 0, v26
	s_cbranch_execz .LBB6_1288
; %bb.1281:                             ;   in Loop: Header=BB6_128 Depth=2
	v_bfrev_b32_e32 v2, 1
	s_mov_b32 s27, exec_lo
	v_cmpx_ne_u16_e32 0x80, v26
	s_cbranch_execz .LBB6_1287
; %bb.1282:                             ;   in Loop: Header=BB6_128 Depth=2
	v_and_b32_e32 v27, 0xffff, v26
	v_mov_b32_e32 v2, 0x7f800001
	s_mov_b32 s28, exec_lo
	s_delay_alu instid0(VALU_DEP_2) | instskip(NEXT) | instid1(VALU_DEP_1)
	v_and_b32_e32 v26, 0x7f, v27
	v_cmpx_ne_u32_e32 0x7f, v26
	s_cbranch_execz .LBB6_1286
; %bb.1283:                             ;   in Loop: Header=BB6_128 Depth=2
	v_dual_lshrrev_b32 v2, 3, v26 :: v_dual_bitop2_b32 v96, 7, v27 bitop3:0x40
	s_mov_b32 s29, exec_lo
	v_cmpx_gt_u32_e32 8, v26
; %bb.1284:                             ;   in Loop: Header=BB6_128 Depth=2
	s_delay_alu instid0(VALU_DEP_2) | instskip(NEXT) | instid1(VALU_DEP_1)
	v_clz_i32_u32_e32 v2, v96
	v_min_u32_e32 v2, 32, v2
	s_delay_alu instid0(VALU_DEP_1) | instskip(SKIP_1) | instid1(VALU_DEP_2)
	v_subrev_nc_u32_e32 v26, 28, v2
	v_sub_nc_u32_e32 v2, 29, v2
	v_lshlrev_b64_e32 v[26:27], v26, v[96:97]
	s_delay_alu instid0(VALU_DEP_1)
	v_and_b32_e32 v96, 7, v26
; %bb.1285:                             ;   in Loop: Header=BB6_128 Depth=2
	s_or_b32 exec_lo, exec_lo, s29
	s_delay_alu instid0(VALU_DEP_1) | instskip(SKIP_1) | instid1(VALU_DEP_2)
	v_dual_lshlrev_b32 v26, 16, v19 :: v_dual_lshlrev_b32 v27, 20, v96
	v_lshl_add_u32 v2, v2, 23, 0x3c000000
	v_and_b32_e32 v26, 0x80000000, v26
	s_delay_alu instid0(VALU_DEP_1)
	v_or3_b32 v2, v27, v26, v2
.LBB6_1286:                             ;   in Loop: Header=BB6_128 Depth=2
	s_or_b32 exec_lo, exec_lo, s28
.LBB6_1287:                             ;   in Loop: Header=BB6_128 Depth=2
	s_delay_alu instid0(SALU_CYCLE_1)
	s_or_b32 exec_lo, exec_lo, s27
.LBB6_1288:                             ;   in Loop: Header=BB6_128 Depth=2
	s_delay_alu instid0(SALU_CYCLE_1) | instskip(NEXT) | instid1(VALU_DEP_1)
	s_or_b32 exec_lo, exec_lo, s10
	v_mul_f32_e32 v3, v3, v2
                                        ; implicit-def: $vgpr123
	s_mov_b32 s10, exec_lo
	s_delay_alu instid0(VALU_DEP_1) | instskip(SKIP_1) | instid1(VALU_DEP_2)
	v_and_b32_e32 v96, 0x7f800000, v3
	v_lshrrev_b32_e32 v2, 24, v3
	v_cmpx_ne_u64_e32 0x7f800000, v[96:97]
	s_xor_b32 s27, exec_lo, s10
	s_cbranch_execz .LBB6_1302
; %bb.1289:                             ;   in Loop: Header=BB6_128 Depth=2
	v_and_b32_e32 v96, 0x7fffffff, v3
	v_and_b32_e32 v2, 0x80, v2
                                        ; implicit-def: $vgpr123
	s_mov_b32 s10, exec_lo
	s_delay_alu instid0(VALU_DEP_2)
	v_cmpx_gt_u64_e32 0x43e00001, v[96:97]
	s_xor_b32 s28, exec_lo, s10
	s_cbranch_execz .LBB6_1299
; %bb.1290:                             ;   in Loop: Header=BB6_128 Depth=2
	v_mov_b32_e32 v123, 0
	s_mov_b32 s29, exec_lo
	v_cmpx_ne_u32_e32 0, v3
	s_cbranch_execz .LBB6_1298
; %bb.1291:                             ;   in Loop: Header=BB6_128 Depth=2
	v_and_b32_e32 v26, 0x7fffff, v3
	v_bfe_u32 v3, v3, 23, 8
	s_delay_alu instid0(VALU_DEP_2) | instskip(NEXT) | instid1(VALU_DEP_2)
	v_or_b32_e32 v28, 0x800000, v26
	v_cmp_eq_u32_e32 vcc_lo, 0, v3
	v_cmp_gt_u32_e64 s10, 0x7a, v3
	s_delay_alu instid0(VALU_DEP_3) | instskip(NEXT) | instid1(VALU_DEP_1)
	v_dual_cndmask_b32 v96, v28, v26 :: v_dual_sub_nc_u32 v27, 0x79, v3
	v_cndmask_b32_e64 v27, 0, v27, s10
	s_delay_alu instid0(VALU_DEP_1) | instskip(NEXT) | instid1(VALU_DEP_1)
	v_cndmask_b32_e64 v31, v27, 0x78, vcc_lo
	v_dual_add_nc_u32 v26, 20, v31 :: v_dual_add_nc_u32 v28, 19, v31
	s_delay_alu instid0(VALU_DEP_1) | instskip(NEXT) | instid1(VALU_DEP_2)
	v_lshlrev_b64_e64 v[26:27], v26, -1
	v_lshlrev_b64_e64 v[28:29], v28, 1
	s_delay_alu instid0(VALU_DEP_2) | instskip(NEXT) | instid1(VALU_DEP_3)
	v_bfi_b32 v27, v27, 0, 0
	v_bfi_b32 v26, v26, 0, v96
	s_delay_alu instid0(VALU_DEP_1) | instskip(SKIP_1) | instid1(VALU_DEP_1)
	v_cmp_eq_u64_e64 s10, v[26:27], v[28:29]
	v_lshrrev_b64 v[26:27], v31, v[96:97]
	v_mov_b64_e32 v[28:29], v[26:27]
	s_and_saveexec_b32 s40, s10
; %bb.1292:                             ;   in Loop: Header=BB6_128 Depth=2
	v_bfe_u32 v96, v26, 20, 1
	s_delay_alu instid0(VALU_DEP_1) | instskip(NEXT) | instid1(VALU_DEP_1)
	v_add_nc_u64_e32 v[28:29], v[26:27], v[96:97]
	v_add_nc_u64_e32 v[28:29], -1, v[28:29]
; %bb.1293:                             ;   in Loop: Header=BB6_128 Depth=2
	s_or_b32 exec_lo, exec_lo, s40
	v_add_nc_u32_e32 v3, 0xffffff81, v3
	v_lshrrev_b32_e32 v27, 23, v26
	s_mov_b32 s10, exec_lo
	s_delay_alu instid0(VALU_DEP_2) | instskip(NEXT) | instid1(VALU_DEP_1)
	v_cndmask_b32_e64 v3, v3, 0xffffff82, vcc_lo
	v_add3_u32 v29, v31, v3, v27
	v_and_b32_e32 v3, 0xfffff, v28
	s_delay_alu instid0(VALU_DEP_1) | instskip(NEXT) | instid1(VALU_DEP_1)
	v_dual_add_nc_u32 v28, 6, v29 :: v_dual_add_nc_u32 v96, v3, v26
                                        ; implicit-def: $vgpr26_vgpr27
                                        ; implicit-def: $vgpr3
	v_cmpx_ne_u32_e32 0, v28
	s_xor_b32 s10, exec_lo, s10
; %bb.1294:                             ;   in Loop: Header=BB6_128 Depth=2
	s_delay_alu instid0(VALU_DEP_2) | instskip(SKIP_2) | instid1(VALU_DEP_2)
	v_cmp_lt_u64_e32 vcc_lo, 0xffffff, v[96:97]
	v_add_nc_u32_e32 v3, 7, v29
	v_cndmask_b32_e64 v26, 0, 1, vcc_lo
	v_cndmask_b32_e32 v3, v28, v3, vcc_lo
	s_delay_alu instid0(VALU_DEP_2)
	v_lshrrev_b64 v[26:27], v26, v[96:97]
; %bb.1295:                             ;   in Loop: Header=BB6_128 Depth=2
	s_and_not1_saveexec_b32 s10, s10
; %bb.1296:                             ;   in Loop: Header=BB6_128 Depth=2
	v_mov_b64_e32 v[26:27], v[96:97]
	v_bfe_u32 v3, v96, 23, 1
; %bb.1297:                             ;   in Loop: Header=BB6_128 Depth=2
	s_or_b32 exec_lo, exec_lo, s10
	s_delay_alu instid0(VALU_DEP_2) | instskip(NEXT) | instid1(VALU_DEP_2)
	v_lshrrev_b64 v[26:27], 20, v[26:27]
	v_cmp_gt_i32_e32 vcc_lo, 16, v3
	v_min_i32_e32 v28, 15, v3
	v_cmp_eq_u32_e64 s10, 0, v3
	s_delay_alu instid0(VALU_DEP_2) | instskip(SKIP_1) | instid1(VALU_DEP_2)
	v_dual_cndmask_b32 v26, 7, v26, vcc_lo :: v_dual_lshlrev_b32 v28, 3, v28
	v_cndmask_b32_e32 v27, 0, v27, vcc_lo
	v_and_b32_e32 v28, 0xf8, v28
	s_delay_alu instid0(VALU_DEP_2) | instskip(NEXT) | instid1(VALU_DEP_2)
	v_cmp_eq_u64_e32 vcc_lo, 0, v[26:27]
	v_and_or_b32 v3, v26, 7, v28
	s_and_b32 s10, s10, vcc_lo
	s_delay_alu instid0(VALU_DEP_1) | instid1(SALU_CYCLE_1)
	v_cndmask_b32_e64 v3, v3, 0, s10
	s_delay_alu instid0(VALU_DEP_1)
	v_or_b32_e32 v123, v3, v2
.LBB6_1298:                             ;   in Loop: Header=BB6_128 Depth=2
	s_or_b32 exec_lo, exec_lo, s29
                                        ; implicit-def: $vgpr2
.LBB6_1299:                             ;   in Loop: Header=BB6_128 Depth=2
	s_and_not1_saveexec_b32 s10, s28
; %bb.1300:                             ;   in Loop: Header=BB6_128 Depth=2
	v_or_b32_e32 v123, 0x7e, v2
; %bb.1301:                             ;   in Loop: Header=BB6_128 Depth=2
	s_or_b32 exec_lo, exec_lo, s10
                                        ; implicit-def: $vgpr2
.LBB6_1302:                             ;   in Loop: Header=BB6_128 Depth=2
	s_and_not1_saveexec_b32 s10, s27
; %bb.1303:                             ;   in Loop: Header=BB6_128 Depth=2
	v_or_b32_e32 v123, 0x7f, v2
; %bb.1304:                             ;   in Loop: Header=BB6_128 Depth=2
	s_or_b32 exec_lo, exec_lo, s10
	v_dual_lshrrev_b32 v26, 16, v23 :: v_dual_mov_b32 v2, 0
	v_mov_b32_e32 v3, 0
	s_mov_b32 s10, exec_lo
	s_delay_alu instid0(VALU_DEP_2) | instskip(NEXT) | instid1(VALU_DEP_1)
	v_and_b32_e32 v27, 0xff, v26
	v_cmpx_ne_u16_e32 0, v27
	s_cbranch_execz .LBB6_1312
; %bb.1305:                             ;   in Loop: Header=BB6_128 Depth=2
	v_bfrev_b32_e32 v3, 1
	s_mov_b32 s27, exec_lo
	v_cmpx_ne_u16_e32 0x80, v27
	s_cbranch_execz .LBB6_1311
; %bb.1306:                             ;   in Loop: Header=BB6_128 Depth=2
	v_bfe_u32 v27, v23, 16, 7
	v_mov_b32_e32 v3, 0x7f800001
	s_mov_b32 s28, exec_lo
	s_delay_alu instid0(VALU_DEP_2)
	v_cmpx_ne_u32_e32 0x7f, v27
	s_cbranch_execz .LBB6_1310
; %bb.1307:                             ;   in Loop: Header=BB6_128 Depth=2
	v_dual_lshrrev_b32 v3, 3, v27 :: v_dual_bitop2_b32 v96, 7, v26 bitop3:0x40
	s_mov_b32 s29, exec_lo
	v_cmpx_gt_u32_e32 8, v27
; %bb.1308:                             ;   in Loop: Header=BB6_128 Depth=2
	s_delay_alu instid0(VALU_DEP_2) | instskip(NEXT) | instid1(VALU_DEP_1)
	v_clz_i32_u32_e32 v3, v96
	v_min_u32_e32 v3, 32, v3
	s_delay_alu instid0(VALU_DEP_1) | instskip(NEXT) | instid1(VALU_DEP_1)
	v_subrev_nc_u32_e32 v27, 28, v3
	v_lshlrev_b64_e32 v[28:29], v27, v[96:97]
	s_delay_alu instid0(VALU_DEP_1)
	v_dual_sub_nc_u32 v3, 29, v3 :: v_dual_bitop2_b32 v96, 7, v28 bitop3:0x40
; %bb.1309:                             ;   in Loop: Header=BB6_128 Depth=2
	s_or_b32 exec_lo, exec_lo, s29
	s_delay_alu instid0(VALU_DEP_1) | instskip(NEXT) | instid1(VALU_DEP_2)
	v_dual_lshlrev_b32 v26, 24, v26 :: v_dual_lshlrev_b32 v27, 20, v96
	v_lshl_add_u32 v3, v3, 23, 0x3c000000
	s_delay_alu instid0(VALU_DEP_2) | instskip(NEXT) | instid1(VALU_DEP_1)
	v_and_b32_e32 v26, 0x80000000, v26
	v_or3_b32 v3, v27, v26, v3
.LBB6_1310:                             ;   in Loop: Header=BB6_128 Depth=2
	s_or_b32 exec_lo, exec_lo, s28
.LBB6_1311:                             ;   in Loop: Header=BB6_128 Depth=2
	s_delay_alu instid0(SALU_CYCLE_1)
	s_or_b32 exec_lo, exec_lo, s27
.LBB6_1312:                             ;   in Loop: Header=BB6_128 Depth=2
	s_delay_alu instid0(SALU_CYCLE_1) | instskip(SKIP_2) | instid1(VALU_DEP_1)
	s_or_b32 exec_lo, exec_lo, s10
	v_lshrrev_b32_e32 v26, 16, v19
	s_mov_b32 s10, exec_lo
	v_and_b32_e32 v27, 0xff, v26
	s_delay_alu instid0(VALU_DEP_1)
	v_cmpx_ne_u16_e32 0, v27
	s_cbranch_execz .LBB6_1320
; %bb.1313:                             ;   in Loop: Header=BB6_128 Depth=2
	v_bfrev_b32_e32 v2, 1
	s_mov_b32 s27, exec_lo
	v_cmpx_ne_u16_e32 0x80, v27
	s_cbranch_execz .LBB6_1319
; %bb.1314:                             ;   in Loop: Header=BB6_128 Depth=2
	v_bfe_u32 v27, v19, 16, 7
	v_mov_b32_e32 v2, 0x7f800001
	s_mov_b32 s28, exec_lo
	s_delay_alu instid0(VALU_DEP_2)
	v_cmpx_ne_u32_e32 0x7f, v27
	s_cbranch_execz .LBB6_1318
; %bb.1315:                             ;   in Loop: Header=BB6_128 Depth=2
	v_dual_lshrrev_b32 v2, 3, v27 :: v_dual_bitop2_b32 v96, 7, v26 bitop3:0x40
	s_mov_b32 s29, exec_lo
	v_cmpx_gt_u32_e32 8, v27
; %bb.1316:                             ;   in Loop: Header=BB6_128 Depth=2
	s_delay_alu instid0(VALU_DEP_2) | instskip(NEXT) | instid1(VALU_DEP_1)
	v_clz_i32_u32_e32 v2, v96
	v_min_u32_e32 v2, 32, v2
	s_delay_alu instid0(VALU_DEP_1) | instskip(SKIP_1) | instid1(VALU_DEP_2)
	v_subrev_nc_u32_e32 v26, 28, v2
	v_sub_nc_u32_e32 v2, 29, v2
	v_lshlrev_b64_e32 v[26:27], v26, v[96:97]
	s_delay_alu instid0(VALU_DEP_1)
	v_and_b32_e32 v96, 7, v26
; %bb.1317:                             ;   in Loop: Header=BB6_128 Depth=2
	s_or_b32 exec_lo, exec_lo, s29
	s_delay_alu instid0(VALU_DEP_1) | instskip(SKIP_1) | instid1(VALU_DEP_2)
	v_dual_lshlrev_b32 v26, 8, v19 :: v_dual_lshlrev_b32 v27, 20, v96
	v_lshl_add_u32 v2, v2, 23, 0x3c000000
	v_and_b32_e32 v26, 0x80000000, v26
	s_delay_alu instid0(VALU_DEP_1)
	v_or3_b32 v2, v27, v26, v2
.LBB6_1318:                             ;   in Loop: Header=BB6_128 Depth=2
	s_or_b32 exec_lo, exec_lo, s28
.LBB6_1319:                             ;   in Loop: Header=BB6_128 Depth=2
	s_delay_alu instid0(SALU_CYCLE_1)
	s_or_b32 exec_lo, exec_lo, s27
.LBB6_1320:                             ;   in Loop: Header=BB6_128 Depth=2
	s_delay_alu instid0(SALU_CYCLE_1) | instskip(NEXT) | instid1(VALU_DEP_1)
	s_or_b32 exec_lo, exec_lo, s10
	v_mul_f32_e32 v3, v3, v2
                                        ; implicit-def: $vgpr26
	s_mov_b32 s10, exec_lo
	s_delay_alu instid0(VALU_DEP_1) | instskip(SKIP_1) | instid1(VALU_DEP_2)
	v_and_b32_e32 v96, 0x7f800000, v3
	v_lshrrev_b32_e32 v2, 24, v3
	v_cmpx_ne_u64_e32 0x7f800000, v[96:97]
	s_xor_b32 s27, exec_lo, s10
	s_cbranch_execz .LBB6_1334
; %bb.1321:                             ;   in Loop: Header=BB6_128 Depth=2
	v_and_b32_e32 v96, 0x7fffffff, v3
	v_and_b32_e32 v2, 0x80, v2
                                        ; implicit-def: $vgpr26
	s_mov_b32 s10, exec_lo
	s_delay_alu instid0(VALU_DEP_2)
	v_cmpx_gt_u64_e32 0x43e00001, v[96:97]
	s_xor_b32 s28, exec_lo, s10
	s_cbranch_execz .LBB6_1331
; %bb.1322:                             ;   in Loop: Header=BB6_128 Depth=2
	v_mov_b32_e32 v26, 0
	s_mov_b32 s29, exec_lo
	v_cmpx_ne_u32_e32 0, v3
	s_cbranch_execz .LBB6_1330
; %bb.1323:                             ;   in Loop: Header=BB6_128 Depth=2
	v_and_b32_e32 v26, 0x7fffff, v3
	v_bfe_u32 v3, v3, 23, 8
	s_delay_alu instid0(VALU_DEP_2) | instskip(NEXT) | instid1(VALU_DEP_2)
	v_or_b32_e32 v28, 0x800000, v26
	v_cmp_eq_u32_e32 vcc_lo, 0, v3
	v_cmp_gt_u32_e64 s10, 0x7a, v3
	s_delay_alu instid0(VALU_DEP_3) | instskip(NEXT) | instid1(VALU_DEP_1)
	v_dual_cndmask_b32 v96, v28, v26 :: v_dual_sub_nc_u32 v27, 0x79, v3
	v_cndmask_b32_e64 v27, 0, v27, s10
	s_delay_alu instid0(VALU_DEP_1) | instskip(NEXT) | instid1(VALU_DEP_1)
	v_cndmask_b32_e64 v31, v27, 0x78, vcc_lo
	v_dual_add_nc_u32 v26, 20, v31 :: v_dual_add_nc_u32 v28, 19, v31
	s_delay_alu instid0(VALU_DEP_1) | instskip(NEXT) | instid1(VALU_DEP_2)
	v_lshlrev_b64_e64 v[26:27], v26, -1
	v_lshlrev_b64_e64 v[28:29], v28, 1
	s_delay_alu instid0(VALU_DEP_2) | instskip(NEXT) | instid1(VALU_DEP_3)
	v_bfi_b32 v27, v27, 0, 0
	v_bfi_b32 v26, v26, 0, v96
	s_delay_alu instid0(VALU_DEP_1) | instskip(SKIP_1) | instid1(VALU_DEP_1)
	v_cmp_eq_u64_e64 s10, v[26:27], v[28:29]
	v_lshrrev_b64 v[26:27], v31, v[96:97]
	v_mov_b64_e32 v[28:29], v[26:27]
	s_and_saveexec_b32 s40, s10
; %bb.1324:                             ;   in Loop: Header=BB6_128 Depth=2
	v_bfe_u32 v96, v26, 20, 1
	s_delay_alu instid0(VALU_DEP_1) | instskip(NEXT) | instid1(VALU_DEP_1)
	v_add_nc_u64_e32 v[28:29], v[26:27], v[96:97]
	v_add_nc_u64_e32 v[28:29], -1, v[28:29]
; %bb.1325:                             ;   in Loop: Header=BB6_128 Depth=2
	s_or_b32 exec_lo, exec_lo, s40
	v_add_nc_u32_e32 v3, 0xffffff81, v3
	v_lshrrev_b32_e32 v27, 23, v26
	s_mov_b32 s10, exec_lo
	s_delay_alu instid0(VALU_DEP_2) | instskip(NEXT) | instid1(VALU_DEP_1)
	v_cndmask_b32_e64 v3, v3, 0xffffff82, vcc_lo
	v_add3_u32 v29, v31, v3, v27
	v_and_b32_e32 v3, 0xfffff, v28
	s_delay_alu instid0(VALU_DEP_1) | instskip(NEXT) | instid1(VALU_DEP_1)
	v_dual_add_nc_u32 v28, 6, v29 :: v_dual_add_nc_u32 v96, v3, v26
                                        ; implicit-def: $vgpr26_vgpr27
                                        ; implicit-def: $vgpr3
	v_cmpx_ne_u32_e32 0, v28
	s_xor_b32 s10, exec_lo, s10
; %bb.1326:                             ;   in Loop: Header=BB6_128 Depth=2
	s_delay_alu instid0(VALU_DEP_2) | instskip(SKIP_2) | instid1(VALU_DEP_2)
	v_cmp_lt_u64_e32 vcc_lo, 0xffffff, v[96:97]
	v_add_nc_u32_e32 v3, 7, v29
	v_cndmask_b32_e64 v26, 0, 1, vcc_lo
	v_cndmask_b32_e32 v3, v28, v3, vcc_lo
	s_delay_alu instid0(VALU_DEP_2)
	v_lshrrev_b64 v[26:27], v26, v[96:97]
; %bb.1327:                             ;   in Loop: Header=BB6_128 Depth=2
	s_and_not1_saveexec_b32 s10, s10
; %bb.1328:                             ;   in Loop: Header=BB6_128 Depth=2
	v_mov_b64_e32 v[26:27], v[96:97]
	v_bfe_u32 v3, v96, 23, 1
; %bb.1329:                             ;   in Loop: Header=BB6_128 Depth=2
	s_or_b32 exec_lo, exec_lo, s10
	s_delay_alu instid0(VALU_DEP_2) | instskip(NEXT) | instid1(VALU_DEP_2)
	v_lshrrev_b64 v[26:27], 20, v[26:27]
	v_cmp_gt_i32_e32 vcc_lo, 16, v3
	v_min_i32_e32 v28, 15, v3
	v_cmp_eq_u32_e64 s10, 0, v3
	s_delay_alu instid0(VALU_DEP_2) | instskip(SKIP_1) | instid1(VALU_DEP_2)
	v_dual_cndmask_b32 v26, 7, v26, vcc_lo :: v_dual_lshlrev_b32 v28, 3, v28
	v_cndmask_b32_e32 v27, 0, v27, vcc_lo
	v_and_b32_e32 v28, 0xf8, v28
	s_delay_alu instid0(VALU_DEP_2) | instskip(NEXT) | instid1(VALU_DEP_2)
	v_cmp_eq_u64_e32 vcc_lo, 0, v[26:27]
	v_and_or_b32 v3, v26, 7, v28
	s_and_b32 s10, s10, vcc_lo
	s_delay_alu instid0(VALU_DEP_1) | instid1(SALU_CYCLE_1)
	v_cndmask_b32_e64 v3, v3, 0, s10
	s_delay_alu instid0(VALU_DEP_1)
	v_or_b32_e32 v26, v3, v2
.LBB6_1330:                             ;   in Loop: Header=BB6_128 Depth=2
	s_or_b32 exec_lo, exec_lo, s29
                                        ; implicit-def: $vgpr2
.LBB6_1331:                             ;   in Loop: Header=BB6_128 Depth=2
	s_and_not1_saveexec_b32 s10, s28
; %bb.1332:                             ;   in Loop: Header=BB6_128 Depth=2
	v_or_b32_e32 v26, 0x7e, v2
; %bb.1333:                             ;   in Loop: Header=BB6_128 Depth=2
	s_or_b32 exec_lo, exec_lo, s10
                                        ; implicit-def: $vgpr2
.LBB6_1334:                             ;   in Loop: Header=BB6_128 Depth=2
	s_and_not1_saveexec_b32 s10, s27
; %bb.1335:                             ;   in Loop: Header=BB6_128 Depth=2
	v_or_b32_e32 v26, 0x7f, v2
; %bb.1336:                             ;   in Loop: Header=BB6_128 Depth=2
	s_or_b32 exec_lo, exec_lo, s10
	v_dual_mov_b32 v2, 0 :: v_dual_mov_b32 v3, 0
	s_mov_b32 s10, exec_lo
	v_cmpx_lt_u64_e64 s[14:15], v[22:23]
	s_cbranch_execz .LBB6_1344
; %bb.1337:                             ;   in Loop: Header=BB6_128 Depth=2
	v_lshrrev_b32_e32 v22, 24, v23
	v_bfrev_b32_e32 v3, 1
	s_mov_b32 s27, exec_lo
	s_delay_alu instid0(VALU_DEP_2)
	v_cmpx_ne_u32_e32 0x80, v22
	s_cbranch_execz .LBB6_1343
; %bb.1338:                             ;   in Loop: Header=BB6_128 Depth=2
	v_bfe_u32 v23, v23, 24, 7
	v_mov_b32_e32 v3, 0x7f800001
	s_mov_b32 s28, exec_lo
	s_delay_alu instid0(VALU_DEP_2)
	v_cmpx_ne_u32_e32 0x7f, v23
	s_cbranch_execz .LBB6_1342
; %bb.1339:                             ;   in Loop: Header=BB6_128 Depth=2
	v_dual_lshrrev_b32 v3, 3, v23 :: v_dual_bitop2_b32 v96, 7, v22 bitop3:0x40
	s_mov_b32 s29, exec_lo
	v_cmpx_gt_u32_e32 8, v23
; %bb.1340:                             ;   in Loop: Header=BB6_128 Depth=2
	s_delay_alu instid0(VALU_DEP_2) | instskip(NEXT) | instid1(VALU_DEP_1)
	v_clz_i32_u32_e32 v3, v96
	v_min_u32_e32 v3, 32, v3
	s_delay_alu instid0(VALU_DEP_1) | instskip(NEXT) | instid1(VALU_DEP_1)
	v_subrev_nc_u32_e32 v23, 28, v3
	v_lshlrev_b64_e32 v[28:29], v23, v[96:97]
	s_delay_alu instid0(VALU_DEP_1)
	v_dual_sub_nc_u32 v3, 29, v3 :: v_dual_bitop2_b32 v96, 7, v28 bitop3:0x40
; %bb.1341:                             ;   in Loop: Header=BB6_128 Depth=2
	s_or_b32 exec_lo, exec_lo, s29
	s_delay_alu instid0(VALU_DEP_1) | instskip(NEXT) | instid1(VALU_DEP_2)
	v_dual_lshlrev_b32 v22, 24, v22 :: v_dual_lshlrev_b32 v23, 20, v96
	v_lshl_add_u32 v3, v3, 23, 0x3c000000
	s_delay_alu instid0(VALU_DEP_2) | instskip(NEXT) | instid1(VALU_DEP_1)
	v_and_b32_e32 v22, 0x80000000, v22
	v_or3_b32 v3, v23, v22, v3
.LBB6_1342:                             ;   in Loop: Header=BB6_128 Depth=2
	s_or_b32 exec_lo, exec_lo, s28
.LBB6_1343:                             ;   in Loop: Header=BB6_128 Depth=2
	s_delay_alu instid0(SALU_CYCLE_1)
	s_or_b32 exec_lo, exec_lo, s27
.LBB6_1344:                             ;   in Loop: Header=BB6_128 Depth=2
	s_delay_alu instid0(SALU_CYCLE_1) | instskip(NEXT) | instid1(SALU_CYCLE_1)
	s_or_b32 exec_lo, exec_lo, s10
	s_mov_b32 s10, exec_lo
	v_cmpx_lt_u64_e64 s[14:15], v[18:19]
	s_cbranch_execz .LBB6_1352
; %bb.1345:                             ;   in Loop: Header=BB6_128 Depth=2
	v_lshrrev_b32_e32 v18, 24, v19
	v_bfrev_b32_e32 v2, 1
	s_mov_b32 s27, exec_lo
	s_delay_alu instid0(VALU_DEP_2)
	v_cmpx_ne_u32_e32 0x80, v18
	s_cbranch_execz .LBB6_1351
; %bb.1346:                             ;   in Loop: Header=BB6_128 Depth=2
	v_bfe_u32 v19, v19, 24, 7
	v_mov_b32_e32 v2, 0x7f800001
	s_mov_b32 s28, exec_lo
	s_delay_alu instid0(VALU_DEP_2)
	v_cmpx_ne_u32_e32 0x7f, v19
	s_cbranch_execz .LBB6_1350
; %bb.1347:                             ;   in Loop: Header=BB6_128 Depth=2
	v_dual_lshrrev_b32 v2, 3, v19 :: v_dual_bitop2_b32 v96, 7, v18 bitop3:0x40
	s_mov_b32 s29, exec_lo
	v_cmpx_gt_u32_e32 8, v19
; %bb.1348:                             ;   in Loop: Header=BB6_128 Depth=2
	s_delay_alu instid0(VALU_DEP_2) | instskip(NEXT) | instid1(VALU_DEP_1)
	v_clz_i32_u32_e32 v2, v96
	v_min_u32_e32 v2, 32, v2
	s_delay_alu instid0(VALU_DEP_1) | instskip(SKIP_1) | instid1(VALU_DEP_2)
	v_subrev_nc_u32_e32 v19, 28, v2
	v_sub_nc_u32_e32 v2, 29, v2
	v_lshlrev_b64_e32 v[22:23], v19, v[96:97]
	s_delay_alu instid0(VALU_DEP_1)
	v_and_b32_e32 v96, 7, v22
; %bb.1349:                             ;   in Loop: Header=BB6_128 Depth=2
	s_or_b32 exec_lo, exec_lo, s29
	s_delay_alu instid0(VALU_DEP_1) | instskip(SKIP_1) | instid1(VALU_DEP_2)
	v_dual_lshlrev_b32 v18, 24, v18 :: v_dual_lshlrev_b32 v19, 20, v96
	v_lshl_add_u32 v2, v2, 23, 0x3c000000
	v_and_b32_e32 v18, 0x80000000, v18
	s_delay_alu instid0(VALU_DEP_1)
	v_or3_b32 v2, v19, v18, v2
.LBB6_1350:                             ;   in Loop: Header=BB6_128 Depth=2
	s_or_b32 exec_lo, exec_lo, s28
.LBB6_1351:                             ;   in Loop: Header=BB6_128 Depth=2
	s_delay_alu instid0(SALU_CYCLE_1)
	s_or_b32 exec_lo, exec_lo, s27
.LBB6_1352:                             ;   in Loop: Header=BB6_128 Depth=2
	s_delay_alu instid0(SALU_CYCLE_1) | instskip(NEXT) | instid1(VALU_DEP_1)
	s_or_b32 exec_lo, exec_lo, s10
	v_mul_f32_e32 v3, v3, v2
                                        ; implicit-def: $vgpr27
	s_mov_b32 s10, exec_lo
	s_delay_alu instid0(VALU_DEP_1) | instskip(SKIP_1) | instid1(VALU_DEP_2)
	v_and_b32_e32 v96, 0x7f800000, v3
	v_lshrrev_b32_e32 v2, 24, v3
	v_cmpx_ne_u64_e32 0x7f800000, v[96:97]
	s_xor_b32 s27, exec_lo, s10
	s_cbranch_execz .LBB6_1366
; %bb.1353:                             ;   in Loop: Header=BB6_128 Depth=2
	v_and_b32_e32 v96, 0x7fffffff, v3
	v_and_b32_e32 v2, 0x80, v2
                                        ; implicit-def: $vgpr27
	s_mov_b32 s10, exec_lo
	s_delay_alu instid0(VALU_DEP_2)
	v_cmpx_gt_u64_e32 0x43e00001, v[96:97]
	s_xor_b32 s28, exec_lo, s10
	s_cbranch_execz .LBB6_1363
; %bb.1354:                             ;   in Loop: Header=BB6_128 Depth=2
	v_mov_b32_e32 v27, 0
	s_mov_b32 s29, exec_lo
	v_cmpx_ne_u32_e32 0, v3
	s_cbranch_execz .LBB6_1362
; %bb.1355:                             ;   in Loop: Header=BB6_128 Depth=2
	v_bfe_u32 v27, v3, 23, 8
	v_and_b32_e32 v3, 0x7fffff, v3
	s_delay_alu instid0(VALU_DEP_2) | instskip(SKIP_1) | instid1(VALU_DEP_3)
	v_sub_nc_u32_e32 v18, 0x79, v27
	v_cmp_gt_u32_e32 vcc_lo, 0x7a, v27
	v_or_b32_e32 v22, 0x800000, v3
	s_delay_alu instid0(VALU_DEP_3) | instskip(SKIP_1) | instid1(VALU_DEP_2)
	v_cndmask_b32_e32 v18, 0, v18, vcc_lo
	v_cmp_eq_u32_e32 vcc_lo, 0, v27
	v_cndmask_b32_e64 v28, v18, 0x78, vcc_lo
	s_delay_alu instid0(VALU_DEP_1) | instskip(SKIP_1) | instid1(VALU_DEP_2)
	v_dual_cndmask_b32 v96, v22, v3, vcc_lo :: v_dual_add_nc_u32 v18, 20, v28
	v_add_nc_u32_e32 v23, 19, v28
	v_lshlrev_b64_e64 v[18:19], v18, -1
	s_delay_alu instid0(VALU_DEP_2) | instskip(NEXT) | instid1(VALU_DEP_2)
	v_lshlrev_b64_e64 v[22:23], v23, 1
	v_bfi_b32 v55, v19, 0, 0
	s_delay_alu instid0(VALU_DEP_3) | instskip(SKIP_1) | instid1(VALU_DEP_2)
	v_bfi_b32 v54, v18, 0, v96
	v_lshrrev_b64 v[18:19], v28, v[96:97]
	v_cmp_eq_u64_e64 s10, v[54:55], v[22:23]
	s_delay_alu instid0(VALU_DEP_2)
	v_mov_b64_e32 v[22:23], v[18:19]
	s_and_saveexec_b32 s40, s10
; %bb.1356:                             ;   in Loop: Header=BB6_128 Depth=2
	v_bfe_u32 v96, v18, 20, 1
	s_delay_alu instid0(VALU_DEP_1) | instskip(NEXT) | instid1(VALU_DEP_1)
	v_add_nc_u64_e32 v[22:23], v[18:19], v[96:97]
	v_add_nc_u64_e32 v[22:23], -1, v[22:23]
; %bb.1357:                             ;   in Loop: Header=BB6_128 Depth=2
	s_or_b32 exec_lo, exec_lo, s40
	v_add_nc_u32_e32 v3, 0xffffff81, v27
	v_lshrrev_b32_e32 v19, 23, v18
	s_mov_b32 s10, exec_lo
	s_delay_alu instid0(VALU_DEP_2) | instskip(NEXT) | instid1(VALU_DEP_1)
	v_cndmask_b32_e64 v3, v3, 0xffffff82, vcc_lo
	v_add3_u32 v23, v28, v3, v19
	v_and_b32_e32 v3, 0xfffff, v22
	s_delay_alu instid0(VALU_DEP_1) | instskip(NEXT) | instid1(VALU_DEP_1)
	v_dual_add_nc_u32 v22, 6, v23 :: v_dual_add_nc_u32 v96, v3, v18
                                        ; implicit-def: $vgpr18_vgpr19
                                        ; implicit-def: $vgpr3
	v_cmpx_ne_u32_e32 0, v22
	s_xor_b32 s10, exec_lo, s10
; %bb.1358:                             ;   in Loop: Header=BB6_128 Depth=2
	s_delay_alu instid0(VALU_DEP_2) | instskip(SKIP_2) | instid1(VALU_DEP_2)
	v_cmp_lt_u64_e32 vcc_lo, 0xffffff, v[96:97]
	v_add_nc_u32_e32 v3, 7, v23
	v_cndmask_b32_e64 v18, 0, 1, vcc_lo
	v_cndmask_b32_e32 v3, v22, v3, vcc_lo
	s_delay_alu instid0(VALU_DEP_2)
	v_lshrrev_b64 v[18:19], v18, v[96:97]
; %bb.1359:                             ;   in Loop: Header=BB6_128 Depth=2
	s_and_not1_saveexec_b32 s10, s10
; %bb.1360:                             ;   in Loop: Header=BB6_128 Depth=2
	v_mov_b64_e32 v[18:19], v[96:97]
	v_bfe_u32 v3, v96, 23, 1
; %bb.1361:                             ;   in Loop: Header=BB6_128 Depth=2
	s_or_b32 exec_lo, exec_lo, s10
	s_delay_alu instid0(VALU_DEP_2) | instskip(NEXT) | instid1(VALU_DEP_2)
	v_lshrrev_b64 v[18:19], 20, v[18:19]
	v_cmp_gt_i32_e32 vcc_lo, 16, v3
	v_min_i32_e32 v22, 15, v3
	v_cmp_eq_u32_e64 s10, 0, v3
	s_delay_alu instid0(VALU_DEP_4) | instskip(NEXT) | instid1(VALU_DEP_3)
	v_cndmask_b32_e32 v18, 7, v18, vcc_lo
	v_dual_cndmask_b32 v19, 0, v19 :: v_dual_lshlrev_b32 v22, 3, v22
	s_delay_alu instid0(VALU_DEP_1) | instskip(NEXT) | instid1(VALU_DEP_2)
	v_and_b32_e32 v22, 0xf8, v22
	v_cmp_eq_u64_e32 vcc_lo, 0, v[18:19]
	s_delay_alu instid0(VALU_DEP_2)
	v_and_or_b32 v3, v18, 7, v22
	s_and_b32 s10, s10, vcc_lo
	s_delay_alu instid0(VALU_DEP_1) | instid1(SALU_CYCLE_1)
	v_cndmask_b32_e64 v3, v3, 0, s10
	s_delay_alu instid0(VALU_DEP_1)
	v_or_b32_e32 v27, v3, v2
.LBB6_1362:                             ;   in Loop: Header=BB6_128 Depth=2
	s_or_b32 exec_lo, exec_lo, s29
                                        ; implicit-def: $vgpr2
.LBB6_1363:                             ;   in Loop: Header=BB6_128 Depth=2
	s_and_not1_saveexec_b32 s10, s28
; %bb.1364:                             ;   in Loop: Header=BB6_128 Depth=2
	v_or_b32_e32 v27, 0x7e, v2
; %bb.1365:                             ;   in Loop: Header=BB6_128 Depth=2
	s_or_b32 exec_lo, exec_lo, s10
                                        ; implicit-def: $vgpr2
.LBB6_1366:                             ;   in Loop: Header=BB6_128 Depth=2
	s_and_not1_saveexec_b32 s10, s27
; %bb.1367:                             ;   in Loop: Header=BB6_128 Depth=2
	v_or_b32_e32 v27, 0x7f, v2
; %bb.1368:                             ;   in Loop: Header=BB6_128 Depth=2
	s_or_b32 exec_lo, exec_lo, s10
	v_and_b32_e32 v18, 0xff, v24
	v_dual_mov_b32 v2, 0 :: v_dual_mov_b32 v3, 0
	s_mov_b32 s10, exec_lo
	s_delay_alu instid0(VALU_DEP_2)
	v_cmpx_ne_u16_e32 0, v18
	s_cbranch_execz .LBB6_1374
; %bb.1369:                             ;   in Loop: Header=BB6_128 Depth=2
	v_bfrev_b32_e32 v3, 1
	s_mov_b32 s27, exec_lo
	v_cmpx_ne_u16_e32 0x80, v18
	s_cbranch_execz .LBB6_1373
; %bb.1370:                             ;   in Loop: Header=BB6_128 Depth=2
	v_and_b32_e32 v18, 0x7f, v24
	v_mov_b32_e32 v3, 0x7f800001
	s_mov_b32 s28, exec_lo
	s_delay_alu instid0(VALU_DEP_2)
	v_cmpx_ne_u32_e32 0x7f, v18
	s_cbranch_execz .LBB6_1372
; %bb.1371:                             ;   in Loop: Header=BB6_128 Depth=2
	v_dual_lshrrev_b32 v19, 3, v18 :: v_dual_bitop2_b32 v3, 7, v24 bitop3:0x40
	v_cmp_gt_u32_e32 vcc_lo, 8, v18
	s_delay_alu instid0(VALU_DEP_2) | instskip(NEXT) | instid1(VALU_DEP_1)
	v_clz_i32_u32_e32 v3, v3
	v_min_u32_e32 v3, 32, v3
	s_delay_alu instid0(VALU_DEP_1) | instskip(NEXT) | instid1(VALU_DEP_1)
	v_subrev_nc_u32_e32 v22, 28, v3
	v_dual_cndmask_b32 v18, 0, v22 :: v_dual_sub_nc_u32 v3, 29, v3
	s_delay_alu instid0(VALU_DEP_1) | instskip(NEXT) | instid1(VALU_DEP_2)
	v_cndmask_b32_e32 v3, v19, v3, vcc_lo
	v_lshlrev_b64_e32 v[18:19], v18, v[24:25]
	v_lshlrev_b32_e32 v19, 24, v24
	s_delay_alu instid0(VALU_DEP_3) | instskip(NEXT) | instid1(VALU_DEP_2)
	v_lshl_add_u32 v3, v3, 23, 0x3c000000
	v_and_b32_e32 v19, 0x80000000, v19
	s_delay_alu instid0(VALU_DEP_4) | instskip(NEXT) | instid1(VALU_DEP_1)
	v_lshlrev_b32_e32 v18, 20, v18
	v_and_b32_e32 v18, 0x700000, v18
	s_delay_alu instid0(VALU_DEP_1)
	v_or3_b32 v3, v18, v19, v3
.LBB6_1372:                             ;   in Loop: Header=BB6_128 Depth=2
	s_or_b32 exec_lo, exec_lo, s28
.LBB6_1373:                             ;   in Loop: Header=BB6_128 Depth=2
	s_delay_alu instid0(SALU_CYCLE_1)
	s_or_b32 exec_lo, exec_lo, s27
.LBB6_1374:                             ;   in Loop: Header=BB6_128 Depth=2
	s_delay_alu instid0(SALU_CYCLE_1) | instskip(SKIP_2) | instid1(VALU_DEP_1)
	s_or_b32 exec_lo, exec_lo, s10
	v_and_b32_e32 v18, 0xff, v20
	s_mov_b32 s10, exec_lo
	v_cmpx_ne_u16_e32 0, v18
	s_cbranch_execz .LBB6_1380
; %bb.1375:                             ;   in Loop: Header=BB6_128 Depth=2
	v_bfrev_b32_e32 v2, 1
	s_mov_b32 s27, exec_lo
	v_cmpx_ne_u16_e32 0x80, v18
	s_cbranch_execz .LBB6_1379
; %bb.1376:                             ;   in Loop: Header=BB6_128 Depth=2
	v_and_b32_e32 v18, 0x7f, v20
	v_mov_b32_e32 v2, 0x7f800001
	s_mov_b32 s28, exec_lo
	s_delay_alu instid0(VALU_DEP_2)
	v_cmpx_ne_u32_e32 0x7f, v18
	s_cbranch_execz .LBB6_1378
; %bb.1377:                             ;   in Loop: Header=BB6_128 Depth=2
	v_dual_lshrrev_b32 v19, 3, v18 :: v_dual_bitop2_b32 v2, 7, v20 bitop3:0x40
	v_cmp_gt_u32_e32 vcc_lo, 8, v18
	s_delay_alu instid0(VALU_DEP_2) | instskip(NEXT) | instid1(VALU_DEP_1)
	v_clz_i32_u32_e32 v2, v2
	v_min_u32_e32 v2, 32, v2
	s_delay_alu instid0(VALU_DEP_1) | instskip(SKIP_1) | instid1(VALU_DEP_2)
	v_subrev_nc_u32_e32 v22, 28, v2
	v_sub_nc_u32_e32 v2, 29, v2
	v_cndmask_b32_e32 v18, 0, v22, vcc_lo
	s_delay_alu instid0(VALU_DEP_2) | instskip(NEXT) | instid1(VALU_DEP_2)
	v_cndmask_b32_e32 v2, v19, v2, vcc_lo
	v_lshlrev_b64_e32 v[18:19], v18, v[20:21]
	v_lshlrev_b32_e32 v19, 24, v20
	s_delay_alu instid0(VALU_DEP_3) | instskip(NEXT) | instid1(VALU_DEP_2)
	v_lshl_add_u32 v2, v2, 23, 0x3c000000
	v_and_b32_e32 v19, 0x80000000, v19
	s_delay_alu instid0(VALU_DEP_4) | instskip(NEXT) | instid1(VALU_DEP_1)
	v_lshlrev_b32_e32 v18, 20, v18
	v_and_b32_e32 v18, 0x700000, v18
	s_delay_alu instid0(VALU_DEP_1)
	v_or3_b32 v2, v18, v19, v2
.LBB6_1378:                             ;   in Loop: Header=BB6_128 Depth=2
	s_or_b32 exec_lo, exec_lo, s28
.LBB6_1379:                             ;   in Loop: Header=BB6_128 Depth=2
	s_delay_alu instid0(SALU_CYCLE_1)
	s_or_b32 exec_lo, exec_lo, s27
.LBB6_1380:                             ;   in Loop: Header=BB6_128 Depth=2
	s_delay_alu instid0(SALU_CYCLE_1) | instskip(NEXT) | instid1(VALU_DEP_1)
	s_or_b32 exec_lo, exec_lo, s10
	v_mul_f32_e32 v3, v3, v2
                                        ; implicit-def: $vgpr28
	s_mov_b32 s10, exec_lo
	s_delay_alu instid0(VALU_DEP_1) | instskip(SKIP_1) | instid1(VALU_DEP_2)
	v_and_b32_e32 v96, 0x7f800000, v3
	v_lshrrev_b32_e32 v2, 24, v3
	v_cmpx_ne_u64_e32 0x7f800000, v[96:97]
	s_xor_b32 s27, exec_lo, s10
	s_cbranch_execz .LBB6_1394
; %bb.1381:                             ;   in Loop: Header=BB6_128 Depth=2
	v_and_b32_e32 v96, 0x7fffffff, v3
	v_and_b32_e32 v2, 0x80, v2
                                        ; implicit-def: $vgpr28
	s_mov_b32 s10, exec_lo
	s_delay_alu instid0(VALU_DEP_2)
	v_cmpx_gt_u64_e32 0x43e00001, v[96:97]
	s_xor_b32 s28, exec_lo, s10
	s_cbranch_execz .LBB6_1391
; %bb.1382:                             ;   in Loop: Header=BB6_128 Depth=2
	v_mov_b32_e32 v28, 0
	s_mov_b32 s29, exec_lo
	v_cmpx_ne_u32_e32 0, v3
	s_cbranch_execz .LBB6_1390
; %bb.1383:                             ;   in Loop: Header=BB6_128 Depth=2
	v_and_b32_e32 v18, 0x7fffff, v3
	v_bfe_u32 v3, v3, 23, 8
	s_delay_alu instid0(VALU_DEP_2) | instskip(NEXT) | instid1(VALU_DEP_2)
	v_or_b32_e32 v22, 0x800000, v18
	v_cmp_eq_u32_e32 vcc_lo, 0, v3
	v_cmp_gt_u32_e64 s10, 0x7a, v3
	s_delay_alu instid0(VALU_DEP_3) | instskip(NEXT) | instid1(VALU_DEP_1)
	v_dual_cndmask_b32 v96, v22, v18 :: v_dual_sub_nc_u32 v19, 0x79, v3
	v_cndmask_b32_e64 v19, 0, v19, s10
	s_delay_alu instid0(VALU_DEP_1) | instskip(NEXT) | instid1(VALU_DEP_1)
	v_cndmask_b32_e64 v28, v19, 0x78, vcc_lo
	v_dual_add_nc_u32 v18, 20, v28 :: v_dual_add_nc_u32 v22, 19, v28
	s_delay_alu instid0(VALU_DEP_1) | instskip(NEXT) | instid1(VALU_DEP_2)
	v_lshlrev_b64_e64 v[18:19], v18, -1
	v_lshlrev_b64_e64 v[22:23], v22, 1
	s_delay_alu instid0(VALU_DEP_2) | instskip(NEXT) | instid1(VALU_DEP_3)
	v_bfi_b32 v19, v19, 0, 0
	v_bfi_b32 v18, v18, 0, v96
	s_delay_alu instid0(VALU_DEP_1) | instskip(SKIP_1) | instid1(VALU_DEP_1)
	v_cmp_eq_u64_e64 s10, v[18:19], v[22:23]
	v_lshrrev_b64 v[18:19], v28, v[96:97]
	v_mov_b64_e32 v[22:23], v[18:19]
	s_and_saveexec_b32 s40, s10
; %bb.1384:                             ;   in Loop: Header=BB6_128 Depth=2
	v_bfe_u32 v96, v18, 20, 1
	s_delay_alu instid0(VALU_DEP_1) | instskip(NEXT) | instid1(VALU_DEP_1)
	v_add_nc_u64_e32 v[22:23], v[18:19], v[96:97]
	v_add_nc_u64_e32 v[22:23], -1, v[22:23]
; %bb.1385:                             ;   in Loop: Header=BB6_128 Depth=2
	s_or_b32 exec_lo, exec_lo, s40
	v_add_nc_u32_e32 v3, 0xffffff81, v3
	v_lshrrev_b32_e32 v19, 23, v18
	s_mov_b32 s10, exec_lo
	s_delay_alu instid0(VALU_DEP_2) | instskip(NEXT) | instid1(VALU_DEP_1)
	v_cndmask_b32_e64 v3, v3, 0xffffff82, vcc_lo
	v_add3_u32 v23, v28, v3, v19
	v_and_b32_e32 v3, 0xfffff, v22
	s_delay_alu instid0(VALU_DEP_1) | instskip(NEXT) | instid1(VALU_DEP_1)
	v_dual_add_nc_u32 v22, 6, v23 :: v_dual_add_nc_u32 v96, v3, v18
                                        ; implicit-def: $vgpr18_vgpr19
                                        ; implicit-def: $vgpr3
	v_cmpx_ne_u32_e32 0, v22
	s_xor_b32 s10, exec_lo, s10
; %bb.1386:                             ;   in Loop: Header=BB6_128 Depth=2
	s_delay_alu instid0(VALU_DEP_2) | instskip(SKIP_2) | instid1(VALU_DEP_2)
	v_cmp_lt_u64_e32 vcc_lo, 0xffffff, v[96:97]
	v_add_nc_u32_e32 v3, 7, v23
	v_cndmask_b32_e64 v18, 0, 1, vcc_lo
	v_cndmask_b32_e32 v3, v22, v3, vcc_lo
	s_delay_alu instid0(VALU_DEP_2)
	v_lshrrev_b64 v[18:19], v18, v[96:97]
; %bb.1387:                             ;   in Loop: Header=BB6_128 Depth=2
	s_and_not1_saveexec_b32 s10, s10
; %bb.1388:                             ;   in Loop: Header=BB6_128 Depth=2
	v_mov_b64_e32 v[18:19], v[96:97]
	v_bfe_u32 v3, v96, 23, 1
; %bb.1389:                             ;   in Loop: Header=BB6_128 Depth=2
	s_or_b32 exec_lo, exec_lo, s10
	s_delay_alu instid0(VALU_DEP_2) | instskip(NEXT) | instid1(VALU_DEP_2)
	v_lshrrev_b64 v[18:19], 20, v[18:19]
	v_cmp_gt_i32_e32 vcc_lo, 16, v3
	v_min_i32_e32 v22, 15, v3
	v_cmp_eq_u32_e64 s10, 0, v3
	s_delay_alu instid0(VALU_DEP_4) | instskip(NEXT) | instid1(VALU_DEP_3)
	v_cndmask_b32_e32 v18, 7, v18, vcc_lo
	v_dual_cndmask_b32 v19, 0, v19 :: v_dual_lshlrev_b32 v22, 3, v22
	s_delay_alu instid0(VALU_DEP_1) | instskip(NEXT) | instid1(VALU_DEP_2)
	v_and_b32_e32 v22, 0xf8, v22
	v_cmp_eq_u64_e32 vcc_lo, 0, v[18:19]
	s_delay_alu instid0(VALU_DEP_2)
	v_and_or_b32 v3, v18, 7, v22
	s_and_b32 s10, s10, vcc_lo
	s_delay_alu instid0(VALU_DEP_1) | instid1(SALU_CYCLE_1)
	v_cndmask_b32_e64 v3, v3, 0, s10
	s_delay_alu instid0(VALU_DEP_1)
	v_or_b32_e32 v28, v3, v2
.LBB6_1390:                             ;   in Loop: Header=BB6_128 Depth=2
	s_or_b32 exec_lo, exec_lo, s29
                                        ; implicit-def: $vgpr2
.LBB6_1391:                             ;   in Loop: Header=BB6_128 Depth=2
	s_and_not1_saveexec_b32 s10, s28
; %bb.1392:                             ;   in Loop: Header=BB6_128 Depth=2
	v_or_b32_e32 v28, 0x7e, v2
; %bb.1393:                             ;   in Loop: Header=BB6_128 Depth=2
	s_or_b32 exec_lo, exec_lo, s10
                                        ; implicit-def: $vgpr2
.LBB6_1394:                             ;   in Loop: Header=BB6_128 Depth=2
	s_and_not1_saveexec_b32 s10, s27
; %bb.1395:                             ;   in Loop: Header=BB6_128 Depth=2
	v_or_b32_e32 v28, 0x7f, v2
; %bb.1396:                             ;   in Loop: Header=BB6_128 Depth=2
	s_or_b32 exec_lo, exec_lo, s10
	v_lshrrev_b16 v18, 8, v24
	v_dual_mov_b32 v2, 0 :: v_dual_mov_b32 v3, 0
	s_mov_b32 s10, exec_lo
	s_delay_alu instid0(VALU_DEP_2)
	v_cmpx_ne_u16_e32 0, v18
	s_cbranch_execz .LBB6_1404
; %bb.1397:                             ;   in Loop: Header=BB6_128 Depth=2
	v_bfrev_b32_e32 v3, 1
	s_mov_b32 s27, exec_lo
	v_cmpx_ne_u16_e32 0x80, v18
	s_cbranch_execz .LBB6_1403
; %bb.1398:                             ;   in Loop: Header=BB6_128 Depth=2
	v_and_b32_e32 v19, 0xffff, v18
	v_mov_b32_e32 v3, 0x7f800001
	s_mov_b32 s28, exec_lo
	s_delay_alu instid0(VALU_DEP_2) | instskip(NEXT) | instid1(VALU_DEP_1)
	v_and_b32_e32 v18, 0x7f, v19
	v_cmpx_ne_u32_e32 0x7f, v18
	s_cbranch_execz .LBB6_1402
; %bb.1399:                             ;   in Loop: Header=BB6_128 Depth=2
	v_dual_lshrrev_b32 v3, 3, v18 :: v_dual_bitop2_b32 v96, 7, v19 bitop3:0x40
	s_mov_b32 s29, exec_lo
	v_cmpx_gt_u32_e32 8, v18
; %bb.1400:                             ;   in Loop: Header=BB6_128 Depth=2
	s_delay_alu instid0(VALU_DEP_2) | instskip(NEXT) | instid1(VALU_DEP_1)
	v_clz_i32_u32_e32 v3, v96
	v_min_u32_e32 v3, 32, v3
	s_delay_alu instid0(VALU_DEP_1) | instskip(NEXT) | instid1(VALU_DEP_1)
	v_subrev_nc_u32_e32 v18, 28, v3
	v_lshlrev_b64_e32 v[18:19], v18, v[96:97]
	s_delay_alu instid0(VALU_DEP_1)
	v_dual_sub_nc_u32 v3, 29, v3 :: v_dual_bitop2_b32 v96, 7, v18 bitop3:0x40
; %bb.1401:                             ;   in Loop: Header=BB6_128 Depth=2
	s_or_b32 exec_lo, exec_lo, s29
	v_lshlrev_b32_e32 v18, 16, v24
	s_delay_alu instid0(VALU_DEP_2) | instskip(NEXT) | instid1(VALU_DEP_3)
	v_lshlrev_b32_e32 v19, 20, v96
	v_lshl_add_u32 v3, v3, 23, 0x3c000000
	s_delay_alu instid0(VALU_DEP_3) | instskip(NEXT) | instid1(VALU_DEP_1)
	v_and_b32_e32 v18, 0x80000000, v18
	v_or3_b32 v3, v19, v18, v3
.LBB6_1402:                             ;   in Loop: Header=BB6_128 Depth=2
	s_or_b32 exec_lo, exec_lo, s28
.LBB6_1403:                             ;   in Loop: Header=BB6_128 Depth=2
	s_delay_alu instid0(SALU_CYCLE_1)
	s_or_b32 exec_lo, exec_lo, s27
.LBB6_1404:                             ;   in Loop: Header=BB6_128 Depth=2
	s_delay_alu instid0(SALU_CYCLE_1) | instskip(SKIP_2) | instid1(VALU_DEP_1)
	s_or_b32 exec_lo, exec_lo, s10
	v_lshrrev_b16 v18, 8, v20
	s_mov_b32 s10, exec_lo
	v_cmpx_ne_u16_e32 0, v18
	s_cbranch_execz .LBB6_1412
; %bb.1405:                             ;   in Loop: Header=BB6_128 Depth=2
	v_bfrev_b32_e32 v2, 1
	s_mov_b32 s27, exec_lo
	v_cmpx_ne_u16_e32 0x80, v18
	s_cbranch_execz .LBB6_1411
; %bb.1406:                             ;   in Loop: Header=BB6_128 Depth=2
	v_and_b32_e32 v19, 0xffff, v18
	v_mov_b32_e32 v2, 0x7f800001
	s_mov_b32 s28, exec_lo
	s_delay_alu instid0(VALU_DEP_2) | instskip(NEXT) | instid1(VALU_DEP_1)
	v_and_b32_e32 v18, 0x7f, v19
	v_cmpx_ne_u32_e32 0x7f, v18
	s_cbranch_execz .LBB6_1410
; %bb.1407:                             ;   in Loop: Header=BB6_128 Depth=2
	v_dual_lshrrev_b32 v2, 3, v18 :: v_dual_bitop2_b32 v96, 7, v19 bitop3:0x40
	s_mov_b32 s29, exec_lo
	v_cmpx_gt_u32_e32 8, v18
; %bb.1408:                             ;   in Loop: Header=BB6_128 Depth=2
	s_delay_alu instid0(VALU_DEP_2) | instskip(NEXT) | instid1(VALU_DEP_1)
	v_clz_i32_u32_e32 v2, v96
	v_min_u32_e32 v2, 32, v2
	s_delay_alu instid0(VALU_DEP_1) | instskip(SKIP_1) | instid1(VALU_DEP_2)
	v_subrev_nc_u32_e32 v18, 28, v2
	v_sub_nc_u32_e32 v2, 29, v2
	v_lshlrev_b64_e32 v[18:19], v18, v[96:97]
	s_delay_alu instid0(VALU_DEP_1)
	v_and_b32_e32 v96, 7, v18
; %bb.1409:                             ;   in Loop: Header=BB6_128 Depth=2
	s_or_b32 exec_lo, exec_lo, s29
	v_lshlrev_b32_e32 v18, 16, v20
	s_delay_alu instid0(VALU_DEP_2) | instskip(SKIP_1) | instid1(VALU_DEP_3)
	v_lshlrev_b32_e32 v19, 20, v96
	v_lshl_add_u32 v2, v2, 23, 0x3c000000
	v_and_b32_e32 v18, 0x80000000, v18
	s_delay_alu instid0(VALU_DEP_1)
	v_or3_b32 v2, v19, v18, v2
.LBB6_1410:                             ;   in Loop: Header=BB6_128 Depth=2
	s_or_b32 exec_lo, exec_lo, s28
.LBB6_1411:                             ;   in Loop: Header=BB6_128 Depth=2
	s_delay_alu instid0(SALU_CYCLE_1)
	s_or_b32 exec_lo, exec_lo, s27
.LBB6_1412:                             ;   in Loop: Header=BB6_128 Depth=2
	s_delay_alu instid0(SALU_CYCLE_1) | instskip(NEXT) | instid1(VALU_DEP_1)
	s_or_b32 exec_lo, exec_lo, s10
	v_mul_f32_e32 v3, v3, v2
                                        ; implicit-def: $vgpr29
	s_mov_b32 s10, exec_lo
	s_delay_alu instid0(VALU_DEP_1) | instskip(SKIP_1) | instid1(VALU_DEP_2)
	v_and_b32_e32 v96, 0x7f800000, v3
	v_lshrrev_b32_e32 v2, 24, v3
	v_cmpx_ne_u64_e32 0x7f800000, v[96:97]
	s_xor_b32 s27, exec_lo, s10
	s_cbranch_execz .LBB6_1426
; %bb.1413:                             ;   in Loop: Header=BB6_128 Depth=2
	v_and_b32_e32 v96, 0x7fffffff, v3
	v_and_b32_e32 v2, 0x80, v2
                                        ; implicit-def: $vgpr29
	s_mov_b32 s10, exec_lo
	s_delay_alu instid0(VALU_DEP_2)
	v_cmpx_gt_u64_e32 0x43e00001, v[96:97]
	s_xor_b32 s28, exec_lo, s10
	s_cbranch_execz .LBB6_1423
; %bb.1414:                             ;   in Loop: Header=BB6_128 Depth=2
	v_mov_b32_e32 v29, 0
	s_mov_b32 s29, exec_lo
	v_cmpx_ne_u32_e32 0, v3
	s_cbranch_execz .LBB6_1422
; %bb.1415:                             ;   in Loop: Header=BB6_128 Depth=2
	v_and_b32_e32 v18, 0x7fffff, v3
	v_bfe_u32 v3, v3, 23, 8
	s_delay_alu instid0(VALU_DEP_2) | instskip(NEXT) | instid1(VALU_DEP_2)
	v_or_b32_e32 v22, 0x800000, v18
	v_cmp_eq_u32_e32 vcc_lo, 0, v3
	v_cmp_gt_u32_e64 s10, 0x7a, v3
	s_delay_alu instid0(VALU_DEP_3) | instskip(NEXT) | instid1(VALU_DEP_1)
	v_dual_cndmask_b32 v96, v22, v18 :: v_dual_sub_nc_u32 v19, 0x79, v3
	v_cndmask_b32_e64 v19, 0, v19, s10
	s_delay_alu instid0(VALU_DEP_1) | instskip(NEXT) | instid1(VALU_DEP_1)
	v_cndmask_b32_e64 v29, v19, 0x78, vcc_lo
	v_dual_add_nc_u32 v18, 20, v29 :: v_dual_add_nc_u32 v22, 19, v29
	s_delay_alu instid0(VALU_DEP_1) | instskip(NEXT) | instid1(VALU_DEP_2)
	v_lshlrev_b64_e64 v[18:19], v18, -1
	v_lshlrev_b64_e64 v[22:23], v22, 1
	s_delay_alu instid0(VALU_DEP_2) | instskip(NEXT) | instid1(VALU_DEP_3)
	v_bfi_b32 v19, v19, 0, 0
	v_bfi_b32 v18, v18, 0, v96
	s_delay_alu instid0(VALU_DEP_1) | instskip(SKIP_1) | instid1(VALU_DEP_1)
	v_cmp_eq_u64_e64 s10, v[18:19], v[22:23]
	v_lshrrev_b64 v[18:19], v29, v[96:97]
	v_mov_b64_e32 v[22:23], v[18:19]
	s_and_saveexec_b32 s40, s10
; %bb.1416:                             ;   in Loop: Header=BB6_128 Depth=2
	v_bfe_u32 v96, v18, 20, 1
	s_delay_alu instid0(VALU_DEP_1) | instskip(NEXT) | instid1(VALU_DEP_1)
	v_add_nc_u64_e32 v[22:23], v[18:19], v[96:97]
	v_add_nc_u64_e32 v[22:23], -1, v[22:23]
; %bb.1417:                             ;   in Loop: Header=BB6_128 Depth=2
	s_or_b32 exec_lo, exec_lo, s40
	v_add_nc_u32_e32 v3, 0xffffff81, v3
	v_lshrrev_b32_e32 v19, 23, v18
	s_mov_b32 s10, exec_lo
	s_delay_alu instid0(VALU_DEP_2) | instskip(NEXT) | instid1(VALU_DEP_1)
	v_cndmask_b32_e64 v3, v3, 0xffffff82, vcc_lo
	v_add3_u32 v23, v29, v3, v19
	v_and_b32_e32 v3, 0xfffff, v22
	s_delay_alu instid0(VALU_DEP_1) | instskip(NEXT) | instid1(VALU_DEP_1)
	v_dual_add_nc_u32 v22, 6, v23 :: v_dual_add_nc_u32 v96, v3, v18
                                        ; implicit-def: $vgpr18_vgpr19
                                        ; implicit-def: $vgpr3
	v_cmpx_ne_u32_e32 0, v22
	s_xor_b32 s10, exec_lo, s10
; %bb.1418:                             ;   in Loop: Header=BB6_128 Depth=2
	s_delay_alu instid0(VALU_DEP_2) | instskip(SKIP_2) | instid1(VALU_DEP_2)
	v_cmp_lt_u64_e32 vcc_lo, 0xffffff, v[96:97]
	v_add_nc_u32_e32 v3, 7, v23
	v_cndmask_b32_e64 v18, 0, 1, vcc_lo
	v_cndmask_b32_e32 v3, v22, v3, vcc_lo
	s_delay_alu instid0(VALU_DEP_2)
	v_lshrrev_b64 v[18:19], v18, v[96:97]
; %bb.1419:                             ;   in Loop: Header=BB6_128 Depth=2
	s_and_not1_saveexec_b32 s10, s10
; %bb.1420:                             ;   in Loop: Header=BB6_128 Depth=2
	v_mov_b64_e32 v[18:19], v[96:97]
	v_bfe_u32 v3, v96, 23, 1
; %bb.1421:                             ;   in Loop: Header=BB6_128 Depth=2
	s_or_b32 exec_lo, exec_lo, s10
	s_delay_alu instid0(VALU_DEP_2) | instskip(NEXT) | instid1(VALU_DEP_2)
	v_lshrrev_b64 v[18:19], 20, v[18:19]
	v_cmp_gt_i32_e32 vcc_lo, 16, v3
	v_min_i32_e32 v22, 15, v3
	v_cmp_eq_u32_e64 s10, 0, v3
	s_delay_alu instid0(VALU_DEP_4) | instskip(NEXT) | instid1(VALU_DEP_3)
	v_cndmask_b32_e32 v18, 7, v18, vcc_lo
	v_dual_cndmask_b32 v19, 0, v19 :: v_dual_lshlrev_b32 v22, 3, v22
	s_delay_alu instid0(VALU_DEP_1) | instskip(NEXT) | instid1(VALU_DEP_2)
	v_and_b32_e32 v22, 0xf8, v22
	v_cmp_eq_u64_e32 vcc_lo, 0, v[18:19]
	s_delay_alu instid0(VALU_DEP_2)
	v_and_or_b32 v3, v18, 7, v22
	s_and_b32 s10, s10, vcc_lo
	s_delay_alu instid0(VALU_DEP_1) | instid1(SALU_CYCLE_1)
	v_cndmask_b32_e64 v3, v3, 0, s10
	s_delay_alu instid0(VALU_DEP_1)
	v_or_b32_e32 v29, v3, v2
.LBB6_1422:                             ;   in Loop: Header=BB6_128 Depth=2
	s_or_b32 exec_lo, exec_lo, s29
                                        ; implicit-def: $vgpr2
.LBB6_1423:                             ;   in Loop: Header=BB6_128 Depth=2
	s_and_not1_saveexec_b32 s10, s28
; %bb.1424:                             ;   in Loop: Header=BB6_128 Depth=2
	v_or_b32_e32 v29, 0x7e, v2
; %bb.1425:                             ;   in Loop: Header=BB6_128 Depth=2
	s_or_b32 exec_lo, exec_lo, s10
                                        ; implicit-def: $vgpr2
.LBB6_1426:                             ;   in Loop: Header=BB6_128 Depth=2
	s_and_not1_saveexec_b32 s10, s27
; %bb.1427:                             ;   in Loop: Header=BB6_128 Depth=2
	v_or_b32_e32 v29, 0x7f, v2
; %bb.1428:                             ;   in Loop: Header=BB6_128 Depth=2
	s_or_b32 exec_lo, exec_lo, s10
	v_dual_lshrrev_b32 v18, 16, v24 :: v_dual_mov_b32 v2, 0
	v_mov_b32_e32 v3, 0
	s_mov_b32 s10, exec_lo
	s_delay_alu instid0(VALU_DEP_2) | instskip(NEXT) | instid1(VALU_DEP_1)
	v_and_b32_e32 v19, 0xff, v18
	v_cmpx_ne_u16_e32 0, v19
	s_cbranch_execz .LBB6_1436
; %bb.1429:                             ;   in Loop: Header=BB6_128 Depth=2
	v_bfrev_b32_e32 v3, 1
	s_mov_b32 s27, exec_lo
	v_cmpx_ne_u16_e32 0x80, v19
	s_cbranch_execz .LBB6_1435
; %bb.1430:                             ;   in Loop: Header=BB6_128 Depth=2
	v_bfe_u32 v19, v24, 16, 7
	v_mov_b32_e32 v3, 0x7f800001
	s_mov_b32 s28, exec_lo
	s_delay_alu instid0(VALU_DEP_2)
	v_cmpx_ne_u32_e32 0x7f, v19
	s_cbranch_execz .LBB6_1434
; %bb.1431:                             ;   in Loop: Header=BB6_128 Depth=2
	v_dual_lshrrev_b32 v3, 3, v19 :: v_dual_bitop2_b32 v96, 7, v18 bitop3:0x40
	s_mov_b32 s29, exec_lo
	v_cmpx_gt_u32_e32 8, v19
; %bb.1432:                             ;   in Loop: Header=BB6_128 Depth=2
	s_delay_alu instid0(VALU_DEP_2) | instskip(NEXT) | instid1(VALU_DEP_1)
	v_clz_i32_u32_e32 v3, v96
	v_min_u32_e32 v3, 32, v3
	s_delay_alu instid0(VALU_DEP_1) | instskip(NEXT) | instid1(VALU_DEP_1)
	v_subrev_nc_u32_e32 v19, 28, v3
	v_lshlrev_b64_e32 v[22:23], v19, v[96:97]
	s_delay_alu instid0(VALU_DEP_1)
	v_dual_sub_nc_u32 v3, 29, v3 :: v_dual_bitop2_b32 v96, 7, v22 bitop3:0x40
; %bb.1433:                             ;   in Loop: Header=BB6_128 Depth=2
	s_or_b32 exec_lo, exec_lo, s29
	s_delay_alu instid0(VALU_DEP_1) | instskip(NEXT) | instid1(VALU_DEP_2)
	v_dual_lshlrev_b32 v18, 24, v18 :: v_dual_lshlrev_b32 v19, 20, v96
	v_lshl_add_u32 v3, v3, 23, 0x3c000000
	s_delay_alu instid0(VALU_DEP_2) | instskip(NEXT) | instid1(VALU_DEP_1)
	v_and_b32_e32 v18, 0x80000000, v18
	v_or3_b32 v3, v19, v18, v3
.LBB6_1434:                             ;   in Loop: Header=BB6_128 Depth=2
	s_or_b32 exec_lo, exec_lo, s28
.LBB6_1435:                             ;   in Loop: Header=BB6_128 Depth=2
	s_delay_alu instid0(SALU_CYCLE_1)
	s_or_b32 exec_lo, exec_lo, s27
.LBB6_1436:                             ;   in Loop: Header=BB6_128 Depth=2
	s_delay_alu instid0(SALU_CYCLE_1) | instskip(SKIP_2) | instid1(VALU_DEP_1)
	s_or_b32 exec_lo, exec_lo, s10
	v_lshrrev_b32_e32 v18, 16, v20
	s_mov_b32 s10, exec_lo
	v_and_b32_e32 v19, 0xff, v18
	s_delay_alu instid0(VALU_DEP_1)
	v_cmpx_ne_u16_e32 0, v19
	s_cbranch_execz .LBB6_1444
; %bb.1437:                             ;   in Loop: Header=BB6_128 Depth=2
	v_bfrev_b32_e32 v2, 1
	s_mov_b32 s27, exec_lo
	v_cmpx_ne_u16_e32 0x80, v19
	s_cbranch_execz .LBB6_1443
; %bb.1438:                             ;   in Loop: Header=BB6_128 Depth=2
	v_bfe_u32 v19, v20, 16, 7
	v_mov_b32_e32 v2, 0x7f800001
	s_mov_b32 s28, exec_lo
	s_delay_alu instid0(VALU_DEP_2)
	v_cmpx_ne_u32_e32 0x7f, v19
	s_cbranch_execz .LBB6_1442
; %bb.1439:                             ;   in Loop: Header=BB6_128 Depth=2
	v_dual_lshrrev_b32 v2, 3, v19 :: v_dual_bitop2_b32 v96, 7, v18 bitop3:0x40
	s_mov_b32 s29, exec_lo
	v_cmpx_gt_u32_e32 8, v19
; %bb.1440:                             ;   in Loop: Header=BB6_128 Depth=2
	s_delay_alu instid0(VALU_DEP_2) | instskip(NEXT) | instid1(VALU_DEP_1)
	v_clz_i32_u32_e32 v2, v96
	v_min_u32_e32 v2, 32, v2
	s_delay_alu instid0(VALU_DEP_1) | instskip(SKIP_1) | instid1(VALU_DEP_2)
	v_subrev_nc_u32_e32 v18, 28, v2
	v_sub_nc_u32_e32 v2, 29, v2
	v_lshlrev_b64_e32 v[18:19], v18, v[96:97]
	s_delay_alu instid0(VALU_DEP_1)
	v_and_b32_e32 v96, 7, v18
; %bb.1441:                             ;   in Loop: Header=BB6_128 Depth=2
	s_or_b32 exec_lo, exec_lo, s29
	v_lshlrev_b32_e32 v18, 8, v20
	s_delay_alu instid0(VALU_DEP_2) | instskip(SKIP_1) | instid1(VALU_DEP_3)
	v_lshlrev_b32_e32 v19, 20, v96
	v_lshl_add_u32 v2, v2, 23, 0x3c000000
	v_and_b32_e32 v18, 0x80000000, v18
	s_delay_alu instid0(VALU_DEP_1)
	v_or3_b32 v2, v19, v18, v2
.LBB6_1442:                             ;   in Loop: Header=BB6_128 Depth=2
	s_or_b32 exec_lo, exec_lo, s28
.LBB6_1443:                             ;   in Loop: Header=BB6_128 Depth=2
	s_delay_alu instid0(SALU_CYCLE_1)
	s_or_b32 exec_lo, exec_lo, s27
.LBB6_1444:                             ;   in Loop: Header=BB6_128 Depth=2
	s_delay_alu instid0(SALU_CYCLE_1) | instskip(NEXT) | instid1(VALU_DEP_1)
	s_or_b32 exec_lo, exec_lo, s10
	v_mul_f32_e32 v3, v3, v2
                                        ; implicit-def: $vgpr124
	s_mov_b32 s10, exec_lo
	s_delay_alu instid0(VALU_DEP_1) | instskip(SKIP_1) | instid1(VALU_DEP_2)
	v_and_b32_e32 v96, 0x7f800000, v3
	v_lshrrev_b32_e32 v2, 24, v3
	v_cmpx_ne_u64_e32 0x7f800000, v[96:97]
	s_xor_b32 s27, exec_lo, s10
	s_cbranch_execz .LBB6_1458
; %bb.1445:                             ;   in Loop: Header=BB6_128 Depth=2
	v_and_b32_e32 v96, 0x7fffffff, v3
	v_and_b32_e32 v2, 0x80, v2
                                        ; implicit-def: $vgpr124
	s_mov_b32 s10, exec_lo
	s_delay_alu instid0(VALU_DEP_2)
	v_cmpx_gt_u64_e32 0x43e00001, v[96:97]
	s_xor_b32 s28, exec_lo, s10
	s_cbranch_execz .LBB6_1455
; %bb.1446:                             ;   in Loop: Header=BB6_128 Depth=2
	v_mov_b32_e32 v124, 0
	s_mov_b32 s29, exec_lo
	v_cmpx_ne_u32_e32 0, v3
	s_cbranch_execz .LBB6_1454
; %bb.1447:                             ;   in Loop: Header=BB6_128 Depth=2
	v_and_b32_e32 v18, 0x7fffff, v3
	v_bfe_u32 v3, v3, 23, 8
	s_delay_alu instid0(VALU_DEP_2) | instskip(NEXT) | instid1(VALU_DEP_2)
	v_or_b32_e32 v22, 0x800000, v18
	v_cmp_eq_u32_e32 vcc_lo, 0, v3
	v_cmp_gt_u32_e64 s10, 0x7a, v3
	s_delay_alu instid0(VALU_DEP_3) | instskip(NEXT) | instid1(VALU_DEP_1)
	v_dual_cndmask_b32 v96, v22, v18 :: v_dual_sub_nc_u32 v19, 0x79, v3
	v_cndmask_b32_e64 v19, 0, v19, s10
	s_delay_alu instid0(VALU_DEP_1) | instskip(NEXT) | instid1(VALU_DEP_1)
	v_cndmask_b32_e64 v31, v19, 0x78, vcc_lo
	v_dual_add_nc_u32 v18, 20, v31 :: v_dual_add_nc_u32 v22, 19, v31
	s_delay_alu instid0(VALU_DEP_1) | instskip(NEXT) | instid1(VALU_DEP_2)
	v_lshlrev_b64_e64 v[18:19], v18, -1
	v_lshlrev_b64_e64 v[22:23], v22, 1
	s_delay_alu instid0(VALU_DEP_2) | instskip(NEXT) | instid1(VALU_DEP_3)
	v_bfi_b32 v19, v19, 0, 0
	v_bfi_b32 v18, v18, 0, v96
	s_delay_alu instid0(VALU_DEP_1) | instskip(SKIP_1) | instid1(VALU_DEP_1)
	v_cmp_eq_u64_e64 s10, v[18:19], v[22:23]
	v_lshrrev_b64 v[18:19], v31, v[96:97]
	v_mov_b64_e32 v[22:23], v[18:19]
	s_and_saveexec_b32 s40, s10
; %bb.1448:                             ;   in Loop: Header=BB6_128 Depth=2
	v_bfe_u32 v96, v18, 20, 1
	s_delay_alu instid0(VALU_DEP_1) | instskip(NEXT) | instid1(VALU_DEP_1)
	v_add_nc_u64_e32 v[22:23], v[18:19], v[96:97]
	v_add_nc_u64_e32 v[22:23], -1, v[22:23]
; %bb.1449:                             ;   in Loop: Header=BB6_128 Depth=2
	s_or_b32 exec_lo, exec_lo, s40
	v_add_nc_u32_e32 v3, 0xffffff81, v3
	v_lshrrev_b32_e32 v19, 23, v18
	s_mov_b32 s10, exec_lo
	s_delay_alu instid0(VALU_DEP_2) | instskip(NEXT) | instid1(VALU_DEP_1)
	v_cndmask_b32_e64 v3, v3, 0xffffff82, vcc_lo
	v_add3_u32 v23, v31, v3, v19
	v_and_b32_e32 v3, 0xfffff, v22
	s_delay_alu instid0(VALU_DEP_1) | instskip(NEXT) | instid1(VALU_DEP_1)
	v_dual_add_nc_u32 v22, 6, v23 :: v_dual_add_nc_u32 v96, v3, v18
                                        ; implicit-def: $vgpr18_vgpr19
                                        ; implicit-def: $vgpr3
	v_cmpx_ne_u32_e32 0, v22
	s_xor_b32 s10, exec_lo, s10
; %bb.1450:                             ;   in Loop: Header=BB6_128 Depth=2
	s_delay_alu instid0(VALU_DEP_2) | instskip(SKIP_2) | instid1(VALU_DEP_2)
	v_cmp_lt_u64_e32 vcc_lo, 0xffffff, v[96:97]
	v_add_nc_u32_e32 v3, 7, v23
	v_cndmask_b32_e64 v18, 0, 1, vcc_lo
	v_cndmask_b32_e32 v3, v22, v3, vcc_lo
	s_delay_alu instid0(VALU_DEP_2)
	v_lshrrev_b64 v[18:19], v18, v[96:97]
; %bb.1451:                             ;   in Loop: Header=BB6_128 Depth=2
	s_and_not1_saveexec_b32 s10, s10
; %bb.1452:                             ;   in Loop: Header=BB6_128 Depth=2
	v_mov_b64_e32 v[18:19], v[96:97]
	v_bfe_u32 v3, v96, 23, 1
; %bb.1453:                             ;   in Loop: Header=BB6_128 Depth=2
	s_or_b32 exec_lo, exec_lo, s10
	s_delay_alu instid0(VALU_DEP_2) | instskip(NEXT) | instid1(VALU_DEP_2)
	v_lshrrev_b64 v[18:19], 20, v[18:19]
	v_cmp_gt_i32_e32 vcc_lo, 16, v3
	v_min_i32_e32 v22, 15, v3
	v_cmp_eq_u32_e64 s10, 0, v3
	s_delay_alu instid0(VALU_DEP_4) | instskip(NEXT) | instid1(VALU_DEP_3)
	v_cndmask_b32_e32 v18, 7, v18, vcc_lo
	v_dual_cndmask_b32 v19, 0, v19 :: v_dual_lshlrev_b32 v22, 3, v22
	s_delay_alu instid0(VALU_DEP_1) | instskip(NEXT) | instid1(VALU_DEP_2)
	v_and_b32_e32 v22, 0xf8, v22
	v_cmp_eq_u64_e32 vcc_lo, 0, v[18:19]
	s_delay_alu instid0(VALU_DEP_2)
	v_and_or_b32 v3, v18, 7, v22
	s_and_b32 s10, s10, vcc_lo
	s_delay_alu instid0(VALU_DEP_1) | instid1(SALU_CYCLE_1)
	v_cndmask_b32_e64 v3, v3, 0, s10
	s_delay_alu instid0(VALU_DEP_1)
	v_or_b32_e32 v124, v3, v2
.LBB6_1454:                             ;   in Loop: Header=BB6_128 Depth=2
	s_or_b32 exec_lo, exec_lo, s29
                                        ; implicit-def: $vgpr2
.LBB6_1455:                             ;   in Loop: Header=BB6_128 Depth=2
	s_and_not1_saveexec_b32 s10, s28
; %bb.1456:                             ;   in Loop: Header=BB6_128 Depth=2
	v_or_b32_e32 v124, 0x7e, v2
; %bb.1457:                             ;   in Loop: Header=BB6_128 Depth=2
	s_or_b32 exec_lo, exec_lo, s10
                                        ; implicit-def: $vgpr2
.LBB6_1458:                             ;   in Loop: Header=BB6_128 Depth=2
	s_and_not1_saveexec_b32 s10, s27
; %bb.1459:                             ;   in Loop: Header=BB6_128 Depth=2
	v_or_b32_e32 v124, 0x7f, v2
; %bb.1460:                             ;   in Loop: Header=BB6_128 Depth=2
	s_or_b32 exec_lo, exec_lo, s10
	v_dual_mov_b32 v2, 0 :: v_dual_mov_b32 v3, 0
	s_mov_b32 s10, exec_lo
	v_cmpx_lt_u32_e32 0xffffff, v24
	s_cbranch_execz .LBB6_1468
; %bb.1461:                             ;   in Loop: Header=BB6_128 Depth=2
	v_lshrrev_b32_e32 v18, 24, v24
	v_bfrev_b32_e32 v3, 1
	s_mov_b32 s27, exec_lo
	s_delay_alu instid0(VALU_DEP_2)
	v_cmpx_ne_u32_e32 0x80, v18
	s_cbranch_execz .LBB6_1467
; %bb.1462:                             ;   in Loop: Header=BB6_128 Depth=2
	v_bfe_u32 v19, v24, 24, 7
	v_mov_b32_e32 v3, 0x7f800001
	s_mov_b32 s28, exec_lo
	s_delay_alu instid0(VALU_DEP_2)
	v_cmpx_ne_u32_e32 0x7f, v19
	s_cbranch_execz .LBB6_1466
; %bb.1463:                             ;   in Loop: Header=BB6_128 Depth=2
	v_dual_lshrrev_b32 v3, 3, v19 :: v_dual_bitop2_b32 v96, 7, v18 bitop3:0x40
	s_mov_b32 s29, exec_lo
	v_cmpx_gt_u32_e32 8, v19
; %bb.1464:                             ;   in Loop: Header=BB6_128 Depth=2
	s_delay_alu instid0(VALU_DEP_2) | instskip(NEXT) | instid1(VALU_DEP_1)
	v_clz_i32_u32_e32 v3, v96
	v_min_u32_e32 v3, 32, v3
	s_delay_alu instid0(VALU_DEP_1) | instskip(NEXT) | instid1(VALU_DEP_1)
	v_subrev_nc_u32_e32 v19, 28, v3
	v_lshlrev_b64_e32 v[22:23], v19, v[96:97]
	s_delay_alu instid0(VALU_DEP_1)
	v_dual_sub_nc_u32 v3, 29, v3 :: v_dual_bitop2_b32 v96, 7, v22 bitop3:0x40
; %bb.1465:                             ;   in Loop: Header=BB6_128 Depth=2
	s_or_b32 exec_lo, exec_lo, s29
	s_delay_alu instid0(VALU_DEP_1) | instskip(NEXT) | instid1(VALU_DEP_2)
	v_dual_lshlrev_b32 v18, 24, v18 :: v_dual_lshlrev_b32 v19, 20, v96
	v_lshl_add_u32 v3, v3, 23, 0x3c000000
	s_delay_alu instid0(VALU_DEP_2) | instskip(NEXT) | instid1(VALU_DEP_1)
	v_and_b32_e32 v18, 0x80000000, v18
	v_or3_b32 v3, v19, v18, v3
.LBB6_1466:                             ;   in Loop: Header=BB6_128 Depth=2
	s_or_b32 exec_lo, exec_lo, s28
.LBB6_1467:                             ;   in Loop: Header=BB6_128 Depth=2
	s_delay_alu instid0(SALU_CYCLE_1)
	s_or_b32 exec_lo, exec_lo, s27
.LBB6_1468:                             ;   in Loop: Header=BB6_128 Depth=2
	s_delay_alu instid0(SALU_CYCLE_1) | instskip(NEXT) | instid1(SALU_CYCLE_1)
	s_or_b32 exec_lo, exec_lo, s10
	s_mov_b32 s10, exec_lo
	v_cmpx_lt_u32_e32 0xffffff, v20
	s_cbranch_execz .LBB6_1476
; %bb.1469:                             ;   in Loop: Header=BB6_128 Depth=2
	v_lshrrev_b32_e32 v18, 24, v20
	v_bfrev_b32_e32 v2, 1
	s_mov_b32 s27, exec_lo
	s_delay_alu instid0(VALU_DEP_2)
	v_cmpx_ne_u32_e32 0x80, v18
	s_cbranch_execz .LBB6_1475
; %bb.1470:                             ;   in Loop: Header=BB6_128 Depth=2
	v_bfe_u32 v19, v20, 24, 7
	v_mov_b32_e32 v2, 0x7f800001
	s_mov_b32 s28, exec_lo
	s_delay_alu instid0(VALU_DEP_2)
	v_cmpx_ne_u32_e32 0x7f, v19
	s_cbranch_execz .LBB6_1474
; %bb.1471:                             ;   in Loop: Header=BB6_128 Depth=2
	v_dual_lshrrev_b32 v2, 3, v19 :: v_dual_bitop2_b32 v96, 7, v18 bitop3:0x40
	s_mov_b32 s29, exec_lo
	v_cmpx_gt_u32_e32 8, v19
; %bb.1472:                             ;   in Loop: Header=BB6_128 Depth=2
	s_delay_alu instid0(VALU_DEP_2) | instskip(NEXT) | instid1(VALU_DEP_1)
	v_clz_i32_u32_e32 v2, v96
	v_min_u32_e32 v2, 32, v2
	s_delay_alu instid0(VALU_DEP_1) | instskip(SKIP_1) | instid1(VALU_DEP_2)
	v_subrev_nc_u32_e32 v19, 28, v2
	v_sub_nc_u32_e32 v2, 29, v2
	v_lshlrev_b64_e32 v[22:23], v19, v[96:97]
	s_delay_alu instid0(VALU_DEP_1)
	v_and_b32_e32 v96, 7, v22
; %bb.1473:                             ;   in Loop: Header=BB6_128 Depth=2
	s_or_b32 exec_lo, exec_lo, s29
	s_delay_alu instid0(VALU_DEP_1) | instskip(SKIP_1) | instid1(VALU_DEP_2)
	v_dual_lshlrev_b32 v18, 24, v18 :: v_dual_lshlrev_b32 v19, 20, v96
	v_lshl_add_u32 v2, v2, 23, 0x3c000000
	v_and_b32_e32 v18, 0x80000000, v18
	s_delay_alu instid0(VALU_DEP_1)
	v_or3_b32 v2, v19, v18, v2
.LBB6_1474:                             ;   in Loop: Header=BB6_128 Depth=2
	s_or_b32 exec_lo, exec_lo, s28
.LBB6_1475:                             ;   in Loop: Header=BB6_128 Depth=2
	s_delay_alu instid0(SALU_CYCLE_1)
	s_or_b32 exec_lo, exec_lo, s27
.LBB6_1476:                             ;   in Loop: Header=BB6_128 Depth=2
	s_delay_alu instid0(SALU_CYCLE_1) | instskip(NEXT) | instid1(VALU_DEP_1)
	s_or_b32 exec_lo, exec_lo, s10
	v_mul_f32_e32 v3, v3, v2
                                        ; implicit-def: $vgpr125
	s_mov_b32 s10, exec_lo
	s_delay_alu instid0(VALU_DEP_1) | instskip(SKIP_1) | instid1(VALU_DEP_2)
	v_and_b32_e32 v96, 0x7f800000, v3
	v_lshrrev_b32_e32 v2, 24, v3
	v_cmpx_ne_u64_e32 0x7f800000, v[96:97]
	s_xor_b32 s27, exec_lo, s10
	s_cbranch_execz .LBB6_1490
; %bb.1477:                             ;   in Loop: Header=BB6_128 Depth=2
	v_and_b32_e32 v96, 0x7fffffff, v3
	v_and_b32_e32 v2, 0x80, v2
                                        ; implicit-def: $vgpr125
	s_mov_b32 s10, exec_lo
	s_delay_alu instid0(VALU_DEP_2)
	v_cmpx_gt_u64_e32 0x43e00001, v[96:97]
	s_xor_b32 s28, exec_lo, s10
	s_cbranch_execz .LBB6_1487
; %bb.1478:                             ;   in Loop: Header=BB6_128 Depth=2
	v_mov_b32_e32 v125, 0
	s_mov_b32 s29, exec_lo
	v_cmpx_ne_u32_e32 0, v3
	s_cbranch_execz .LBB6_1486
; %bb.1479:                             ;   in Loop: Header=BB6_128 Depth=2
	v_and_b32_e32 v18, 0x7fffff, v3
	v_bfe_u32 v3, v3, 23, 8
	s_delay_alu instid0(VALU_DEP_2) | instskip(NEXT) | instid1(VALU_DEP_2)
	v_or_b32_e32 v22, 0x800000, v18
	v_cmp_eq_u32_e32 vcc_lo, 0, v3
	v_cmp_gt_u32_e64 s10, 0x7a, v3
	s_delay_alu instid0(VALU_DEP_3) | instskip(NEXT) | instid1(VALU_DEP_1)
	v_dual_cndmask_b32 v96, v22, v18 :: v_dual_sub_nc_u32 v19, 0x79, v3
	v_cndmask_b32_e64 v19, 0, v19, s10
	s_delay_alu instid0(VALU_DEP_1) | instskip(NEXT) | instid1(VALU_DEP_1)
	v_cndmask_b32_e64 v31, v19, 0x78, vcc_lo
	v_dual_add_nc_u32 v18, 20, v31 :: v_dual_add_nc_u32 v22, 19, v31
	s_delay_alu instid0(VALU_DEP_1) | instskip(NEXT) | instid1(VALU_DEP_2)
	v_lshlrev_b64_e64 v[18:19], v18, -1
	v_lshlrev_b64_e64 v[22:23], v22, 1
	s_delay_alu instid0(VALU_DEP_2) | instskip(NEXT) | instid1(VALU_DEP_3)
	v_bfi_b32 v19, v19, 0, 0
	v_bfi_b32 v18, v18, 0, v96
	s_delay_alu instid0(VALU_DEP_1) | instskip(SKIP_1) | instid1(VALU_DEP_1)
	v_cmp_eq_u64_e64 s10, v[18:19], v[22:23]
	v_lshrrev_b64 v[18:19], v31, v[96:97]
	v_mov_b64_e32 v[22:23], v[18:19]
	s_and_saveexec_b32 s40, s10
; %bb.1480:                             ;   in Loop: Header=BB6_128 Depth=2
	v_bfe_u32 v96, v18, 20, 1
	s_delay_alu instid0(VALU_DEP_1) | instskip(NEXT) | instid1(VALU_DEP_1)
	v_add_nc_u64_e32 v[22:23], v[18:19], v[96:97]
	v_add_nc_u64_e32 v[22:23], -1, v[22:23]
; %bb.1481:                             ;   in Loop: Header=BB6_128 Depth=2
	s_or_b32 exec_lo, exec_lo, s40
	v_add_nc_u32_e32 v3, 0xffffff81, v3
	v_lshrrev_b32_e32 v19, 23, v18
	s_mov_b32 s10, exec_lo
	s_delay_alu instid0(VALU_DEP_2) | instskip(NEXT) | instid1(VALU_DEP_1)
	v_cndmask_b32_e64 v3, v3, 0xffffff82, vcc_lo
	v_add3_u32 v23, v31, v3, v19
	v_and_b32_e32 v3, 0xfffff, v22
	s_delay_alu instid0(VALU_DEP_1) | instskip(NEXT) | instid1(VALU_DEP_1)
	v_dual_add_nc_u32 v22, 6, v23 :: v_dual_add_nc_u32 v96, v3, v18
                                        ; implicit-def: $vgpr18_vgpr19
                                        ; implicit-def: $vgpr3
	v_cmpx_ne_u32_e32 0, v22
	s_xor_b32 s10, exec_lo, s10
; %bb.1482:                             ;   in Loop: Header=BB6_128 Depth=2
	s_delay_alu instid0(VALU_DEP_2) | instskip(SKIP_2) | instid1(VALU_DEP_2)
	v_cmp_lt_u64_e32 vcc_lo, 0xffffff, v[96:97]
	v_add_nc_u32_e32 v3, 7, v23
	v_cndmask_b32_e64 v18, 0, 1, vcc_lo
	v_cndmask_b32_e32 v3, v22, v3, vcc_lo
	s_delay_alu instid0(VALU_DEP_2)
	v_lshrrev_b64 v[18:19], v18, v[96:97]
; %bb.1483:                             ;   in Loop: Header=BB6_128 Depth=2
	s_and_not1_saveexec_b32 s10, s10
; %bb.1484:                             ;   in Loop: Header=BB6_128 Depth=2
	v_mov_b64_e32 v[18:19], v[96:97]
	v_bfe_u32 v3, v96, 23, 1
; %bb.1485:                             ;   in Loop: Header=BB6_128 Depth=2
	s_or_b32 exec_lo, exec_lo, s10
	s_delay_alu instid0(VALU_DEP_2) | instskip(NEXT) | instid1(VALU_DEP_2)
	v_lshrrev_b64 v[18:19], 20, v[18:19]
	v_cmp_gt_i32_e32 vcc_lo, 16, v3
	v_min_i32_e32 v22, 15, v3
	v_cmp_eq_u32_e64 s10, 0, v3
	s_delay_alu instid0(VALU_DEP_4) | instskip(NEXT) | instid1(VALU_DEP_3)
	v_cndmask_b32_e32 v18, 7, v18, vcc_lo
	v_dual_cndmask_b32 v19, 0, v19 :: v_dual_lshlrev_b32 v22, 3, v22
	s_delay_alu instid0(VALU_DEP_1) | instskip(NEXT) | instid1(VALU_DEP_2)
	v_and_b32_e32 v22, 0xf8, v22
	v_cmp_eq_u64_e32 vcc_lo, 0, v[18:19]
	s_delay_alu instid0(VALU_DEP_2)
	v_and_or_b32 v3, v18, 7, v22
	s_and_b32 s10, s10, vcc_lo
	s_delay_alu instid0(VALU_DEP_1) | instid1(SALU_CYCLE_1)
	v_cndmask_b32_e64 v3, v3, 0, s10
	s_delay_alu instid0(VALU_DEP_1)
	v_or_b32_e32 v125, v3, v2
.LBB6_1486:                             ;   in Loop: Header=BB6_128 Depth=2
	s_or_b32 exec_lo, exec_lo, s29
                                        ; implicit-def: $vgpr2
.LBB6_1487:                             ;   in Loop: Header=BB6_128 Depth=2
	s_and_not1_saveexec_b32 s10, s28
; %bb.1488:                             ;   in Loop: Header=BB6_128 Depth=2
	v_or_b32_e32 v125, 0x7e, v2
; %bb.1489:                             ;   in Loop: Header=BB6_128 Depth=2
	s_or_b32 exec_lo, exec_lo, s10
                                        ; implicit-def: $vgpr2
.LBB6_1490:                             ;   in Loop: Header=BB6_128 Depth=2
	s_and_not1_saveexec_b32 s10, s27
; %bb.1491:                             ;   in Loop: Header=BB6_128 Depth=2
	v_or_b32_e32 v125, 0x7f, v2
; %bb.1492:                             ;   in Loop: Header=BB6_128 Depth=2
	s_or_b32 exec_lo, exec_lo, s10
	v_and_b32_e32 v18, 0xff, v25
	v_dual_mov_b32 v96, v25 :: v_dual_mov_b32 v2, 0
	v_mov_b32_e32 v3, 0
	s_mov_b32 s10, exec_lo
	s_delay_alu instid0(VALU_DEP_3)
	v_cmpx_ne_u16_e32 0, v18
	s_cbranch_execz .LBB6_1498
; %bb.1493:                             ;   in Loop: Header=BB6_128 Depth=2
	v_bfrev_b32_e32 v3, 1
	s_mov_b32 s27, exec_lo
	v_cmpx_ne_u16_e32 0x80, v18
	s_cbranch_execz .LBB6_1497
; %bb.1494:                             ;   in Loop: Header=BB6_128 Depth=2
	v_and_b32_e32 v18, 0x7f, v25
	v_mov_b32_e32 v3, 0x7f800001
	s_mov_b32 s28, exec_lo
	s_delay_alu instid0(VALU_DEP_2)
	v_cmpx_ne_u32_e32 0x7f, v18
	s_cbranch_execz .LBB6_1496
; %bb.1495:                             ;   in Loop: Header=BB6_128 Depth=2
	v_dual_lshrrev_b32 v19, 3, v18 :: v_dual_bitop2_b32 v3, 7, v25 bitop3:0x40
	v_cmp_gt_u32_e32 vcc_lo, 8, v18
	s_delay_alu instid0(VALU_DEP_2) | instskip(NEXT) | instid1(VALU_DEP_1)
	v_clz_i32_u32_e32 v3, v3
	v_min_u32_e32 v3, 32, v3
	s_delay_alu instid0(VALU_DEP_1) | instskip(NEXT) | instid1(VALU_DEP_1)
	v_subrev_nc_u32_e32 v18, 28, v3
	v_dual_cndmask_b32 v18, 0, v18 :: v_dual_sub_nc_u32 v3, 29, v3
	s_delay_alu instid0(VALU_DEP_1) | instskip(NEXT) | instid1(VALU_DEP_2)
	v_cndmask_b32_e32 v3, v19, v3, vcc_lo
	v_lshlrev_b64_e32 v[18:19], v18, v[96:97]
	v_lshlrev_b32_e32 v19, 24, v96
	s_delay_alu instid0(VALU_DEP_1) | instskip(NEXT) | instid1(VALU_DEP_3)
	v_and_b32_e32 v19, 0x80000000, v19
	v_lshlrev_b32_e32 v18, 20, v18
	v_lshl_add_u32 v3, v3, 23, 0x3c000000
	s_delay_alu instid0(VALU_DEP_2) | instskip(NEXT) | instid1(VALU_DEP_1)
	v_and_b32_e32 v18, 0x700000, v18
	v_or3_b32 v3, v18, v19, v3
.LBB6_1496:                             ;   in Loop: Header=BB6_128 Depth=2
	s_or_b32 exec_lo, exec_lo, s28
.LBB6_1497:                             ;   in Loop: Header=BB6_128 Depth=2
	s_delay_alu instid0(SALU_CYCLE_1)
	s_or_b32 exec_lo, exec_lo, s27
.LBB6_1498:                             ;   in Loop: Header=BB6_128 Depth=2
	s_delay_alu instid0(SALU_CYCLE_1) | instskip(SKIP_2) | instid1(VALU_DEP_1)
	s_or_b32 exec_lo, exec_lo, s10
	v_and_b32_e32 v18, 0xff, v21
	s_mov_b32 s10, exec_lo
	v_cmpx_ne_u16_e32 0, v18
	s_cbranch_execz .LBB6_1504
; %bb.1499:                             ;   in Loop: Header=BB6_128 Depth=2
	v_bfrev_b32_e32 v2, 1
	s_mov_b32 s27, exec_lo
	v_cmpx_ne_u16_e32 0x80, v18
	s_cbranch_execz .LBB6_1503
; %bb.1500:                             ;   in Loop: Header=BB6_128 Depth=2
	v_and_b32_e32 v18, 0x7f, v21
	v_mov_b32_e32 v2, 0x7f800001
	s_mov_b32 s28, exec_lo
	s_delay_alu instid0(VALU_DEP_2)
	v_cmpx_ne_u32_e32 0x7f, v18
	s_cbranch_execz .LBB6_1502
; %bb.1501:                             ;   in Loop: Header=BB6_128 Depth=2
	v_dual_lshrrev_b32 v22, 3, v18 :: v_dual_bitop2_b32 v2, 7, v21 bitop3:0x40
	v_cmp_gt_u32_e32 vcc_lo, 8, v18
	v_mov_b32_e32 v18, v21
	s_delay_alu instid0(VALU_DEP_3) | instskip(NEXT) | instid1(VALU_DEP_1)
	v_clz_i32_u32_e32 v2, v2
	v_min_u32_e32 v2, 32, v2
	s_delay_alu instid0(VALU_DEP_1) | instskip(SKIP_1) | instid1(VALU_DEP_2)
	v_sub_nc_u32_e32 v23, 29, v2
	v_subrev_nc_u32_e32 v2, 28, v2
	v_dual_mov_b32 v19, v97 :: v_dual_cndmask_b32 v31, v22, v23, vcc_lo
	s_delay_alu instid0(VALU_DEP_2) | instskip(NEXT) | instid1(VALU_DEP_1)
	v_cndmask_b32_e32 v2, 0, v2, vcc_lo
	v_lshlrev_b64_e32 v[22:23], v2, v[18:19]
	v_lshlrev_b32_e32 v2, 24, v18
	s_delay_alu instid0(VALU_DEP_4) | instskip(NEXT) | instid1(VALU_DEP_2)
	v_lshl_add_u32 v19, v31, 23, 0x3c000000
	v_and_b32_e32 v2, 0x80000000, v2
	s_delay_alu instid0(VALU_DEP_4) | instskip(NEXT) | instid1(VALU_DEP_1)
	v_lshlrev_b32_e32 v18, 20, v22
	v_and_b32_e32 v18, 0x700000, v18
	s_delay_alu instid0(VALU_DEP_1)
	v_or3_b32 v2, v18, v2, v19
.LBB6_1502:                             ;   in Loop: Header=BB6_128 Depth=2
	s_or_b32 exec_lo, exec_lo, s28
.LBB6_1503:                             ;   in Loop: Header=BB6_128 Depth=2
	s_delay_alu instid0(SALU_CYCLE_1)
	s_or_b32 exec_lo, exec_lo, s27
.LBB6_1504:                             ;   in Loop: Header=BB6_128 Depth=2
	s_delay_alu instid0(SALU_CYCLE_1) | instskip(NEXT) | instid1(VALU_DEP_1)
	s_or_b32 exec_lo, exec_lo, s10
	v_dual_mul_f32 v3, v3, v2 :: v_dual_mov_b32 v19, v97
                                        ; implicit-def: $vgpr126
	s_mov_b32 s10, exec_lo
	s_delay_alu instid0(VALU_DEP_1) | instskip(SKIP_1) | instid1(VALU_DEP_2)
	v_and_b32_e32 v18, 0x7f800000, v3
	v_lshrrev_b32_e32 v2, 24, v3
	v_cmpx_ne_u64_e32 0x7f800000, v[18:19]
	s_xor_b32 s27, exec_lo, s10
	s_cbranch_execz .LBB6_1518
; %bb.1505:                             ;   in Loop: Header=BB6_128 Depth=2
	v_and_b32_e32 v18, 0x7fffffff, v3
	v_mov_b32_e32 v19, v97
	v_and_b32_e32 v2, 0x80, v2
                                        ; implicit-def: $vgpr126
	s_mov_b32 s10, exec_lo
	s_delay_alu instid0(VALU_DEP_2)
	v_cmpx_gt_u64_e32 0x43e00001, v[18:19]
	s_xor_b32 s28, exec_lo, s10
	s_cbranch_execz .LBB6_1515
; %bb.1506:                             ;   in Loop: Header=BB6_128 Depth=2
	v_mov_b32_e32 v126, 0
	s_mov_b32 s29, exec_lo
	v_cmpx_ne_u32_e32 0, v3
	s_cbranch_execz .LBB6_1514
; %bb.1507:                             ;   in Loop: Header=BB6_128 Depth=2
	v_and_b32_e32 v18, 0x7fffff, v3
	v_bfe_u32 v3, v3, 23, 8
	s_delay_alu instid0(VALU_DEP_2) | instskip(NEXT) | instid1(VALU_DEP_2)
	v_or_b32_e32 v22, 0x800000, v18
	v_cmp_eq_u32_e32 vcc_lo, 0, v3
	v_cmp_gt_u32_e64 s10, 0x7a, v3
	s_delay_alu instid0(VALU_DEP_3) | instskip(NEXT) | instid1(VALU_DEP_1)
	v_dual_cndmask_b32 v18, v22, v18 :: v_dual_sub_nc_u32 v19, 0x79, v3
	v_cndmask_b32_e64 v19, 0, v19, s10
	s_delay_alu instid0(VALU_DEP_1) | instskip(NEXT) | instid1(VALU_DEP_1)
	v_cndmask_b32_e64 v31, v19, 0x78, vcc_lo
	v_dual_mov_b32 v19, v97 :: v_dual_add_nc_u32 v22, 20, v31
	v_add_nc_u32_e32 v54, 19, v31
	s_delay_alu instid0(VALU_DEP_2) | instskip(NEXT) | instid1(VALU_DEP_2)
	v_lshlrev_b64_e64 v[22:23], v22, -1
	v_lshlrev_b64_e64 v[54:55], v54, 1
	s_delay_alu instid0(VALU_DEP_2) | instskip(SKIP_1) | instid1(VALU_DEP_4)
	v_bfi_b32 v22, v22, 0, v18
	v_lshrrev_b64 v[18:19], v31, v[18:19]
	v_bfi_b32 v23, v23, 0, 0
	s_delay_alu instid0(VALU_DEP_1) | instskip(NEXT) | instid1(VALU_DEP_3)
	v_cmp_eq_u64_e64 s10, v[22:23], v[54:55]
	v_mov_b64_e32 v[22:23], v[18:19]
	s_and_saveexec_b32 s40, s10
; %bb.1508:                             ;   in Loop: Header=BB6_128 Depth=2
	v_bfe_u32 v22, v18, 20, 1
	v_mov_b32_e32 v23, v97
	s_delay_alu instid0(VALU_DEP_1) | instskip(NEXT) | instid1(VALU_DEP_1)
	v_add_nc_u64_e32 v[22:23], v[18:19], v[22:23]
	v_add_nc_u64_e32 v[22:23], -1, v[22:23]
; %bb.1509:                             ;   in Loop: Header=BB6_128 Depth=2
	s_or_b32 exec_lo, exec_lo, s40
	v_add_nc_u32_e32 v3, 0xffffff81, v3
	v_lshrrev_b32_e32 v19, 23, v18
	s_mov_b32 s10, exec_lo
	s_delay_alu instid0(VALU_DEP_2) | instskip(NEXT) | instid1(VALU_DEP_1)
	v_cndmask_b32_e64 v3, v3, 0xffffff82, vcc_lo
	v_add3_u32 v23, v31, v3, v19
	v_and_b32_e32 v3, 0xfffff, v22
	s_delay_alu instid0(VALU_DEP_2) | instskip(NEXT) | instid1(VALU_DEP_2)
	v_dual_mov_b32 v19, v97 :: v_dual_add_nc_u32 v22, 6, v23
	v_add_nc_u32_e32 v18, v3, v18
                                        ; implicit-def: $vgpr3
	s_delay_alu instid0(VALU_DEP_2)
	v_cmpx_ne_u32_e32 0, v22
	s_xor_b32 s10, exec_lo, s10
; %bb.1510:                             ;   in Loop: Header=BB6_128 Depth=2
	s_delay_alu instid0(VALU_DEP_2) | instskip(SKIP_1) | instid1(VALU_DEP_1)
	v_cmp_lt_u64_e32 vcc_lo, 0xffffff, v[18:19]
	v_add_nc_u32_e32 v3, 7, v23
	v_cndmask_b32_e32 v3, v22, v3, vcc_lo
	v_cndmask_b32_e64 v22, 0, 1, vcc_lo
	s_delay_alu instid0(VALU_DEP_1)
	v_lshrrev_b64 v[18:19], v22, v[18:19]
; %bb.1511:                             ;   in Loop: Header=BB6_128 Depth=2
	s_and_not1_saveexec_b32 s10, s10
; %bb.1512:                             ;   in Loop: Header=BB6_128 Depth=2
	s_delay_alu instid0(VALU_DEP_1)
	v_bfe_u32 v3, v18, 23, 1
; %bb.1513:                             ;   in Loop: Header=BB6_128 Depth=2
	s_or_b32 exec_lo, exec_lo, s10
	s_delay_alu instid0(VALU_DEP_2) | instskip(NEXT) | instid1(VALU_DEP_2)
	v_lshrrev_b64 v[18:19], 20, v[18:19]
	v_cmp_gt_i32_e32 vcc_lo, 16, v3
	v_min_i32_e32 v22, 15, v3
	v_cmp_eq_u32_e64 s10, 0, v3
	s_delay_alu instid0(VALU_DEP_4) | instskip(NEXT) | instid1(VALU_DEP_3)
	v_cndmask_b32_e32 v18, 7, v18, vcc_lo
	v_dual_cndmask_b32 v19, 0, v19 :: v_dual_lshlrev_b32 v22, 3, v22
	s_delay_alu instid0(VALU_DEP_1) | instskip(NEXT) | instid1(VALU_DEP_2)
	v_and_b32_e32 v22, 0xf8, v22
	v_cmp_eq_u64_e32 vcc_lo, 0, v[18:19]
	s_delay_alu instid0(VALU_DEP_2)
	v_and_or_b32 v3, v18, 7, v22
	s_and_b32 s10, s10, vcc_lo
	s_delay_alu instid0(VALU_DEP_1) | instid1(SALU_CYCLE_1)
	v_cndmask_b32_e64 v3, v3, 0, s10
	s_delay_alu instid0(VALU_DEP_1)
	v_or_b32_e32 v126, v3, v2
.LBB6_1514:                             ;   in Loop: Header=BB6_128 Depth=2
	s_or_b32 exec_lo, exec_lo, s29
                                        ; implicit-def: $vgpr2
.LBB6_1515:                             ;   in Loop: Header=BB6_128 Depth=2
	s_and_not1_saveexec_b32 s10, s28
; %bb.1516:                             ;   in Loop: Header=BB6_128 Depth=2
	v_or_b32_e32 v126, 0x7e, v2
; %bb.1517:                             ;   in Loop: Header=BB6_128 Depth=2
	s_or_b32 exec_lo, exec_lo, s10
                                        ; implicit-def: $vgpr2
.LBB6_1518:                             ;   in Loop: Header=BB6_128 Depth=2
	s_and_not1_saveexec_b32 s10, s27
; %bb.1519:                             ;   in Loop: Header=BB6_128 Depth=2
	v_or_b32_e32 v126, 0x7f, v2
; %bb.1520:                             ;   in Loop: Header=BB6_128 Depth=2
	s_or_b32 exec_lo, exec_lo, s10
	v_lshrrev_b16 v18, 8, v96
	v_dual_mov_b32 v2, 0 :: v_dual_mov_b32 v3, 0
	s_mov_b32 s10, exec_lo
	s_delay_alu instid0(VALU_DEP_2)
	v_cmpx_ne_u16_e32 0, v18
	s_cbranch_execz .LBB6_1528
; %bb.1521:                             ;   in Loop: Header=BB6_128 Depth=2
	v_bfrev_b32_e32 v3, 1
	s_mov_b32 s27, exec_lo
	v_cmpx_ne_u16_e32 0x80, v18
	s_cbranch_execz .LBB6_1527
; %bb.1522:                             ;   in Loop: Header=BB6_128 Depth=2
	v_and_b32_e32 v18, 0xffff, v18
	v_mov_b32_e32 v3, 0x7f800001
	s_mov_b32 s28, exec_lo
	s_delay_alu instid0(VALU_DEP_2) | instskip(NEXT) | instid1(VALU_DEP_1)
	v_and_b32_e32 v22, 0x7f, v18
	v_cmpx_ne_u32_e32 0x7f, v22
	s_cbranch_execz .LBB6_1526
; %bb.1523:                             ;   in Loop: Header=BB6_128 Depth=2
	v_dual_mov_b32 v19, v97 :: v_dual_bitop2_b32 v18, 7, v18 bitop3:0x40
	v_lshrrev_b32_e32 v3, 3, v22
	s_mov_b32 s29, exec_lo
	v_cmpx_gt_u32_e32 8, v22
; %bb.1524:                             ;   in Loop: Header=BB6_128 Depth=2
	s_delay_alu instid0(VALU_DEP_3) | instskip(NEXT) | instid1(VALU_DEP_1)
	v_clz_i32_u32_e32 v3, v18
	v_min_u32_e32 v3, 32, v3
	s_delay_alu instid0(VALU_DEP_1) | instskip(NEXT) | instid1(VALU_DEP_1)
	v_subrev_nc_u32_e32 v22, 28, v3
	v_lshlrev_b64_e32 v[18:19], v22, v[18:19]
	s_delay_alu instid0(VALU_DEP_1)
	v_dual_sub_nc_u32 v3, 29, v3 :: v_dual_bitop2_b32 v18, 7, v18 bitop3:0x40
; %bb.1525:                             ;   in Loop: Header=BB6_128 Depth=2
	s_or_b32 exec_lo, exec_lo, s29
	s_delay_alu instid0(VALU_DEP_1) | instskip(NEXT) | instid1(VALU_DEP_2)
	v_dual_lshlrev_b32 v19, 16, v96 :: v_dual_lshlrev_b32 v18, 20, v18
	v_lshl_add_u32 v3, v3, 23, 0x3c000000
	s_delay_alu instid0(VALU_DEP_2) | instskip(NEXT) | instid1(VALU_DEP_1)
	v_and_b32_e32 v19, 0x80000000, v19
	v_or3_b32 v3, v18, v19, v3
.LBB6_1526:                             ;   in Loop: Header=BB6_128 Depth=2
	s_or_b32 exec_lo, exec_lo, s28
.LBB6_1527:                             ;   in Loop: Header=BB6_128 Depth=2
	s_delay_alu instid0(SALU_CYCLE_1)
	s_or_b32 exec_lo, exec_lo, s27
.LBB6_1528:                             ;   in Loop: Header=BB6_128 Depth=2
	s_delay_alu instid0(SALU_CYCLE_1) | instskip(SKIP_2) | instid1(VALU_DEP_1)
	s_or_b32 exec_lo, exec_lo, s10
	v_lshrrev_b16 v18, 8, v21
	s_mov_b32 s10, exec_lo
	v_cmpx_ne_u16_e32 0, v18
	s_cbranch_execz .LBB6_1536
; %bb.1529:                             ;   in Loop: Header=BB6_128 Depth=2
	v_bfrev_b32_e32 v2, 1
	s_mov_b32 s27, exec_lo
	v_cmpx_ne_u16_e32 0x80, v18
	s_cbranch_execz .LBB6_1535
; %bb.1530:                             ;   in Loop: Header=BB6_128 Depth=2
	v_and_b32_e32 v19, 0xffff, v18
	v_mov_b32_e32 v2, 0x7f800001
	s_mov_b32 s28, exec_lo
	s_delay_alu instid0(VALU_DEP_2) | instskip(NEXT) | instid1(VALU_DEP_1)
	v_and_b32_e32 v18, 0x7f, v19
	v_cmpx_ne_u32_e32 0x7f, v18
	s_cbranch_execz .LBB6_1534
; %bb.1531:                             ;   in Loop: Header=BB6_128 Depth=2
	v_dual_lshrrev_b32 v2, 3, v18 :: v_dual_bitop2_b32 v96, 7, v19 bitop3:0x40
	s_mov_b32 s29, exec_lo
	v_cmpx_gt_u32_e32 8, v18
; %bb.1532:                             ;   in Loop: Header=BB6_128 Depth=2
	s_delay_alu instid0(VALU_DEP_2) | instskip(NEXT) | instid1(VALU_DEP_1)
	v_clz_i32_u32_e32 v2, v96
	v_min_u32_e32 v2, 32, v2
	s_delay_alu instid0(VALU_DEP_1) | instskip(SKIP_1) | instid1(VALU_DEP_2)
	v_subrev_nc_u32_e32 v18, 28, v2
	v_sub_nc_u32_e32 v2, 29, v2
	v_lshlrev_b64_e32 v[18:19], v18, v[96:97]
	s_delay_alu instid0(VALU_DEP_1)
	v_and_b32_e32 v96, 7, v18
; %bb.1533:                             ;   in Loop: Header=BB6_128 Depth=2
	s_or_b32 exec_lo, exec_lo, s29
	s_delay_alu instid0(VALU_DEP_1) | instskip(SKIP_1) | instid1(VALU_DEP_2)
	v_dual_lshlrev_b32 v18, 16, v21 :: v_dual_lshlrev_b32 v19, 20, v96
	v_lshl_add_u32 v2, v2, 23, 0x3c000000
	v_and_b32_e32 v18, 0x80000000, v18
	s_delay_alu instid0(VALU_DEP_1)
	v_or3_b32 v2, v19, v18, v2
.LBB6_1534:                             ;   in Loop: Header=BB6_128 Depth=2
	s_or_b32 exec_lo, exec_lo, s28
.LBB6_1535:                             ;   in Loop: Header=BB6_128 Depth=2
	s_delay_alu instid0(SALU_CYCLE_1)
	s_or_b32 exec_lo, exec_lo, s27
.LBB6_1536:                             ;   in Loop: Header=BB6_128 Depth=2
	s_delay_alu instid0(SALU_CYCLE_1) | instskip(NEXT) | instid1(VALU_DEP_1)
	s_or_b32 exec_lo, exec_lo, s10
	v_mul_f32_e32 v18, v3, v2
                                        ; implicit-def: $vgpr2
	s_mov_b32 s10, exec_lo
	s_delay_alu instid0(VALU_DEP_1) | instskip(SKIP_1) | instid1(VALU_DEP_2)
	v_and_b32_e32 v96, 0x7f800000, v18
	v_lshrrev_b32_e32 v3, 24, v18
	v_cmpx_ne_u64_e32 0x7f800000, v[96:97]
	s_xor_b32 s27, exec_lo, s10
	s_cbranch_execz .LBB6_1550
; %bb.1537:                             ;   in Loop: Header=BB6_128 Depth=2
	v_and_b32_e32 v96, 0x7fffffff, v18
	v_and_b32_e32 v3, 0x80, v3
                                        ; implicit-def: $vgpr2
	s_mov_b32 s10, exec_lo
	s_delay_alu instid0(VALU_DEP_2)
	v_cmpx_gt_u64_e32 0x43e00001, v[96:97]
	s_xor_b32 s28, exec_lo, s10
	s_cbranch_execz .LBB6_1547
; %bb.1538:                             ;   in Loop: Header=BB6_128 Depth=2
	v_mov_b32_e32 v2, 0
	s_mov_b32 s29, exec_lo
	v_cmpx_ne_u32_e32 0, v18
	s_cbranch_execz .LBB6_1546
; %bb.1539:                             ;   in Loop: Header=BB6_128 Depth=2
	v_bfe_u32 v2, v18, 23, 8
	v_and_b32_e32 v19, 0x7fffff, v18
	s_delay_alu instid0(VALU_DEP_2) | instskip(SKIP_2) | instid1(VALU_DEP_4)
	v_cmp_gt_u32_e64 s10, 0x7a, v2
	v_sub_nc_u32_e32 v18, 0x79, v2
	v_cmp_eq_u32_e32 vcc_lo, 0, v2
	v_or_b32_e32 v22, 0x800000, v19
	s_delay_alu instid0(VALU_DEP_1) | instskip(NEXT) | instid1(VALU_DEP_1)
	v_dual_cndmask_b32 v18, 0, v18, s10 :: v_dual_cndmask_b32 v96, v22, v19, vcc_lo
	v_cndmask_b32_e64 v31, v18, 0x78, vcc_lo
	s_delay_alu instid0(VALU_DEP_1) | instskip(NEXT) | instid1(VALU_DEP_1)
	v_dual_add_nc_u32 v18, 20, v31 :: v_dual_add_nc_u32 v22, 19, v31
	v_lshlrev_b64_e64 v[18:19], v18, -1
	s_delay_alu instid0(VALU_DEP_2) | instskip(NEXT) | instid1(VALU_DEP_2)
	v_lshlrev_b64_e64 v[22:23], v22, 1
	v_bfi_b32 v19, v19, 0, 0
	s_delay_alu instid0(VALU_DEP_3) | instskip(NEXT) | instid1(VALU_DEP_1)
	v_bfi_b32 v18, v18, 0, v96
	v_cmp_eq_u64_e64 s10, v[18:19], v[22:23]
	v_lshrrev_b64 v[18:19], v31, v[96:97]
	s_delay_alu instid0(VALU_DEP_1)
	v_mov_b64_e32 v[22:23], v[18:19]
	s_and_saveexec_b32 s40, s10
; %bb.1540:                             ;   in Loop: Header=BB6_128 Depth=2
	v_bfe_u32 v96, v18, 20, 1
	s_delay_alu instid0(VALU_DEP_1) | instskip(NEXT) | instid1(VALU_DEP_1)
	v_add_nc_u64_e32 v[22:23], v[18:19], v[96:97]
	v_add_nc_u64_e32 v[22:23], -1, v[22:23]
; %bb.1541:                             ;   in Loop: Header=BB6_128 Depth=2
	s_or_b32 exec_lo, exec_lo, s40
	v_add_nc_u32_e32 v2, 0xffffff81, v2
	v_lshrrev_b32_e32 v19, 23, v18
	s_mov_b32 s10, exec_lo
	s_delay_alu instid0(VALU_DEP_2) | instskip(NEXT) | instid1(VALU_DEP_1)
	v_cndmask_b32_e64 v2, v2, 0xffffff82, vcc_lo
	v_add3_u32 v23, v31, v2, v19
	v_and_b32_e32 v2, 0xfffff, v22
	s_delay_alu instid0(VALU_DEP_1) | instskip(NEXT) | instid1(VALU_DEP_1)
	v_dual_add_nc_u32 v22, 6, v23 :: v_dual_add_nc_u32 v96, v2, v18
                                        ; implicit-def: $vgpr18_vgpr19
                                        ; implicit-def: $vgpr2
	v_cmpx_ne_u32_e32 0, v22
	s_xor_b32 s10, exec_lo, s10
; %bb.1542:                             ;   in Loop: Header=BB6_128 Depth=2
	s_delay_alu instid0(VALU_DEP_2) | instskip(SKIP_2) | instid1(VALU_DEP_2)
	v_cmp_lt_u64_e32 vcc_lo, 0xffffff, v[96:97]
	v_add_nc_u32_e32 v2, 7, v23
	v_cndmask_b32_e64 v18, 0, 1, vcc_lo
	v_cndmask_b32_e32 v2, v22, v2, vcc_lo
	s_delay_alu instid0(VALU_DEP_2)
	v_lshrrev_b64 v[18:19], v18, v[96:97]
; %bb.1543:                             ;   in Loop: Header=BB6_128 Depth=2
	s_and_not1_saveexec_b32 s10, s10
; %bb.1544:                             ;   in Loop: Header=BB6_128 Depth=2
	v_mov_b64_e32 v[18:19], v[96:97]
	v_bfe_u32 v2, v96, 23, 1
; %bb.1545:                             ;   in Loop: Header=BB6_128 Depth=2
	s_or_b32 exec_lo, exec_lo, s10
	s_delay_alu instid0(VALU_DEP_2) | instskip(NEXT) | instid1(VALU_DEP_2)
	v_lshrrev_b64 v[18:19], 20, v[18:19]
	v_cmp_gt_i32_e32 vcc_lo, 16, v2
	v_min_i32_e32 v22, 15, v2
	v_cmp_eq_u32_e64 s10, 0, v2
	s_delay_alu instid0(VALU_DEP_2) | instskip(SKIP_1) | instid1(VALU_DEP_2)
	v_dual_cndmask_b32 v19, 0, v19 :: v_dual_lshlrev_b32 v22, 3, v22
	v_cndmask_b32_e32 v18, 7, v18, vcc_lo
	v_and_b32_e32 v22, 0xf8, v22
	s_delay_alu instid0(VALU_DEP_2) | instskip(NEXT) | instid1(VALU_DEP_2)
	v_cmp_eq_u64_e32 vcc_lo, 0, v[18:19]
	v_and_or_b32 v2, v18, 7, v22
	s_and_b32 s10, s10, vcc_lo
	s_delay_alu instid0(VALU_DEP_1) | instid1(SALU_CYCLE_1)
	v_cndmask_b32_e64 v2, v2, 0, s10
	s_delay_alu instid0(VALU_DEP_1)
	v_or_b32_e32 v2, v2, v3
.LBB6_1546:                             ;   in Loop: Header=BB6_128 Depth=2
	s_or_b32 exec_lo, exec_lo, s29
                                        ; implicit-def: $vgpr3
.LBB6_1547:                             ;   in Loop: Header=BB6_128 Depth=2
	s_and_not1_saveexec_b32 s10, s28
; %bb.1548:                             ;   in Loop: Header=BB6_128 Depth=2
	v_or_b32_e32 v2, 0x7e, v3
; %bb.1549:                             ;   in Loop: Header=BB6_128 Depth=2
	s_or_b32 exec_lo, exec_lo, s10
                                        ; implicit-def: $vgpr3
.LBB6_1550:                             ;   in Loop: Header=BB6_128 Depth=2
	s_and_not1_saveexec_b32 s10, s27
; %bb.1551:                             ;   in Loop: Header=BB6_128 Depth=2
	v_or_b32_e32 v2, 0x7f, v3
; %bb.1552:                             ;   in Loop: Header=BB6_128 Depth=2
	s_or_b32 exec_lo, exec_lo, s10
	v_dual_lshrrev_b32 v19, 16, v25 :: v_dual_mov_b32 v3, 0
	v_mov_b32_e32 v18, 0
	s_mov_b32 s10, exec_lo
	s_delay_alu instid0(VALU_DEP_2) | instskip(NEXT) | instid1(VALU_DEP_1)
	v_and_b32_e32 v22, 0xff, v19
	v_cmpx_ne_u16_e32 0, v22
	s_cbranch_execz .LBB6_1560
; %bb.1553:                             ;   in Loop: Header=BB6_128 Depth=2
	v_bfrev_b32_e32 v18, 1
	s_mov_b32 s27, exec_lo
	v_cmpx_ne_u16_e32 0x80, v22
	s_cbranch_execz .LBB6_1559
; %bb.1554:                             ;   in Loop: Header=BB6_128 Depth=2
	v_bfe_u32 v22, v25, 16, 7
	v_mov_b32_e32 v18, 0x7f800001
	s_mov_b32 s28, exec_lo
	s_delay_alu instid0(VALU_DEP_2)
	v_cmpx_ne_u32_e32 0x7f, v22
	s_cbranch_execz .LBB6_1558
; %bb.1555:                             ;   in Loop: Header=BB6_128 Depth=2
	v_dual_lshrrev_b32 v18, 3, v22 :: v_dual_bitop2_b32 v96, 7, v19 bitop3:0x40
	s_mov_b32 s29, exec_lo
	v_cmpx_gt_u32_e32 8, v22
; %bb.1556:                             ;   in Loop: Header=BB6_128 Depth=2
	s_delay_alu instid0(VALU_DEP_2) | instskip(NEXT) | instid1(VALU_DEP_1)
	v_clz_i32_u32_e32 v18, v96
	v_min_u32_e32 v18, 32, v18
	s_delay_alu instid0(VALU_DEP_1) | instskip(SKIP_1) | instid1(VALU_DEP_2)
	v_subrev_nc_u32_e32 v22, 28, v18
	v_sub_nc_u32_e32 v18, 29, v18
	v_lshlrev_b64_e32 v[22:23], v22, v[96:97]
	s_delay_alu instid0(VALU_DEP_1)
	v_and_b32_e32 v96, 7, v22
; %bb.1557:                             ;   in Loop: Header=BB6_128 Depth=2
	s_or_b32 exec_lo, exec_lo, s29
	s_delay_alu instid0(VALU_DEP_1) | instskip(SKIP_1) | instid1(VALU_DEP_2)
	v_dual_lshlrev_b32 v19, 24, v19 :: v_dual_lshlrev_b32 v22, 20, v96
	v_lshl_add_u32 v18, v18, 23, 0x3c000000
	v_and_b32_e32 v19, 0x80000000, v19
	s_delay_alu instid0(VALU_DEP_1)
	v_or3_b32 v18, v22, v19, v18
.LBB6_1558:                             ;   in Loop: Header=BB6_128 Depth=2
	s_or_b32 exec_lo, exec_lo, s28
.LBB6_1559:                             ;   in Loop: Header=BB6_128 Depth=2
	s_delay_alu instid0(SALU_CYCLE_1)
	s_or_b32 exec_lo, exec_lo, s27
.LBB6_1560:                             ;   in Loop: Header=BB6_128 Depth=2
	s_delay_alu instid0(SALU_CYCLE_1) | instskip(SKIP_2) | instid1(VALU_DEP_1)
	s_or_b32 exec_lo, exec_lo, s10
	v_lshrrev_b32_e32 v19, 16, v21
	s_mov_b32 s10, exec_lo
	v_and_b32_e32 v22, 0xff, v19
	s_delay_alu instid0(VALU_DEP_1)
	v_cmpx_ne_u16_e32 0, v22
	s_cbranch_execz .LBB6_1568
; %bb.1561:                             ;   in Loop: Header=BB6_128 Depth=2
	v_bfrev_b32_e32 v3, 1
	s_mov_b32 s27, exec_lo
	v_cmpx_ne_u16_e32 0x80, v22
	s_cbranch_execz .LBB6_1567
; %bb.1562:                             ;   in Loop: Header=BB6_128 Depth=2
	v_bfe_u32 v22, v21, 16, 7
	v_mov_b32_e32 v3, 0x7f800001
	s_mov_b32 s28, exec_lo
	s_delay_alu instid0(VALU_DEP_2)
	v_cmpx_ne_u32_e32 0x7f, v22
	s_cbranch_execz .LBB6_1566
; %bb.1563:                             ;   in Loop: Header=BB6_128 Depth=2
	v_dual_lshrrev_b32 v3, 3, v22 :: v_dual_bitop2_b32 v96, 7, v19 bitop3:0x40
	s_mov_b32 s29, exec_lo
	v_cmpx_gt_u32_e32 8, v22
; %bb.1564:                             ;   in Loop: Header=BB6_128 Depth=2
	s_delay_alu instid0(VALU_DEP_2) | instskip(NEXT) | instid1(VALU_DEP_1)
	v_clz_i32_u32_e32 v3, v96
	v_min_u32_e32 v3, 32, v3
	s_delay_alu instid0(VALU_DEP_1) | instskip(NEXT) | instid1(VALU_DEP_1)
	v_subrev_nc_u32_e32 v19, 28, v3
	v_lshlrev_b64_e32 v[22:23], v19, v[96:97]
	s_delay_alu instid0(VALU_DEP_1)
	v_dual_sub_nc_u32 v3, 29, v3 :: v_dual_bitop2_b32 v96, 7, v22 bitop3:0x40
; %bb.1565:                             ;   in Loop: Header=BB6_128 Depth=2
	s_or_b32 exec_lo, exec_lo, s29
	s_delay_alu instid0(VALU_DEP_1) | instskip(NEXT) | instid1(VALU_DEP_2)
	v_dual_lshlrev_b32 v19, 8, v21 :: v_dual_lshlrev_b32 v22, 20, v96
	v_lshl_add_u32 v3, v3, 23, 0x3c000000
	s_delay_alu instid0(VALU_DEP_2) | instskip(NEXT) | instid1(VALU_DEP_1)
	v_and_b32_e32 v19, 0x80000000, v19
	v_or3_b32 v3, v22, v19, v3
.LBB6_1566:                             ;   in Loop: Header=BB6_128 Depth=2
	s_or_b32 exec_lo, exec_lo, s28
.LBB6_1567:                             ;   in Loop: Header=BB6_128 Depth=2
	s_delay_alu instid0(SALU_CYCLE_1)
	s_or_b32 exec_lo, exec_lo, s27
.LBB6_1568:                             ;   in Loop: Header=BB6_128 Depth=2
	s_delay_alu instid0(SALU_CYCLE_1) | instskip(NEXT) | instid1(VALU_DEP_1)
	s_or_b32 exec_lo, exec_lo, s10
	v_mul_f32_e32 v18, v18, v3
                                        ; implicit-def: $vgpr3
	s_mov_b32 s10, exec_lo
	s_delay_alu instid0(VALU_DEP_1) | instskip(SKIP_1) | instid1(VALU_DEP_2)
	v_and_b32_e32 v96, 0x7f800000, v18
	v_lshrrev_b32_e32 v19, 24, v18
	v_cmpx_ne_u64_e32 0x7f800000, v[96:97]
	s_xor_b32 s27, exec_lo, s10
	s_cbranch_execz .LBB6_1582
; %bb.1569:                             ;   in Loop: Header=BB6_128 Depth=2
	v_and_b32_e32 v96, 0x7fffffff, v18
	v_and_b32_e32 v112, 0x80, v19
                                        ; implicit-def: $vgpr3
	s_mov_b32 s10, exec_lo
	s_delay_alu instid0(VALU_DEP_2)
	v_cmpx_gt_u64_e32 0x43e00001, v[96:97]
	s_xor_b32 s28, exec_lo, s10
	s_cbranch_execz .LBB6_1579
; %bb.1570:                             ;   in Loop: Header=BB6_128 Depth=2
	v_mov_b32_e32 v3, 0
	s_mov_b32 s29, exec_lo
	v_cmpx_ne_u32_e32 0, v18
	s_cbranch_execz .LBB6_1578
; %bb.1571:                             ;   in Loop: Header=BB6_128 Depth=2
	v_bfe_u32 v3, v18, 23, 8
	v_and_b32_e32 v19, 0x7fffff, v18
	s_delay_alu instid0(VALU_DEP_2) | instskip(SKIP_2) | instid1(VALU_DEP_4)
	v_cmp_gt_u32_e64 s10, 0x7a, v3
	v_sub_nc_u32_e32 v18, 0x79, v3
	v_cmp_eq_u32_e32 vcc_lo, 0, v3
	v_or_b32_e32 v22, 0x800000, v19
	s_delay_alu instid0(VALU_DEP_1) | instskip(NEXT) | instid1(VALU_DEP_1)
	v_dual_cndmask_b32 v18, 0, v18, s10 :: v_dual_cndmask_b32 v96, v22, v19, vcc_lo
	v_cndmask_b32_e64 v31, v18, 0x78, vcc_lo
	s_delay_alu instid0(VALU_DEP_1) | instskip(NEXT) | instid1(VALU_DEP_1)
	v_dual_add_nc_u32 v18, 20, v31 :: v_dual_add_nc_u32 v22, 19, v31
	v_lshlrev_b64_e64 v[18:19], v18, -1
	s_delay_alu instid0(VALU_DEP_2) | instskip(NEXT) | instid1(VALU_DEP_2)
	v_lshlrev_b64_e64 v[22:23], v22, 1
	v_bfi_b32 v19, v19, 0, 0
	s_delay_alu instid0(VALU_DEP_3) | instskip(NEXT) | instid1(VALU_DEP_1)
	v_bfi_b32 v18, v18, 0, v96
	v_cmp_eq_u64_e64 s10, v[18:19], v[22:23]
	v_lshrrev_b64 v[18:19], v31, v[96:97]
	s_delay_alu instid0(VALU_DEP_1)
	v_mov_b64_e32 v[22:23], v[18:19]
	s_and_saveexec_b32 s40, s10
; %bb.1572:                             ;   in Loop: Header=BB6_128 Depth=2
	v_bfe_u32 v96, v18, 20, 1
	s_delay_alu instid0(VALU_DEP_1) | instskip(NEXT) | instid1(VALU_DEP_1)
	v_add_nc_u64_e32 v[22:23], v[18:19], v[96:97]
	v_add_nc_u64_e32 v[22:23], -1, v[22:23]
; %bb.1573:                             ;   in Loop: Header=BB6_128 Depth=2
	s_or_b32 exec_lo, exec_lo, s40
	v_add_nc_u32_e32 v3, 0xffffff81, v3
	v_lshrrev_b32_e32 v19, 23, v18
	s_mov_b32 s10, exec_lo
	s_delay_alu instid0(VALU_DEP_2) | instskip(NEXT) | instid1(VALU_DEP_1)
	v_cndmask_b32_e64 v3, v3, 0xffffff82, vcc_lo
	v_add3_u32 v23, v31, v3, v19
	v_and_b32_e32 v3, 0xfffff, v22
	s_delay_alu instid0(VALU_DEP_1) | instskip(NEXT) | instid1(VALU_DEP_1)
	v_dual_add_nc_u32 v22, 6, v23 :: v_dual_add_nc_u32 v96, v3, v18
                                        ; implicit-def: $vgpr18_vgpr19
                                        ; implicit-def: $vgpr3
	v_cmpx_ne_u32_e32 0, v22
	s_xor_b32 s10, exec_lo, s10
; %bb.1574:                             ;   in Loop: Header=BB6_128 Depth=2
	s_delay_alu instid0(VALU_DEP_2) | instskip(SKIP_2) | instid1(VALU_DEP_2)
	v_cmp_lt_u64_e32 vcc_lo, 0xffffff, v[96:97]
	v_add_nc_u32_e32 v3, 7, v23
	v_cndmask_b32_e64 v18, 0, 1, vcc_lo
	v_cndmask_b32_e32 v3, v22, v3, vcc_lo
	s_delay_alu instid0(VALU_DEP_2)
	v_lshrrev_b64 v[18:19], v18, v[96:97]
; %bb.1575:                             ;   in Loop: Header=BB6_128 Depth=2
	s_and_not1_saveexec_b32 s10, s10
; %bb.1576:                             ;   in Loop: Header=BB6_128 Depth=2
	v_mov_b64_e32 v[18:19], v[96:97]
	v_bfe_u32 v3, v96, 23, 1
; %bb.1577:                             ;   in Loop: Header=BB6_128 Depth=2
	s_or_b32 exec_lo, exec_lo, s10
	s_delay_alu instid0(VALU_DEP_2) | instskip(NEXT) | instid1(VALU_DEP_2)
	v_lshrrev_b64 v[18:19], 20, v[18:19]
	v_cmp_gt_i32_e32 vcc_lo, 16, v3
	v_min_i32_e32 v22, 15, v3
	v_cmp_eq_u32_e64 s10, 0, v3
	s_delay_alu instid0(VALU_DEP_4) | instskip(NEXT) | instid1(VALU_DEP_3)
	v_cndmask_b32_e32 v18, 7, v18, vcc_lo
	v_dual_cndmask_b32 v19, 0, v19 :: v_dual_lshlrev_b32 v22, 3, v22
	s_delay_alu instid0(VALU_DEP_1) | instskip(NEXT) | instid1(VALU_DEP_2)
	v_and_b32_e32 v22, 0xf8, v22
	v_cmp_eq_u64_e32 vcc_lo, 0, v[18:19]
	s_delay_alu instid0(VALU_DEP_2)
	v_and_or_b32 v3, v18, 7, v22
	s_and_b32 s10, s10, vcc_lo
	s_delay_alu instid0(VALU_DEP_1) | instid1(SALU_CYCLE_1)
	v_cndmask_b32_e64 v3, v3, 0, s10
	s_delay_alu instid0(VALU_DEP_1)
	v_or_b32_e32 v3, v3, v112
.LBB6_1578:                             ;   in Loop: Header=BB6_128 Depth=2
	s_or_b32 exec_lo, exec_lo, s29
                                        ; implicit-def: $vgpr112
.LBB6_1579:                             ;   in Loop: Header=BB6_128 Depth=2
	s_and_not1_saveexec_b32 s10, s28
; %bb.1580:                             ;   in Loop: Header=BB6_128 Depth=2
	v_or_b32_e32 v3, 0x7e, v112
; %bb.1581:                             ;   in Loop: Header=BB6_128 Depth=2
	s_or_b32 exec_lo, exec_lo, s10
                                        ; implicit-def: $vgpr19
.LBB6_1582:                             ;   in Loop: Header=BB6_128 Depth=2
	s_and_not1_saveexec_b32 s10, s27
; %bb.1583:                             ;   in Loop: Header=BB6_128 Depth=2
	v_or_b32_e32 v3, 0x7f, v19
; %bb.1584:                             ;   in Loop: Header=BB6_128 Depth=2
	s_or_b32 exec_lo, exec_lo, s10
	v_dual_mov_b32 v18, 0 :: v_dual_mov_b32 v19, 0
	s_mov_b32 s10, exec_lo
	v_cmpx_lt_u64_e64 s[14:15], v[24:25]
	s_cbranch_execz .LBB6_1592
; %bb.1585:                             ;   in Loop: Header=BB6_128 Depth=2
	v_lshrrev_b32_e32 v22, 24, v25
	v_bfrev_b32_e32 v19, 1
	s_mov_b32 s27, exec_lo
	s_delay_alu instid0(VALU_DEP_2)
	v_cmpx_ne_u32_e32 0x80, v22
	s_cbranch_execz .LBB6_1591
; %bb.1586:                             ;   in Loop: Header=BB6_128 Depth=2
	v_bfe_u32 v23, v25, 24, 7
	v_mov_b32_e32 v19, 0x7f800001
	s_mov_b32 s28, exec_lo
	s_delay_alu instid0(VALU_DEP_2)
	v_cmpx_ne_u32_e32 0x7f, v23
	s_cbranch_execz .LBB6_1590
; %bb.1587:                             ;   in Loop: Header=BB6_128 Depth=2
	v_dual_lshrrev_b32 v19, 3, v23 :: v_dual_bitop2_b32 v96, 7, v22 bitop3:0x40
	s_mov_b32 s29, exec_lo
	v_cmpx_gt_u32_e32 8, v23
; %bb.1588:                             ;   in Loop: Header=BB6_128 Depth=2
	s_delay_alu instid0(VALU_DEP_2) | instskip(NEXT) | instid1(VALU_DEP_1)
	v_clz_i32_u32_e32 v19, v96
	v_min_u32_e32 v19, 32, v19
	s_delay_alu instid0(VALU_DEP_1) | instskip(NEXT) | instid1(VALU_DEP_1)
	v_subrev_nc_u32_e32 v23, 28, v19
	v_lshlrev_b64_e32 v[24:25], v23, v[96:97]
	s_delay_alu instid0(VALU_DEP_1)
	v_dual_sub_nc_u32 v19, 29, v19 :: v_dual_bitop2_b32 v96, 7, v24 bitop3:0x40
; %bb.1589:                             ;   in Loop: Header=BB6_128 Depth=2
	s_or_b32 exec_lo, exec_lo, s29
	s_delay_alu instid0(VALU_DEP_1) | instskip(NEXT) | instid1(VALU_DEP_2)
	v_dual_lshlrev_b32 v22, 24, v22 :: v_dual_lshlrev_b32 v23, 20, v96
	v_lshl_add_u32 v19, v19, 23, 0x3c000000
	s_delay_alu instid0(VALU_DEP_2) | instskip(NEXT) | instid1(VALU_DEP_1)
	v_and_b32_e32 v22, 0x80000000, v22
	v_or3_b32 v19, v23, v22, v19
.LBB6_1590:                             ;   in Loop: Header=BB6_128 Depth=2
	s_or_b32 exec_lo, exec_lo, s28
.LBB6_1591:                             ;   in Loop: Header=BB6_128 Depth=2
	s_delay_alu instid0(SALU_CYCLE_1)
	s_or_b32 exec_lo, exec_lo, s27
.LBB6_1592:                             ;   in Loop: Header=BB6_128 Depth=2
	s_delay_alu instid0(SALU_CYCLE_1) | instskip(NEXT) | instid1(SALU_CYCLE_1)
	s_or_b32 exec_lo, exec_lo, s10
	s_mov_b32 s10, exec_lo
	v_cmpx_lt_u64_e64 s[14:15], v[20:21]
	s_cbranch_execz .LBB6_1600
; %bb.1593:                             ;   in Loop: Header=BB6_128 Depth=2
	v_lshrrev_b32_e32 v20, 24, v21
	v_bfrev_b32_e32 v18, 1
	s_mov_b32 s27, exec_lo
	s_delay_alu instid0(VALU_DEP_2)
	v_cmpx_ne_u32_e32 0x80, v20
	s_cbranch_execz .LBB6_1599
; %bb.1594:                             ;   in Loop: Header=BB6_128 Depth=2
	v_bfe_u32 v21, v21, 24, 7
	v_mov_b32_e32 v18, 0x7f800001
	s_mov_b32 s28, exec_lo
	s_delay_alu instid0(VALU_DEP_2)
	v_cmpx_ne_u32_e32 0x7f, v21
	s_cbranch_execz .LBB6_1598
; %bb.1595:                             ;   in Loop: Header=BB6_128 Depth=2
	v_dual_lshrrev_b32 v18, 3, v21 :: v_dual_bitop2_b32 v96, 7, v20 bitop3:0x40
	s_mov_b32 s29, exec_lo
	v_cmpx_gt_u32_e32 8, v21
; %bb.1596:                             ;   in Loop: Header=BB6_128 Depth=2
	s_delay_alu instid0(VALU_DEP_2) | instskip(NEXT) | instid1(VALU_DEP_1)
	v_clz_i32_u32_e32 v18, v96
	v_min_u32_e32 v18, 32, v18
	s_delay_alu instid0(VALU_DEP_1) | instskip(SKIP_1) | instid1(VALU_DEP_2)
	v_subrev_nc_u32_e32 v21, 28, v18
	v_sub_nc_u32_e32 v18, 29, v18
	v_lshlrev_b64_e32 v[22:23], v21, v[96:97]
	s_delay_alu instid0(VALU_DEP_1)
	v_and_b32_e32 v96, 7, v22
; %bb.1597:                             ;   in Loop: Header=BB6_128 Depth=2
	s_or_b32 exec_lo, exec_lo, s29
	v_lshlrev_b32_e32 v20, 24, v20
	s_delay_alu instid0(VALU_DEP_2) | instskip(SKIP_1) | instid1(VALU_DEP_3)
	v_lshlrev_b32_e32 v21, 20, v96
	v_lshl_add_u32 v18, v18, 23, 0x3c000000
	v_and_b32_e32 v20, 0x80000000, v20
	s_delay_alu instid0(VALU_DEP_1)
	v_or3_b32 v18, v21, v20, v18
.LBB6_1598:                             ;   in Loop: Header=BB6_128 Depth=2
	s_or_b32 exec_lo, exec_lo, s28
.LBB6_1599:                             ;   in Loop: Header=BB6_128 Depth=2
	s_delay_alu instid0(SALU_CYCLE_1)
	s_or_b32 exec_lo, exec_lo, s27
.LBB6_1600:                             ;   in Loop: Header=BB6_128 Depth=2
	s_delay_alu instid0(SALU_CYCLE_1) | instskip(NEXT) | instid1(VALU_DEP_1)
	s_or_b32 exec_lo, exec_lo, s10
	v_mul_f32_e32 v18, v19, v18
                                        ; implicit-def: $vgpr22
	s_mov_b32 s10, exec_lo
	s_delay_alu instid0(VALU_DEP_1) | instskip(SKIP_1) | instid1(VALU_DEP_2)
	v_and_b32_e32 v96, 0x7f800000, v18
	v_lshrrev_b32_e32 v19, 24, v18
	v_cmpx_ne_u64_e32 0x7f800000, v[96:97]
	s_xor_b32 s27, exec_lo, s10
	s_cbranch_execz .LBB6_1614
; %bb.1601:                             ;   in Loop: Header=BB6_128 Depth=2
	v_and_b32_e32 v96, 0x7fffffff, v18
	v_and_b32_e32 v23, 0x80, v19
                                        ; implicit-def: $vgpr22
	s_mov_b32 s10, exec_lo
	s_delay_alu instid0(VALU_DEP_2)
	v_cmpx_gt_u64_e32 0x43e00001, v[96:97]
	s_xor_b32 s28, exec_lo, s10
	s_cbranch_execz .LBB6_1611
; %bb.1602:                             ;   in Loop: Header=BB6_128 Depth=2
	v_mov_b32_e32 v22, 0
	s_mov_b32 s29, exec_lo
	v_cmpx_ne_u32_e32 0, v18
	s_cbranch_execz .LBB6_1610
; %bb.1603:                             ;   in Loop: Header=BB6_128 Depth=2
	v_bfe_u32 v22, v18, 23, 8
	v_and_b32_e32 v19, 0x7fffff, v18
	s_delay_alu instid0(VALU_DEP_2) | instskip(SKIP_2) | instid1(VALU_DEP_4)
	v_cmp_gt_u32_e64 s10, 0x7a, v22
	v_sub_nc_u32_e32 v18, 0x79, v22
	v_cmp_eq_u32_e32 vcc_lo, 0, v22
	v_or_b32_e32 v20, 0x800000, v19
	s_delay_alu instid0(VALU_DEP_1) | instskip(NEXT) | instid1(VALU_DEP_1)
	v_dual_cndmask_b32 v18, 0, v18, s10 :: v_dual_cndmask_b32 v96, v20, v19, vcc_lo
	v_cndmask_b32_e64 v24, v18, 0x78, vcc_lo
	s_delay_alu instid0(VALU_DEP_1) | instskip(NEXT) | instid1(VALU_DEP_1)
	v_dual_add_nc_u32 v18, 20, v24 :: v_dual_add_nc_u32 v20, 19, v24
	v_lshlrev_b64_e64 v[18:19], v18, -1
	s_delay_alu instid0(VALU_DEP_2) | instskip(NEXT) | instid1(VALU_DEP_2)
	v_lshlrev_b64_e64 v[20:21], v20, 1
	v_bfi_b32 v19, v19, 0, 0
	s_delay_alu instid0(VALU_DEP_3) | instskip(NEXT) | instid1(VALU_DEP_1)
	v_bfi_b32 v18, v18, 0, v96
	v_cmp_eq_u64_e64 s10, v[18:19], v[20:21]
	v_lshrrev_b64 v[18:19], v24, v[96:97]
	s_delay_alu instid0(VALU_DEP_1)
	v_mov_b64_e32 v[20:21], v[18:19]
	s_and_saveexec_b32 s40, s10
; %bb.1604:                             ;   in Loop: Header=BB6_128 Depth=2
	v_bfe_u32 v96, v18, 20, 1
	s_delay_alu instid0(VALU_DEP_1) | instskip(NEXT) | instid1(VALU_DEP_1)
	v_add_nc_u64_e32 v[20:21], v[18:19], v[96:97]
	v_add_nc_u64_e32 v[20:21], -1, v[20:21]
; %bb.1605:                             ;   in Loop: Header=BB6_128 Depth=2
	s_or_b32 exec_lo, exec_lo, s40
	v_add_nc_u32_e32 v19, 0xffffff81, v22
	v_lshrrev_b32_e32 v21, 23, v18
	s_mov_b32 s10, exec_lo
	s_delay_alu instid0(VALU_DEP_2) | instskip(NEXT) | instid1(VALU_DEP_1)
	v_cndmask_b32_e64 v19, v19, 0xffffff82, vcc_lo
	v_add3_u32 v21, v24, v19, v21
	v_and_b32_e32 v19, 0xfffff, v20
                                        ; implicit-def: $vgpr20
	s_delay_alu instid0(VALU_DEP_1) | instskip(NEXT) | instid1(VALU_DEP_1)
	v_dual_add_nc_u32 v22, 6, v21 :: v_dual_add_nc_u32 v96, v19, v18
                                        ; implicit-def: $vgpr18_vgpr19
	v_cmpx_ne_u32_e32 0, v22
	s_xor_b32 s10, exec_lo, s10
; %bb.1606:                             ;   in Loop: Header=BB6_128 Depth=2
	s_delay_alu instid0(VALU_DEP_2) | instskip(SKIP_1) | instid1(VALU_DEP_1)
	v_cmp_lt_u64_e32 vcc_lo, 0xffffff, v[96:97]
	v_add_nc_u32_e32 v18, 7, v21
	v_cndmask_b32_e32 v20, v22, v18, vcc_lo
	v_cndmask_b32_e64 v18, 0, 1, vcc_lo
	s_delay_alu instid0(VALU_DEP_1)
	v_lshrrev_b64 v[18:19], v18, v[96:97]
; %bb.1607:                             ;   in Loop: Header=BB6_128 Depth=2
	s_and_not1_saveexec_b32 s10, s10
; %bb.1608:                             ;   in Loop: Header=BB6_128 Depth=2
	v_mov_b64_e32 v[18:19], v[96:97]
	v_bfe_u32 v20, v96, 23, 1
; %bb.1609:                             ;   in Loop: Header=BB6_128 Depth=2
	s_or_b32 exec_lo, exec_lo, s10
	s_delay_alu instid0(VALU_DEP_2) | instskip(NEXT) | instid1(VALU_DEP_2)
	v_lshrrev_b64 v[18:19], 20, v[18:19]
	v_cmp_gt_i32_e32 vcc_lo, 16, v20
	v_min_i32_e32 v21, 15, v20
	v_cmp_eq_u32_e64 s10, 0, v20
	s_delay_alu instid0(VALU_DEP_2) | instskip(SKIP_1) | instid1(VALU_DEP_2)
	v_dual_cndmask_b32 v19, 0, v19, vcc_lo :: v_dual_lshlrev_b32 v21, 3, v21
	v_cndmask_b32_e32 v18, 7, v18, vcc_lo
	v_and_b32_e32 v21, 0xf8, v21
	s_delay_alu instid0(VALU_DEP_2) | instskip(NEXT) | instid1(VALU_DEP_2)
	v_cmp_eq_u64_e32 vcc_lo, 0, v[18:19]
	v_and_or_b32 v18, v18, 7, v21
	s_and_b32 s10, s10, vcc_lo
	s_delay_alu instid0(VALU_DEP_1) | instid1(SALU_CYCLE_1)
	v_cndmask_b32_e64 v18, v18, 0, s10
	s_delay_alu instid0(VALU_DEP_1)
	v_or_b32_e32 v22, v18, v23
.LBB6_1610:                             ;   in Loop: Header=BB6_128 Depth=2
	s_or_b32 exec_lo, exec_lo, s29
                                        ; implicit-def: $vgpr23
.LBB6_1611:                             ;   in Loop: Header=BB6_128 Depth=2
	s_and_not1_saveexec_b32 s10, s28
; %bb.1612:                             ;   in Loop: Header=BB6_128 Depth=2
	v_or_b32_e32 v22, 0x7e, v23
; %bb.1613:                             ;   in Loop: Header=BB6_128 Depth=2
	s_or_b32 exec_lo, exec_lo, s10
                                        ; implicit-def: $vgpr19
.LBB6_1614:                             ;   in Loop: Header=BB6_128 Depth=2
	s_and_not1_saveexec_b32 s10, s27
; %bb.1615:                             ;   in Loop: Header=BB6_128 Depth=2
	v_or_b32_e32 v22, 0x7f, v19
; %bb.1616:                             ;   in Loop: Header=BB6_128 Depth=2
	s_or_b32 exec_lo, exec_lo, s10
	v_and_b32_e32 v20, 0xff, v14
	v_dual_mov_b32 v18, 0 :: v_dual_mov_b32 v19, 0
	s_mov_b32 s10, exec_lo
	s_delay_alu instid0(VALU_DEP_2)
	v_cmpx_ne_u16_e32 0, v20
	s_cbranch_execz .LBB6_1622
; %bb.1617:                             ;   in Loop: Header=BB6_128 Depth=2
	v_bfrev_b32_e32 v19, 1
	s_mov_b32 s27, exec_lo
	v_cmpx_ne_u16_e32 0x80, v20
	s_cbranch_execz .LBB6_1621
; %bb.1618:                             ;   in Loop: Header=BB6_128 Depth=2
	v_and_b32_e32 v20, 0x7f, v14
	v_mov_b32_e32 v19, 0x7f800001
	s_mov_b32 s28, exec_lo
	s_delay_alu instid0(VALU_DEP_2)
	v_cmpx_ne_u32_e32 0x7f, v20
	s_cbranch_execz .LBB6_1620
; %bb.1619:                             ;   in Loop: Header=BB6_128 Depth=2
	v_dual_lshrrev_b32 v21, 3, v20 :: v_dual_bitop2_b32 v19, 7, v14 bitop3:0x40
	v_cmp_gt_u32_e32 vcc_lo, 8, v20
	s_delay_alu instid0(VALU_DEP_2) | instskip(NEXT) | instid1(VALU_DEP_1)
	v_clz_i32_u32_e32 v19, v19
	v_min_u32_e32 v19, 32, v19
	s_delay_alu instid0(VALU_DEP_1) | instskip(NEXT) | instid1(VALU_DEP_1)
	v_subrev_nc_u32_e32 v20, 28, v19
	v_dual_cndmask_b32 v20, 0, v20 :: v_dual_sub_nc_u32 v19, 29, v19
	s_delay_alu instid0(VALU_DEP_1) | instskip(NEXT) | instid1(VALU_DEP_2)
	v_cndmask_b32_e32 v19, v21, v19, vcc_lo
	v_lshlrev_b64_e32 v[20:21], v20, v[14:15]
	v_lshlrev_b32_e32 v21, 24, v14
	s_delay_alu instid0(VALU_DEP_1) | instskip(NEXT) | instid1(VALU_DEP_3)
	v_and_b32_e32 v21, 0x80000000, v21
	v_lshlrev_b32_e32 v20, 20, v20
	v_lshl_add_u32 v19, v19, 23, 0x3c000000
	s_delay_alu instid0(VALU_DEP_2) | instskip(NEXT) | instid1(VALU_DEP_1)
	v_and_b32_e32 v20, 0x700000, v20
	v_or3_b32 v19, v20, v21, v19
.LBB6_1620:                             ;   in Loop: Header=BB6_128 Depth=2
	s_or_b32 exec_lo, exec_lo, s28
.LBB6_1621:                             ;   in Loop: Header=BB6_128 Depth=2
	s_delay_alu instid0(SALU_CYCLE_1)
	s_or_b32 exec_lo, exec_lo, s27
.LBB6_1622:                             ;   in Loop: Header=BB6_128 Depth=2
	s_delay_alu instid0(SALU_CYCLE_1) | instskip(SKIP_3) | instid1(VALU_DEP_1)
	s_or_b32 exec_lo, exec_lo, s10
	s_wait_loadcnt 0x0
	v_and_b32_e32 v20, 0xff, v10
	s_mov_b32 s10, exec_lo
	v_cmpx_ne_u16_e32 0, v20
	s_cbranch_execz .LBB6_1628
; %bb.1623:                             ;   in Loop: Header=BB6_128 Depth=2
	v_bfrev_b32_e32 v18, 1
	s_mov_b32 s27, exec_lo
	v_cmpx_ne_u16_e32 0x80, v20
	s_cbranch_execz .LBB6_1627
; %bb.1624:                             ;   in Loop: Header=BB6_128 Depth=2
	v_and_b32_e32 v20, 0x7f, v10
	v_mov_b32_e32 v18, 0x7f800001
	s_mov_b32 s28, exec_lo
	s_delay_alu instid0(VALU_DEP_2)
	v_cmpx_ne_u32_e32 0x7f, v20
	s_cbranch_execz .LBB6_1626
; %bb.1625:                             ;   in Loop: Header=BB6_128 Depth=2
	v_dual_lshrrev_b32 v21, 3, v20 :: v_dual_bitop2_b32 v18, 7, v10 bitop3:0x40
	v_cmp_gt_u32_e32 vcc_lo, 8, v20
	s_delay_alu instid0(VALU_DEP_2) | instskip(NEXT) | instid1(VALU_DEP_1)
	v_clz_i32_u32_e32 v18, v18
	v_min_u32_e32 v18, 32, v18
	s_delay_alu instid0(VALU_DEP_1) | instskip(NEXT) | instid1(VALU_DEP_1)
	v_subrev_nc_u32_e32 v20, 28, v18
	v_dual_sub_nc_u32 v18, 29, v18 :: v_dual_cndmask_b32 v20, 0, v20, vcc_lo
	s_delay_alu instid0(VALU_DEP_1) | instskip(NEXT) | instid1(VALU_DEP_2)
	v_cndmask_b32_e32 v18, v21, v18, vcc_lo
	v_lshlrev_b64_e32 v[20:21], v20, v[10:11]
	v_lshlrev_b32_e32 v21, 24, v10
	s_delay_alu instid0(VALU_DEP_1) | instskip(NEXT) | instid1(VALU_DEP_3)
	v_and_b32_e32 v21, 0x80000000, v21
	v_lshlrev_b32_e32 v20, 20, v20
	v_lshl_add_u32 v18, v18, 23, 0x3c000000
	s_delay_alu instid0(VALU_DEP_2) | instskip(NEXT) | instid1(VALU_DEP_1)
	v_and_b32_e32 v20, 0x700000, v20
	v_or3_b32 v18, v20, v21, v18
.LBB6_1626:                             ;   in Loop: Header=BB6_128 Depth=2
	s_or_b32 exec_lo, exec_lo, s28
.LBB6_1627:                             ;   in Loop: Header=BB6_128 Depth=2
	s_delay_alu instid0(SALU_CYCLE_1)
	s_or_b32 exec_lo, exec_lo, s27
.LBB6_1628:                             ;   in Loop: Header=BB6_128 Depth=2
	s_delay_alu instid0(SALU_CYCLE_1) | instskip(NEXT) | instid1(VALU_DEP_1)
	s_or_b32 exec_lo, exec_lo, s10
	v_mul_f32_e32 v18, v19, v18
                                        ; implicit-def: $vgpr23
	s_mov_b32 s10, exec_lo
	s_delay_alu instid0(VALU_DEP_1) | instskip(SKIP_1) | instid1(VALU_DEP_2)
	v_and_b32_e32 v96, 0x7f800000, v18
	v_lshrrev_b32_e32 v19, 24, v18
	v_cmpx_ne_u64_e32 0x7f800000, v[96:97]
	s_xor_b32 s27, exec_lo, s10
	s_cbranch_execz .LBB6_1642
; %bb.1629:                             ;   in Loop: Header=BB6_128 Depth=2
	v_and_b32_e32 v96, 0x7fffffff, v18
	v_and_b32_e32 v24, 0x80, v19
                                        ; implicit-def: $vgpr23
	s_mov_b32 s10, exec_lo
	s_delay_alu instid0(VALU_DEP_2)
	v_cmpx_gt_u64_e32 0x43e00001, v[96:97]
	s_xor_b32 s28, exec_lo, s10
	s_cbranch_execz .LBB6_1639
; %bb.1630:                             ;   in Loop: Header=BB6_128 Depth=2
	v_mov_b32_e32 v23, 0
	s_mov_b32 s29, exec_lo
	v_cmpx_ne_u32_e32 0, v18
	s_cbranch_execz .LBB6_1638
; %bb.1631:                             ;   in Loop: Header=BB6_128 Depth=2
	v_bfe_u32 v23, v18, 23, 8
	v_and_b32_e32 v19, 0x7fffff, v18
	s_delay_alu instid0(VALU_DEP_2) | instskip(SKIP_2) | instid1(VALU_DEP_4)
	v_cmp_gt_u32_e64 s10, 0x7a, v23
	v_sub_nc_u32_e32 v18, 0x79, v23
	v_cmp_eq_u32_e32 vcc_lo, 0, v23
	v_or_b32_e32 v20, 0x800000, v19
	s_delay_alu instid0(VALU_DEP_1) | instskip(NEXT) | instid1(VALU_DEP_1)
	v_dual_cndmask_b32 v18, 0, v18, s10 :: v_dual_cndmask_b32 v96, v20, v19, vcc_lo
	v_cndmask_b32_e64 v25, v18, 0x78, vcc_lo
	s_delay_alu instid0(VALU_DEP_1) | instskip(NEXT) | instid1(VALU_DEP_1)
	v_dual_add_nc_u32 v18, 20, v25 :: v_dual_add_nc_u32 v20, 19, v25
	v_lshlrev_b64_e64 v[18:19], v18, -1
	s_delay_alu instid0(VALU_DEP_2) | instskip(NEXT) | instid1(VALU_DEP_2)
	v_lshlrev_b64_e64 v[20:21], v20, 1
	v_bfi_b32 v19, v19, 0, 0
	s_delay_alu instid0(VALU_DEP_3) | instskip(NEXT) | instid1(VALU_DEP_1)
	v_bfi_b32 v18, v18, 0, v96
	v_cmp_eq_u64_e64 s10, v[18:19], v[20:21]
	v_lshrrev_b64 v[18:19], v25, v[96:97]
	s_delay_alu instid0(VALU_DEP_1)
	v_mov_b64_e32 v[20:21], v[18:19]
	s_and_saveexec_b32 s40, s10
; %bb.1632:                             ;   in Loop: Header=BB6_128 Depth=2
	v_bfe_u32 v96, v18, 20, 1
	s_delay_alu instid0(VALU_DEP_1) | instskip(NEXT) | instid1(VALU_DEP_1)
	v_add_nc_u64_e32 v[20:21], v[18:19], v[96:97]
	v_add_nc_u64_e32 v[20:21], -1, v[20:21]
; %bb.1633:                             ;   in Loop: Header=BB6_128 Depth=2
	s_or_b32 exec_lo, exec_lo, s40
	v_add_nc_u32_e32 v19, 0xffffff81, v23
	v_lshrrev_b32_e32 v21, 23, v18
	s_mov_b32 s10, exec_lo
	s_delay_alu instid0(VALU_DEP_2) | instskip(NEXT) | instid1(VALU_DEP_1)
	v_cndmask_b32_e64 v19, v19, 0xffffff82, vcc_lo
	v_add3_u32 v23, v25, v19, v21
	v_and_b32_e32 v19, 0xfffff, v20
                                        ; implicit-def: $vgpr20
	s_delay_alu instid0(VALU_DEP_1) | instskip(NEXT) | instid1(VALU_DEP_1)
	v_dual_add_nc_u32 v21, 6, v23 :: v_dual_add_nc_u32 v96, v19, v18
                                        ; implicit-def: $vgpr18_vgpr19
	v_cmpx_ne_u32_e32 0, v21
	s_xor_b32 s10, exec_lo, s10
; %bb.1634:                             ;   in Loop: Header=BB6_128 Depth=2
	s_delay_alu instid0(VALU_DEP_2) | instskip(SKIP_1) | instid1(VALU_DEP_1)
	v_cmp_lt_u64_e32 vcc_lo, 0xffffff, v[96:97]
	v_add_nc_u32_e32 v18, 7, v23
	v_cndmask_b32_e32 v20, v21, v18, vcc_lo
	v_cndmask_b32_e64 v18, 0, 1, vcc_lo
	s_delay_alu instid0(VALU_DEP_1)
	v_lshrrev_b64 v[18:19], v18, v[96:97]
; %bb.1635:                             ;   in Loop: Header=BB6_128 Depth=2
	s_and_not1_saveexec_b32 s10, s10
; %bb.1636:                             ;   in Loop: Header=BB6_128 Depth=2
	v_mov_b64_e32 v[18:19], v[96:97]
	v_bfe_u32 v20, v96, 23, 1
; %bb.1637:                             ;   in Loop: Header=BB6_128 Depth=2
	s_or_b32 exec_lo, exec_lo, s10
	s_delay_alu instid0(VALU_DEP_2) | instskip(NEXT) | instid1(VALU_DEP_2)
	v_lshrrev_b64 v[18:19], 20, v[18:19]
	v_cmp_gt_i32_e32 vcc_lo, 16, v20
	v_min_i32_e32 v21, 15, v20
	v_cmp_eq_u32_e64 s10, 0, v20
	s_delay_alu instid0(VALU_DEP_2) | instskip(SKIP_1) | instid1(VALU_DEP_2)
	v_dual_cndmask_b32 v19, 0, v19, vcc_lo :: v_dual_lshlrev_b32 v21, 3, v21
	v_cndmask_b32_e32 v18, 7, v18, vcc_lo
	v_and_b32_e32 v21, 0xf8, v21
	s_delay_alu instid0(VALU_DEP_2) | instskip(NEXT) | instid1(VALU_DEP_2)
	v_cmp_eq_u64_e32 vcc_lo, 0, v[18:19]
	v_and_or_b32 v18, v18, 7, v21
	s_and_b32 s10, s10, vcc_lo
	s_delay_alu instid0(VALU_DEP_1) | instid1(SALU_CYCLE_1)
	v_cndmask_b32_e64 v18, v18, 0, s10
	s_delay_alu instid0(VALU_DEP_1)
	v_or_b32_e32 v23, v18, v24
.LBB6_1638:                             ;   in Loop: Header=BB6_128 Depth=2
	s_or_b32 exec_lo, exec_lo, s29
                                        ; implicit-def: $vgpr24
.LBB6_1639:                             ;   in Loop: Header=BB6_128 Depth=2
	s_and_not1_saveexec_b32 s10, s28
; %bb.1640:                             ;   in Loop: Header=BB6_128 Depth=2
	v_or_b32_e32 v23, 0x7e, v24
; %bb.1641:                             ;   in Loop: Header=BB6_128 Depth=2
	s_or_b32 exec_lo, exec_lo, s10
                                        ; implicit-def: $vgpr19
.LBB6_1642:                             ;   in Loop: Header=BB6_128 Depth=2
	s_and_not1_saveexec_b32 s10, s27
; %bb.1643:                             ;   in Loop: Header=BB6_128 Depth=2
	v_or_b32_e32 v23, 0x7f, v19
; %bb.1644:                             ;   in Loop: Header=BB6_128 Depth=2
	s_or_b32 exec_lo, exec_lo, s10
	v_lshrrev_b16 v20, 8, v14
	v_dual_mov_b32 v18, 0 :: v_dual_mov_b32 v19, 0
	s_mov_b32 s10, exec_lo
	s_delay_alu instid0(VALU_DEP_2)
	v_cmpx_ne_u16_e32 0, v20
	s_cbranch_execz .LBB6_1652
; %bb.1645:                             ;   in Loop: Header=BB6_128 Depth=2
	v_bfrev_b32_e32 v19, 1
	s_mov_b32 s27, exec_lo
	v_cmpx_ne_u16_e32 0x80, v20
	s_cbranch_execz .LBB6_1651
; %bb.1646:                             ;   in Loop: Header=BB6_128 Depth=2
	v_and_b32_e32 v21, 0xffff, v20
	v_mov_b32_e32 v19, 0x7f800001
	s_mov_b32 s28, exec_lo
	s_delay_alu instid0(VALU_DEP_2) | instskip(NEXT) | instid1(VALU_DEP_1)
	v_and_b32_e32 v20, 0x7f, v21
	v_cmpx_ne_u32_e32 0x7f, v20
	s_cbranch_execz .LBB6_1650
; %bb.1647:                             ;   in Loop: Header=BB6_128 Depth=2
	v_dual_lshrrev_b32 v19, 3, v20 :: v_dual_bitop2_b32 v96, 7, v21 bitop3:0x40
	s_mov_b32 s29, exec_lo
	v_cmpx_gt_u32_e32 8, v20
; %bb.1648:                             ;   in Loop: Header=BB6_128 Depth=2
	s_delay_alu instid0(VALU_DEP_2) | instskip(NEXT) | instid1(VALU_DEP_1)
	v_clz_i32_u32_e32 v19, v96
	v_min_u32_e32 v19, 32, v19
	s_delay_alu instid0(VALU_DEP_1) | instskip(NEXT) | instid1(VALU_DEP_1)
	v_subrev_nc_u32_e32 v20, 28, v19
	v_lshlrev_b64_e32 v[20:21], v20, v[96:97]
	s_delay_alu instid0(VALU_DEP_1)
	v_dual_sub_nc_u32 v19, 29, v19 :: v_dual_bitop2_b32 v96, 7, v20 bitop3:0x40
; %bb.1649:                             ;   in Loop: Header=BB6_128 Depth=2
	s_or_b32 exec_lo, exec_lo, s29
	s_delay_alu instid0(VALU_DEP_1) | instskip(NEXT) | instid1(VALU_DEP_2)
	v_dual_lshlrev_b32 v20, 16, v14 :: v_dual_lshlrev_b32 v21, 20, v96
	v_lshl_add_u32 v19, v19, 23, 0x3c000000
	s_delay_alu instid0(VALU_DEP_2) | instskip(NEXT) | instid1(VALU_DEP_1)
	v_and_b32_e32 v20, 0x80000000, v20
	v_or3_b32 v19, v21, v20, v19
.LBB6_1650:                             ;   in Loop: Header=BB6_128 Depth=2
	s_or_b32 exec_lo, exec_lo, s28
.LBB6_1651:                             ;   in Loop: Header=BB6_128 Depth=2
	s_delay_alu instid0(SALU_CYCLE_1)
	s_or_b32 exec_lo, exec_lo, s27
.LBB6_1652:                             ;   in Loop: Header=BB6_128 Depth=2
	s_delay_alu instid0(SALU_CYCLE_1) | instskip(SKIP_2) | instid1(VALU_DEP_1)
	s_or_b32 exec_lo, exec_lo, s10
	v_lshrrev_b16 v20, 8, v10
	s_mov_b32 s10, exec_lo
	v_cmpx_ne_u16_e32 0, v20
	s_cbranch_execz .LBB6_1660
; %bb.1653:                             ;   in Loop: Header=BB6_128 Depth=2
	v_bfrev_b32_e32 v18, 1
	s_mov_b32 s27, exec_lo
	v_cmpx_ne_u16_e32 0x80, v20
	s_cbranch_execz .LBB6_1659
; %bb.1654:                             ;   in Loop: Header=BB6_128 Depth=2
	v_and_b32_e32 v21, 0xffff, v20
	v_mov_b32_e32 v18, 0x7f800001
	s_mov_b32 s28, exec_lo
	s_delay_alu instid0(VALU_DEP_2) | instskip(NEXT) | instid1(VALU_DEP_1)
	v_and_b32_e32 v20, 0x7f, v21
	v_cmpx_ne_u32_e32 0x7f, v20
	s_cbranch_execz .LBB6_1658
; %bb.1655:                             ;   in Loop: Header=BB6_128 Depth=2
	v_dual_lshrrev_b32 v18, 3, v20 :: v_dual_bitop2_b32 v96, 7, v21 bitop3:0x40
	s_mov_b32 s29, exec_lo
	v_cmpx_gt_u32_e32 8, v20
; %bb.1656:                             ;   in Loop: Header=BB6_128 Depth=2
	s_delay_alu instid0(VALU_DEP_2) | instskip(NEXT) | instid1(VALU_DEP_1)
	v_clz_i32_u32_e32 v18, v96
	v_min_u32_e32 v18, 32, v18
	s_delay_alu instid0(VALU_DEP_1) | instskip(NEXT) | instid1(VALU_DEP_1)
	v_subrev_nc_u32_e32 v20, 28, v18
	v_lshlrev_b64_e32 v[20:21], v20, v[96:97]
	s_delay_alu instid0(VALU_DEP_1)
	v_dual_sub_nc_u32 v18, 29, v18 :: v_dual_bitop2_b32 v96, 7, v20 bitop3:0x40
; %bb.1657:                             ;   in Loop: Header=BB6_128 Depth=2
	s_or_b32 exec_lo, exec_lo, s29
	s_delay_alu instid0(VALU_DEP_1) | instskip(NEXT) | instid1(VALU_DEP_2)
	v_dual_lshlrev_b32 v20, 16, v10 :: v_dual_lshlrev_b32 v21, 20, v96
	v_lshl_add_u32 v18, v18, 23, 0x3c000000
	s_delay_alu instid0(VALU_DEP_2) | instskip(NEXT) | instid1(VALU_DEP_1)
	v_and_b32_e32 v20, 0x80000000, v20
	v_or3_b32 v18, v21, v20, v18
.LBB6_1658:                             ;   in Loop: Header=BB6_128 Depth=2
	s_or_b32 exec_lo, exec_lo, s28
.LBB6_1659:                             ;   in Loop: Header=BB6_128 Depth=2
	s_delay_alu instid0(SALU_CYCLE_1)
	s_or_b32 exec_lo, exec_lo, s27
.LBB6_1660:                             ;   in Loop: Header=BB6_128 Depth=2
	s_delay_alu instid0(SALU_CYCLE_1) | instskip(NEXT) | instid1(VALU_DEP_1)
	s_or_b32 exec_lo, exec_lo, s10
	v_mul_f32_e32 v18, v19, v18
                                        ; implicit-def: $vgpr24
	s_mov_b32 s10, exec_lo
	s_delay_alu instid0(VALU_DEP_1) | instskip(SKIP_1) | instid1(VALU_DEP_2)
	v_and_b32_e32 v96, 0x7f800000, v18
	v_lshrrev_b32_e32 v19, 24, v18
	v_cmpx_ne_u64_e32 0x7f800000, v[96:97]
	s_xor_b32 s27, exec_lo, s10
	s_cbranch_execz .LBB6_1674
; %bb.1661:                             ;   in Loop: Header=BB6_128 Depth=2
	v_and_b32_e32 v96, 0x7fffffff, v18
	v_and_b32_e32 v25, 0x80, v19
                                        ; implicit-def: $vgpr24
	s_mov_b32 s10, exec_lo
	s_delay_alu instid0(VALU_DEP_2)
	v_cmpx_gt_u64_e32 0x43e00001, v[96:97]
	s_xor_b32 s28, exec_lo, s10
	s_cbranch_execz .LBB6_1671
; %bb.1662:                             ;   in Loop: Header=BB6_128 Depth=2
	v_mov_b32_e32 v24, 0
	s_mov_b32 s29, exec_lo
	v_cmpx_ne_u32_e32 0, v18
	s_cbranch_execz .LBB6_1670
; %bb.1663:                             ;   in Loop: Header=BB6_128 Depth=2
	v_bfe_u32 v24, v18, 23, 8
	v_and_b32_e32 v19, 0x7fffff, v18
	s_delay_alu instid0(VALU_DEP_2) | instskip(SKIP_2) | instid1(VALU_DEP_4)
	v_cmp_gt_u32_e64 s10, 0x7a, v24
	v_sub_nc_u32_e32 v18, 0x79, v24
	v_cmp_eq_u32_e32 vcc_lo, 0, v24
	v_or_b32_e32 v20, 0x800000, v19
	s_delay_alu instid0(VALU_DEP_1) | instskip(NEXT) | instid1(VALU_DEP_1)
	v_dual_cndmask_b32 v18, 0, v18, s10 :: v_dual_cndmask_b32 v96, v20, v19, vcc_lo
	v_cndmask_b32_e64 v31, v18, 0x78, vcc_lo
	s_delay_alu instid0(VALU_DEP_1) | instskip(NEXT) | instid1(VALU_DEP_1)
	v_dual_add_nc_u32 v18, 20, v31 :: v_dual_add_nc_u32 v20, 19, v31
	v_lshlrev_b64_e64 v[18:19], v18, -1
	s_delay_alu instid0(VALU_DEP_2) | instskip(NEXT) | instid1(VALU_DEP_2)
	v_lshlrev_b64_e64 v[20:21], v20, 1
	v_bfi_b32 v19, v19, 0, 0
	s_delay_alu instid0(VALU_DEP_3) | instskip(NEXT) | instid1(VALU_DEP_1)
	v_bfi_b32 v18, v18, 0, v96
	v_cmp_eq_u64_e64 s10, v[18:19], v[20:21]
	v_lshrrev_b64 v[18:19], v31, v[96:97]
	s_delay_alu instid0(VALU_DEP_1)
	v_mov_b64_e32 v[20:21], v[18:19]
	s_and_saveexec_b32 s40, s10
; %bb.1664:                             ;   in Loop: Header=BB6_128 Depth=2
	v_bfe_u32 v96, v18, 20, 1
	s_delay_alu instid0(VALU_DEP_1) | instskip(NEXT) | instid1(VALU_DEP_1)
	v_add_nc_u64_e32 v[20:21], v[18:19], v[96:97]
	v_add_nc_u64_e32 v[20:21], -1, v[20:21]
; %bb.1665:                             ;   in Loop: Header=BB6_128 Depth=2
	s_or_b32 exec_lo, exec_lo, s40
	v_add_nc_u32_e32 v19, 0xffffff81, v24
	v_lshrrev_b32_e32 v21, 23, v18
	s_mov_b32 s10, exec_lo
	s_delay_alu instid0(VALU_DEP_2) | instskip(NEXT) | instid1(VALU_DEP_1)
	v_cndmask_b32_e64 v19, v19, 0xffffff82, vcc_lo
	v_add3_u32 v24, v31, v19, v21
	v_and_b32_e32 v19, 0xfffff, v20
                                        ; implicit-def: $vgpr20
	s_delay_alu instid0(VALU_DEP_1) | instskip(NEXT) | instid1(VALU_DEP_1)
	v_dual_add_nc_u32 v21, 6, v24 :: v_dual_add_nc_u32 v96, v19, v18
                                        ; implicit-def: $vgpr18_vgpr19
	v_cmpx_ne_u32_e32 0, v21
	s_xor_b32 s10, exec_lo, s10
; %bb.1666:                             ;   in Loop: Header=BB6_128 Depth=2
	s_delay_alu instid0(VALU_DEP_2) | instskip(SKIP_1) | instid1(VALU_DEP_1)
	v_cmp_lt_u64_e32 vcc_lo, 0xffffff, v[96:97]
	v_add_nc_u32_e32 v18, 7, v24
	v_cndmask_b32_e32 v20, v21, v18, vcc_lo
	v_cndmask_b32_e64 v18, 0, 1, vcc_lo
	s_delay_alu instid0(VALU_DEP_1)
	v_lshrrev_b64 v[18:19], v18, v[96:97]
; %bb.1667:                             ;   in Loop: Header=BB6_128 Depth=2
	s_and_not1_saveexec_b32 s10, s10
; %bb.1668:                             ;   in Loop: Header=BB6_128 Depth=2
	v_mov_b64_e32 v[18:19], v[96:97]
	v_bfe_u32 v20, v96, 23, 1
; %bb.1669:                             ;   in Loop: Header=BB6_128 Depth=2
	s_or_b32 exec_lo, exec_lo, s10
	s_delay_alu instid0(VALU_DEP_2) | instskip(NEXT) | instid1(VALU_DEP_2)
	v_lshrrev_b64 v[18:19], 20, v[18:19]
	v_cmp_gt_i32_e32 vcc_lo, 16, v20
	v_min_i32_e32 v21, 15, v20
	v_cmp_eq_u32_e64 s10, 0, v20
	s_delay_alu instid0(VALU_DEP_2) | instskip(SKIP_1) | instid1(VALU_DEP_2)
	v_dual_cndmask_b32 v19, 0, v19, vcc_lo :: v_dual_lshlrev_b32 v21, 3, v21
	v_cndmask_b32_e32 v18, 7, v18, vcc_lo
	v_and_b32_e32 v21, 0xf8, v21
	s_delay_alu instid0(VALU_DEP_2) | instskip(NEXT) | instid1(VALU_DEP_2)
	v_cmp_eq_u64_e32 vcc_lo, 0, v[18:19]
	v_and_or_b32 v18, v18, 7, v21
	s_and_b32 s10, s10, vcc_lo
	s_delay_alu instid0(VALU_DEP_1) | instid1(SALU_CYCLE_1)
	v_cndmask_b32_e64 v18, v18, 0, s10
	s_delay_alu instid0(VALU_DEP_1)
	v_or_b32_e32 v24, v18, v25
.LBB6_1670:                             ;   in Loop: Header=BB6_128 Depth=2
	s_or_b32 exec_lo, exec_lo, s29
                                        ; implicit-def: $vgpr25
.LBB6_1671:                             ;   in Loop: Header=BB6_128 Depth=2
	s_and_not1_saveexec_b32 s10, s28
; %bb.1672:                             ;   in Loop: Header=BB6_128 Depth=2
	v_or_b32_e32 v24, 0x7e, v25
; %bb.1673:                             ;   in Loop: Header=BB6_128 Depth=2
	s_or_b32 exec_lo, exec_lo, s10
                                        ; implicit-def: $vgpr19
.LBB6_1674:                             ;   in Loop: Header=BB6_128 Depth=2
	s_and_not1_saveexec_b32 s10, s27
; %bb.1675:                             ;   in Loop: Header=BB6_128 Depth=2
	v_or_b32_e32 v24, 0x7f, v19
; %bb.1676:                             ;   in Loop: Header=BB6_128 Depth=2
	s_or_b32 exec_lo, exec_lo, s10
	v_dual_lshrrev_b32 v20, 16, v14 :: v_dual_mov_b32 v18, 0
	v_mov_b32_e32 v19, 0
	s_mov_b32 s10, exec_lo
	s_delay_alu instid0(VALU_DEP_2) | instskip(NEXT) | instid1(VALU_DEP_1)
	v_and_b32_e32 v21, 0xff, v20
	v_cmpx_ne_u16_e32 0, v21
	s_cbranch_execz .LBB6_1684
; %bb.1677:                             ;   in Loop: Header=BB6_128 Depth=2
	v_bfrev_b32_e32 v19, 1
	s_mov_b32 s27, exec_lo
	v_cmpx_ne_u16_e32 0x80, v21
	s_cbranch_execz .LBB6_1683
; %bb.1678:                             ;   in Loop: Header=BB6_128 Depth=2
	v_bfe_u32 v21, v14, 16, 7
	v_mov_b32_e32 v19, 0x7f800001
	s_mov_b32 s28, exec_lo
	s_delay_alu instid0(VALU_DEP_2)
	v_cmpx_ne_u32_e32 0x7f, v21
	s_cbranch_execz .LBB6_1682
; %bb.1679:                             ;   in Loop: Header=BB6_128 Depth=2
	v_dual_lshrrev_b32 v19, 3, v21 :: v_dual_bitop2_b32 v96, 7, v20 bitop3:0x40
	s_mov_b32 s29, exec_lo
	v_cmpx_gt_u32_e32 8, v21
; %bb.1680:                             ;   in Loop: Header=BB6_128 Depth=2
	s_delay_alu instid0(VALU_DEP_2) | instskip(NEXT) | instid1(VALU_DEP_1)
	v_clz_i32_u32_e32 v19, v96
	v_min_u32_e32 v19, 32, v19
	s_delay_alu instid0(VALU_DEP_1) | instskip(NEXT) | instid1(VALU_DEP_1)
	v_subrev_nc_u32_e32 v21, 28, v19
	v_lshlrev_b64_e32 v[54:55], v21, v[96:97]
	s_delay_alu instid0(VALU_DEP_1)
	v_dual_sub_nc_u32 v19, 29, v19 :: v_dual_bitop2_b32 v96, 7, v54 bitop3:0x40
; %bb.1681:                             ;   in Loop: Header=BB6_128 Depth=2
	s_or_b32 exec_lo, exec_lo, s29
	v_lshlrev_b32_e32 v20, 24, v20
	s_delay_alu instid0(VALU_DEP_2) | instskip(NEXT) | instid1(VALU_DEP_3)
	v_lshlrev_b32_e32 v21, 20, v96
	v_lshl_add_u32 v19, v19, 23, 0x3c000000
	s_delay_alu instid0(VALU_DEP_3) | instskip(NEXT) | instid1(VALU_DEP_1)
	v_and_b32_e32 v20, 0x80000000, v20
	v_or3_b32 v19, v21, v20, v19
.LBB6_1682:                             ;   in Loop: Header=BB6_128 Depth=2
	s_or_b32 exec_lo, exec_lo, s28
.LBB6_1683:                             ;   in Loop: Header=BB6_128 Depth=2
	s_delay_alu instid0(SALU_CYCLE_1)
	s_or_b32 exec_lo, exec_lo, s27
.LBB6_1684:                             ;   in Loop: Header=BB6_128 Depth=2
	s_delay_alu instid0(SALU_CYCLE_1) | instskip(SKIP_2) | instid1(VALU_DEP_1)
	s_or_b32 exec_lo, exec_lo, s10
	v_lshrrev_b32_e32 v20, 16, v10
	s_mov_b32 s10, exec_lo
	v_and_b32_e32 v21, 0xff, v20
	s_delay_alu instid0(VALU_DEP_1)
	v_cmpx_ne_u16_e32 0, v21
	s_cbranch_execz .LBB6_1692
; %bb.1685:                             ;   in Loop: Header=BB6_128 Depth=2
	v_bfrev_b32_e32 v18, 1
	s_mov_b32 s27, exec_lo
	v_cmpx_ne_u16_e32 0x80, v21
	s_cbranch_execz .LBB6_1691
; %bb.1686:                             ;   in Loop: Header=BB6_128 Depth=2
	v_bfe_u32 v21, v10, 16, 7
	v_mov_b32_e32 v18, 0x7f800001
	s_mov_b32 s28, exec_lo
	s_delay_alu instid0(VALU_DEP_2)
	v_cmpx_ne_u32_e32 0x7f, v21
	s_cbranch_execz .LBB6_1690
; %bb.1687:                             ;   in Loop: Header=BB6_128 Depth=2
	v_dual_lshrrev_b32 v18, 3, v21 :: v_dual_bitop2_b32 v96, 7, v20 bitop3:0x40
	s_mov_b32 s29, exec_lo
	v_cmpx_gt_u32_e32 8, v21
; %bb.1688:                             ;   in Loop: Header=BB6_128 Depth=2
	s_delay_alu instid0(VALU_DEP_2) | instskip(NEXT) | instid1(VALU_DEP_1)
	v_clz_i32_u32_e32 v18, v96
	v_min_u32_e32 v18, 32, v18
	s_delay_alu instid0(VALU_DEP_1) | instskip(NEXT) | instid1(VALU_DEP_1)
	v_subrev_nc_u32_e32 v20, 28, v18
	v_lshlrev_b64_e32 v[20:21], v20, v[96:97]
	s_delay_alu instid0(VALU_DEP_1)
	v_dual_sub_nc_u32 v18, 29, v18 :: v_dual_bitop2_b32 v96, 7, v20 bitop3:0x40
; %bb.1689:                             ;   in Loop: Header=BB6_128 Depth=2
	s_or_b32 exec_lo, exec_lo, s29
	s_delay_alu instid0(VALU_DEP_1) | instskip(NEXT) | instid1(VALU_DEP_2)
	v_dual_lshlrev_b32 v20, 8, v10 :: v_dual_lshlrev_b32 v21, 20, v96
	v_lshl_add_u32 v18, v18, 23, 0x3c000000
	s_delay_alu instid0(VALU_DEP_2) | instskip(NEXT) | instid1(VALU_DEP_1)
	v_and_b32_e32 v20, 0x80000000, v20
	v_or3_b32 v18, v21, v20, v18
.LBB6_1690:                             ;   in Loop: Header=BB6_128 Depth=2
	s_or_b32 exec_lo, exec_lo, s28
.LBB6_1691:                             ;   in Loop: Header=BB6_128 Depth=2
	s_delay_alu instid0(SALU_CYCLE_1)
	s_or_b32 exec_lo, exec_lo, s27
.LBB6_1692:                             ;   in Loop: Header=BB6_128 Depth=2
	s_delay_alu instid0(SALU_CYCLE_1) | instskip(NEXT) | instid1(VALU_DEP_1)
	s_or_b32 exec_lo, exec_lo, s10
	v_mul_f32_e32 v18, v19, v18
                                        ; implicit-def: $vgpr25
	s_mov_b32 s10, exec_lo
	s_delay_alu instid0(VALU_DEP_1) | instskip(SKIP_1) | instid1(VALU_DEP_2)
	v_and_b32_e32 v96, 0x7f800000, v18
	v_lshrrev_b32_e32 v19, 24, v18
	v_cmpx_ne_u64_e32 0x7f800000, v[96:97]
	s_xor_b32 s27, exec_lo, s10
	s_cbranch_execz .LBB6_1706
; %bb.1693:                             ;   in Loop: Header=BB6_128 Depth=2
	v_and_b32_e32 v96, 0x7fffffff, v18
	v_and_b32_e32 v112, 0x80, v19
                                        ; implicit-def: $vgpr25
	s_mov_b32 s10, exec_lo
	s_delay_alu instid0(VALU_DEP_2)
	v_cmpx_gt_u64_e32 0x43e00001, v[96:97]
	s_xor_b32 s28, exec_lo, s10
	s_cbranch_execz .LBB6_1703
; %bb.1694:                             ;   in Loop: Header=BB6_128 Depth=2
	v_mov_b32_e32 v25, 0
	s_mov_b32 s29, exec_lo
	v_cmpx_ne_u32_e32 0, v18
	s_cbranch_execz .LBB6_1702
; %bb.1695:                             ;   in Loop: Header=BB6_128 Depth=2
	v_bfe_u32 v25, v18, 23, 8
	v_and_b32_e32 v19, 0x7fffff, v18
	s_delay_alu instid0(VALU_DEP_2) | instskip(SKIP_2) | instid1(VALU_DEP_4)
	v_cmp_gt_u32_e64 s10, 0x7a, v25
	v_sub_nc_u32_e32 v18, 0x79, v25
	v_cmp_eq_u32_e32 vcc_lo, 0, v25
	v_or_b32_e32 v20, 0x800000, v19
	s_delay_alu instid0(VALU_DEP_1) | instskip(NEXT) | instid1(VALU_DEP_1)
	v_dual_cndmask_b32 v18, 0, v18, s10 :: v_dual_cndmask_b32 v96, v20, v19, vcc_lo
	v_cndmask_b32_e64 v31, v18, 0x78, vcc_lo
	s_delay_alu instid0(VALU_DEP_1) | instskip(NEXT) | instid1(VALU_DEP_1)
	v_dual_add_nc_u32 v18, 20, v31 :: v_dual_add_nc_u32 v20, 19, v31
	v_lshlrev_b64_e64 v[18:19], v18, -1
	s_delay_alu instid0(VALU_DEP_2) | instskip(NEXT) | instid1(VALU_DEP_2)
	v_lshlrev_b64_e64 v[20:21], v20, 1
	v_bfi_b32 v19, v19, 0, 0
	s_delay_alu instid0(VALU_DEP_3) | instskip(NEXT) | instid1(VALU_DEP_1)
	v_bfi_b32 v18, v18, 0, v96
	v_cmp_eq_u64_e64 s10, v[18:19], v[20:21]
	v_lshrrev_b64 v[18:19], v31, v[96:97]
	s_delay_alu instid0(VALU_DEP_1)
	v_mov_b64_e32 v[20:21], v[18:19]
	s_and_saveexec_b32 s40, s10
; %bb.1696:                             ;   in Loop: Header=BB6_128 Depth=2
	v_bfe_u32 v96, v18, 20, 1
	s_delay_alu instid0(VALU_DEP_1) | instskip(NEXT) | instid1(VALU_DEP_1)
	v_add_nc_u64_e32 v[20:21], v[18:19], v[96:97]
	v_add_nc_u64_e32 v[20:21], -1, v[20:21]
; %bb.1697:                             ;   in Loop: Header=BB6_128 Depth=2
	s_or_b32 exec_lo, exec_lo, s40
	v_add_nc_u32_e32 v19, 0xffffff81, v25
	v_lshrrev_b32_e32 v21, 23, v18
	s_mov_b32 s10, exec_lo
	s_delay_alu instid0(VALU_DEP_2) | instskip(NEXT) | instid1(VALU_DEP_1)
	v_cndmask_b32_e64 v19, v19, 0xffffff82, vcc_lo
	v_add3_u32 v25, v31, v19, v21
	v_and_b32_e32 v19, 0xfffff, v20
                                        ; implicit-def: $vgpr20
	s_delay_alu instid0(VALU_DEP_1) | instskip(NEXT) | instid1(VALU_DEP_1)
	v_dual_add_nc_u32 v21, 6, v25 :: v_dual_add_nc_u32 v96, v19, v18
                                        ; implicit-def: $vgpr18_vgpr19
	v_cmpx_ne_u32_e32 0, v21
	s_xor_b32 s10, exec_lo, s10
; %bb.1698:                             ;   in Loop: Header=BB6_128 Depth=2
	s_delay_alu instid0(VALU_DEP_2) | instskip(SKIP_1) | instid1(VALU_DEP_1)
	v_cmp_lt_u64_e32 vcc_lo, 0xffffff, v[96:97]
	v_add_nc_u32_e32 v18, 7, v25
	v_cndmask_b32_e32 v20, v21, v18, vcc_lo
	v_cndmask_b32_e64 v18, 0, 1, vcc_lo
	s_delay_alu instid0(VALU_DEP_1)
	v_lshrrev_b64 v[18:19], v18, v[96:97]
; %bb.1699:                             ;   in Loop: Header=BB6_128 Depth=2
	s_and_not1_saveexec_b32 s10, s10
; %bb.1700:                             ;   in Loop: Header=BB6_128 Depth=2
	v_mov_b64_e32 v[18:19], v[96:97]
	v_bfe_u32 v20, v96, 23, 1
; %bb.1701:                             ;   in Loop: Header=BB6_128 Depth=2
	s_or_b32 exec_lo, exec_lo, s10
	s_delay_alu instid0(VALU_DEP_2) | instskip(NEXT) | instid1(VALU_DEP_2)
	v_lshrrev_b64 v[18:19], 20, v[18:19]
	v_cmp_gt_i32_e32 vcc_lo, 16, v20
	v_min_i32_e32 v21, 15, v20
	v_cmp_eq_u32_e64 s10, 0, v20
	s_delay_alu instid0(VALU_DEP_2) | instskip(SKIP_1) | instid1(VALU_DEP_2)
	v_dual_cndmask_b32 v19, 0, v19, vcc_lo :: v_dual_lshlrev_b32 v21, 3, v21
	v_cndmask_b32_e32 v18, 7, v18, vcc_lo
	v_and_b32_e32 v21, 0xf8, v21
	s_delay_alu instid0(VALU_DEP_2) | instskip(NEXT) | instid1(VALU_DEP_2)
	v_cmp_eq_u64_e32 vcc_lo, 0, v[18:19]
	v_and_or_b32 v18, v18, 7, v21
	s_and_b32 s10, s10, vcc_lo
	s_delay_alu instid0(VALU_DEP_1) | instid1(SALU_CYCLE_1)
	v_cndmask_b32_e64 v18, v18, 0, s10
	s_delay_alu instid0(VALU_DEP_1)
	v_or_b32_e32 v25, v18, v112
.LBB6_1702:                             ;   in Loop: Header=BB6_128 Depth=2
	s_or_b32 exec_lo, exec_lo, s29
                                        ; implicit-def: $vgpr112
.LBB6_1703:                             ;   in Loop: Header=BB6_128 Depth=2
	s_and_not1_saveexec_b32 s10, s28
; %bb.1704:                             ;   in Loop: Header=BB6_128 Depth=2
	v_or_b32_e32 v25, 0x7e, v112
; %bb.1705:                             ;   in Loop: Header=BB6_128 Depth=2
	s_or_b32 exec_lo, exec_lo, s10
                                        ; implicit-def: $vgpr19
.LBB6_1706:                             ;   in Loop: Header=BB6_128 Depth=2
	s_and_not1_saveexec_b32 s10, s27
; %bb.1707:                             ;   in Loop: Header=BB6_128 Depth=2
	v_or_b32_e32 v25, 0x7f, v19
; %bb.1708:                             ;   in Loop: Header=BB6_128 Depth=2
	s_or_b32 exec_lo, exec_lo, s10
	v_dual_mov_b32 v18, 0 :: v_dual_mov_b32 v19, 0
	s_mov_b32 s10, exec_lo
	v_cmpx_lt_u32_e32 0xffffff, v14
	s_cbranch_execz .LBB6_1716
; %bb.1709:                             ;   in Loop: Header=BB6_128 Depth=2
	v_lshrrev_b32_e32 v20, 24, v14
	v_bfrev_b32_e32 v19, 1
	s_mov_b32 s27, exec_lo
	s_delay_alu instid0(VALU_DEP_2)
	v_cmpx_ne_u32_e32 0x80, v20
	s_cbranch_execz .LBB6_1715
; %bb.1710:                             ;   in Loop: Header=BB6_128 Depth=2
	v_bfe_u32 v21, v14, 24, 7
	v_mov_b32_e32 v19, 0x7f800001
	s_mov_b32 s28, exec_lo
	s_delay_alu instid0(VALU_DEP_2)
	v_cmpx_ne_u32_e32 0x7f, v21
	s_cbranch_execz .LBB6_1714
; %bb.1711:                             ;   in Loop: Header=BB6_128 Depth=2
	v_dual_lshrrev_b32 v19, 3, v21 :: v_dual_bitop2_b32 v96, 7, v20 bitop3:0x40
	s_mov_b32 s29, exec_lo
	v_cmpx_gt_u32_e32 8, v21
; %bb.1712:                             ;   in Loop: Header=BB6_128 Depth=2
	s_delay_alu instid0(VALU_DEP_2) | instskip(NEXT) | instid1(VALU_DEP_1)
	v_clz_i32_u32_e32 v19, v96
	v_min_u32_e32 v19, 32, v19
	s_delay_alu instid0(VALU_DEP_1) | instskip(NEXT) | instid1(VALU_DEP_1)
	v_subrev_nc_u32_e32 v21, 28, v19
	v_lshlrev_b64_e32 v[54:55], v21, v[96:97]
	s_delay_alu instid0(VALU_DEP_1)
	v_dual_sub_nc_u32 v19, 29, v19 :: v_dual_bitop2_b32 v96, 7, v54 bitop3:0x40
; %bb.1713:                             ;   in Loop: Header=BB6_128 Depth=2
	s_or_b32 exec_lo, exec_lo, s29
	v_lshlrev_b32_e32 v20, 24, v20
	s_delay_alu instid0(VALU_DEP_2) | instskip(NEXT) | instid1(VALU_DEP_3)
	v_lshlrev_b32_e32 v21, 20, v96
	v_lshl_add_u32 v19, v19, 23, 0x3c000000
	s_delay_alu instid0(VALU_DEP_3) | instskip(NEXT) | instid1(VALU_DEP_1)
	v_and_b32_e32 v20, 0x80000000, v20
	v_or3_b32 v19, v21, v20, v19
.LBB6_1714:                             ;   in Loop: Header=BB6_128 Depth=2
	s_or_b32 exec_lo, exec_lo, s28
.LBB6_1715:                             ;   in Loop: Header=BB6_128 Depth=2
	s_delay_alu instid0(SALU_CYCLE_1)
	s_or_b32 exec_lo, exec_lo, s27
.LBB6_1716:                             ;   in Loop: Header=BB6_128 Depth=2
	s_delay_alu instid0(SALU_CYCLE_1) | instskip(NEXT) | instid1(SALU_CYCLE_1)
	s_or_b32 exec_lo, exec_lo, s10
	s_mov_b32 s10, exec_lo
	v_cmpx_lt_u32_e32 0xffffff, v10
	s_cbranch_execz .LBB6_1724
; %bb.1717:                             ;   in Loop: Header=BB6_128 Depth=2
	v_lshrrev_b32_e32 v20, 24, v10
	v_bfrev_b32_e32 v18, 1
	s_mov_b32 s27, exec_lo
	s_delay_alu instid0(VALU_DEP_2)
	v_cmpx_ne_u32_e32 0x80, v20
	s_cbranch_execz .LBB6_1723
; %bb.1718:                             ;   in Loop: Header=BB6_128 Depth=2
	v_bfe_u32 v21, v10, 24, 7
	v_mov_b32_e32 v18, 0x7f800001
	s_mov_b32 s28, exec_lo
	s_delay_alu instid0(VALU_DEP_2)
	v_cmpx_ne_u32_e32 0x7f, v21
	s_cbranch_execz .LBB6_1722
; %bb.1719:                             ;   in Loop: Header=BB6_128 Depth=2
	v_dual_lshrrev_b32 v18, 3, v21 :: v_dual_bitop2_b32 v96, 7, v20 bitop3:0x40
	s_mov_b32 s29, exec_lo
	v_cmpx_gt_u32_e32 8, v21
; %bb.1720:                             ;   in Loop: Header=BB6_128 Depth=2
	s_delay_alu instid0(VALU_DEP_2) | instskip(NEXT) | instid1(VALU_DEP_1)
	v_clz_i32_u32_e32 v18, v96
	v_min_u32_e32 v18, 32, v18
	s_delay_alu instid0(VALU_DEP_1) | instskip(SKIP_1) | instid1(VALU_DEP_2)
	v_subrev_nc_u32_e32 v21, 28, v18
	v_sub_nc_u32_e32 v18, 29, v18
	v_lshlrev_b64_e32 v[54:55], v21, v[96:97]
	s_delay_alu instid0(VALU_DEP_1)
	v_and_b32_e32 v96, 7, v54
; %bb.1721:                             ;   in Loop: Header=BB6_128 Depth=2
	s_or_b32 exec_lo, exec_lo, s29
	v_lshlrev_b32_e32 v20, 24, v20
	s_delay_alu instid0(VALU_DEP_2) | instskip(SKIP_1) | instid1(VALU_DEP_3)
	v_lshlrev_b32_e32 v21, 20, v96
	v_lshl_add_u32 v18, v18, 23, 0x3c000000
	v_and_b32_e32 v20, 0x80000000, v20
	s_delay_alu instid0(VALU_DEP_1)
	v_or3_b32 v18, v21, v20, v18
.LBB6_1722:                             ;   in Loop: Header=BB6_128 Depth=2
	s_or_b32 exec_lo, exec_lo, s28
.LBB6_1723:                             ;   in Loop: Header=BB6_128 Depth=2
	s_delay_alu instid0(SALU_CYCLE_1)
	s_or_b32 exec_lo, exec_lo, s27
.LBB6_1724:                             ;   in Loop: Header=BB6_128 Depth=2
	s_delay_alu instid0(SALU_CYCLE_1) | instskip(NEXT) | instid1(VALU_DEP_1)
	s_or_b32 exec_lo, exec_lo, s10
	v_mul_f32_e32 v18, v19, v18
                                        ; implicit-def: $vgpr74
	s_mov_b32 s10, exec_lo
	s_delay_alu instid0(VALU_DEP_1) | instskip(SKIP_1) | instid1(VALU_DEP_2)
	v_and_b32_e32 v96, 0x7f800000, v18
	v_lshrrev_b32_e32 v19, 24, v18
	v_cmpx_ne_u64_e32 0x7f800000, v[96:97]
	s_xor_b32 s27, exec_lo, s10
	s_cbranch_execz .LBB6_1738
; %bb.1725:                             ;   in Loop: Header=BB6_128 Depth=2
	v_and_b32_e32 v96, 0x7fffffff, v18
	v_and_b32_e32 v112, 0x80, v19
                                        ; implicit-def: $vgpr74
	s_mov_b32 s10, exec_lo
	s_delay_alu instid0(VALU_DEP_2)
	v_cmpx_gt_u64_e32 0x43e00001, v[96:97]
	s_xor_b32 s28, exec_lo, s10
	s_cbranch_execz .LBB6_1735
; %bb.1726:                             ;   in Loop: Header=BB6_128 Depth=2
	v_mov_b32_e32 v74, 0
	s_mov_b32 s29, exec_lo
	v_cmpx_ne_u32_e32 0, v18
	s_cbranch_execz .LBB6_1734
; %bb.1727:                             ;   in Loop: Header=BB6_128 Depth=2
	v_bfe_u32 v31, v18, 23, 8
	v_and_b32_e32 v19, 0x7fffff, v18
	s_delay_alu instid0(VALU_DEP_2) | instskip(SKIP_2) | instid1(VALU_DEP_4)
	v_cmp_gt_u32_e64 s10, 0x7a, v31
	v_sub_nc_u32_e32 v18, 0x79, v31
	v_cmp_eq_u32_e32 vcc_lo, 0, v31
	v_or_b32_e32 v20, 0x800000, v19
	s_delay_alu instid0(VALU_DEP_1) | instskip(NEXT) | instid1(VALU_DEP_1)
	v_dual_cndmask_b32 v18, 0, v18, s10 :: v_dual_cndmask_b32 v96, v20, v19, vcc_lo
	v_cndmask_b32_e64 v54, v18, 0x78, vcc_lo
	s_delay_alu instid0(VALU_DEP_1) | instskip(NEXT) | instid1(VALU_DEP_1)
	v_dual_add_nc_u32 v18, 20, v54 :: v_dual_add_nc_u32 v20, 19, v54
	v_lshlrev_b64_e64 v[18:19], v18, -1
	s_delay_alu instid0(VALU_DEP_2) | instskip(NEXT) | instid1(VALU_DEP_2)
	v_lshlrev_b64_e64 v[20:21], v20, 1
	v_bfi_b32 v19, v19, 0, 0
	s_delay_alu instid0(VALU_DEP_3) | instskip(NEXT) | instid1(VALU_DEP_1)
	v_bfi_b32 v18, v18, 0, v96
	v_cmp_eq_u64_e64 s10, v[18:19], v[20:21]
	v_lshrrev_b64 v[18:19], v54, v[96:97]
	s_delay_alu instid0(VALU_DEP_1)
	v_mov_b64_e32 v[20:21], v[18:19]
	s_and_saveexec_b32 s40, s10
; %bb.1728:                             ;   in Loop: Header=BB6_128 Depth=2
	v_bfe_u32 v96, v18, 20, 1
	s_delay_alu instid0(VALU_DEP_1) | instskip(NEXT) | instid1(VALU_DEP_1)
	v_add_nc_u64_e32 v[20:21], v[18:19], v[96:97]
	v_add_nc_u64_e32 v[20:21], -1, v[20:21]
; %bb.1729:                             ;   in Loop: Header=BB6_128 Depth=2
	s_or_b32 exec_lo, exec_lo, s40
	v_add_nc_u32_e32 v19, 0xffffff81, v31
	v_lshrrev_b32_e32 v21, 23, v18
	s_mov_b32 s10, exec_lo
	s_delay_alu instid0(VALU_DEP_2) | instskip(NEXT) | instid1(VALU_DEP_1)
	v_cndmask_b32_e64 v19, v19, 0xffffff82, vcc_lo
	v_add3_u32 v31, v54, v19, v21
	v_and_b32_e32 v19, 0xfffff, v20
                                        ; implicit-def: $vgpr20
	s_delay_alu instid0(VALU_DEP_1) | instskip(NEXT) | instid1(VALU_DEP_1)
	v_dual_add_nc_u32 v21, 6, v31 :: v_dual_add_nc_u32 v96, v19, v18
                                        ; implicit-def: $vgpr18_vgpr19
	v_cmpx_ne_u32_e32 0, v21
	s_xor_b32 s10, exec_lo, s10
; %bb.1730:                             ;   in Loop: Header=BB6_128 Depth=2
	s_delay_alu instid0(VALU_DEP_2) | instskip(SKIP_1) | instid1(VALU_DEP_1)
	v_cmp_lt_u64_e32 vcc_lo, 0xffffff, v[96:97]
	v_add_nc_u32_e32 v18, 7, v31
	v_cndmask_b32_e32 v20, v21, v18, vcc_lo
	v_cndmask_b32_e64 v18, 0, 1, vcc_lo
	s_delay_alu instid0(VALU_DEP_1)
	v_lshrrev_b64 v[18:19], v18, v[96:97]
; %bb.1731:                             ;   in Loop: Header=BB6_128 Depth=2
	s_and_not1_saveexec_b32 s10, s10
; %bb.1732:                             ;   in Loop: Header=BB6_128 Depth=2
	v_mov_b64_e32 v[18:19], v[96:97]
	v_bfe_u32 v20, v96, 23, 1
; %bb.1733:                             ;   in Loop: Header=BB6_128 Depth=2
	s_or_b32 exec_lo, exec_lo, s10
	s_delay_alu instid0(VALU_DEP_2) | instskip(NEXT) | instid1(VALU_DEP_2)
	v_lshrrev_b64 v[18:19], 20, v[18:19]
	v_cmp_gt_i32_e32 vcc_lo, 16, v20
	v_min_i32_e32 v21, 15, v20
	v_cmp_eq_u32_e64 s10, 0, v20
	s_delay_alu instid0(VALU_DEP_2) | instskip(SKIP_1) | instid1(VALU_DEP_2)
	v_dual_cndmask_b32 v19, 0, v19, vcc_lo :: v_dual_lshlrev_b32 v21, 3, v21
	v_cndmask_b32_e32 v18, 7, v18, vcc_lo
	v_and_b32_e32 v21, 0xf8, v21
	s_delay_alu instid0(VALU_DEP_2) | instskip(NEXT) | instid1(VALU_DEP_2)
	v_cmp_eq_u64_e32 vcc_lo, 0, v[18:19]
	v_and_or_b32 v18, v18, 7, v21
	s_and_b32 s10, s10, vcc_lo
	s_delay_alu instid0(VALU_DEP_1) | instid1(SALU_CYCLE_1)
	v_cndmask_b32_e64 v18, v18, 0, s10
	s_delay_alu instid0(VALU_DEP_1)
	v_or_b32_e32 v74, v18, v112
.LBB6_1734:                             ;   in Loop: Header=BB6_128 Depth=2
	s_or_b32 exec_lo, exec_lo, s29
                                        ; implicit-def: $vgpr112
.LBB6_1735:                             ;   in Loop: Header=BB6_128 Depth=2
	s_and_not1_saveexec_b32 s10, s28
; %bb.1736:                             ;   in Loop: Header=BB6_128 Depth=2
	v_or_b32_e32 v74, 0x7e, v112
; %bb.1737:                             ;   in Loop: Header=BB6_128 Depth=2
	s_or_b32 exec_lo, exec_lo, s10
                                        ; implicit-def: $vgpr19
.LBB6_1738:                             ;   in Loop: Header=BB6_128 Depth=2
	s_and_not1_saveexec_b32 s10, s27
; %bb.1739:                             ;   in Loop: Header=BB6_128 Depth=2
	v_or_b32_e32 v74, 0x7f, v19
; %bb.1740:                             ;   in Loop: Header=BB6_128 Depth=2
	s_or_b32 exec_lo, exec_lo, s10
	v_and_b32_e32 v20, 0xff, v15
	v_dual_mov_b32 v96, v15 :: v_dual_mov_b32 v18, 0
	v_mov_b32_e32 v19, 0
	s_mov_b32 s10, exec_lo
	s_delay_alu instid0(VALU_DEP_3)
	v_cmpx_ne_u16_e32 0, v20
	s_cbranch_execz .LBB6_1746
; %bb.1741:                             ;   in Loop: Header=BB6_128 Depth=2
	v_bfrev_b32_e32 v19, 1
	s_mov_b32 s27, exec_lo
	v_cmpx_ne_u16_e32 0x80, v20
	s_cbranch_execz .LBB6_1745
; %bb.1742:                             ;   in Loop: Header=BB6_128 Depth=2
	v_and_b32_e32 v20, 0x7f, v15
	v_mov_b32_e32 v19, 0x7f800001
	s_mov_b32 s28, exec_lo
	s_delay_alu instid0(VALU_DEP_2)
	v_cmpx_ne_u32_e32 0x7f, v20
	s_cbranch_execz .LBB6_1744
; %bb.1743:                             ;   in Loop: Header=BB6_128 Depth=2
	v_dual_lshrrev_b32 v21, 3, v20 :: v_dual_bitop2_b32 v19, 7, v15 bitop3:0x40
	v_cmp_gt_u32_e32 vcc_lo, 8, v20
	s_delay_alu instid0(VALU_DEP_2) | instskip(NEXT) | instid1(VALU_DEP_1)
	v_clz_i32_u32_e32 v19, v19
	v_min_u32_e32 v19, 32, v19
	s_delay_alu instid0(VALU_DEP_1) | instskip(NEXT) | instid1(VALU_DEP_1)
	v_subrev_nc_u32_e32 v20, 28, v19
	v_dual_cndmask_b32 v20, 0, v20 :: v_dual_sub_nc_u32 v19, 29, v19
	s_delay_alu instid0(VALU_DEP_1) | instskip(NEXT) | instid1(VALU_DEP_2)
	v_cndmask_b32_e32 v19, v21, v19, vcc_lo
	v_lshlrev_b64_e32 v[20:21], v20, v[96:97]
	v_lshlrev_b32_e32 v21, 24, v96
	s_delay_alu instid0(VALU_DEP_1) | instskip(NEXT) | instid1(VALU_DEP_3)
	v_and_b32_e32 v21, 0x80000000, v21
	v_lshlrev_b32_e32 v20, 20, v20
	v_lshl_add_u32 v19, v19, 23, 0x3c000000
	s_delay_alu instid0(VALU_DEP_2) | instskip(NEXT) | instid1(VALU_DEP_1)
	v_and_b32_e32 v20, 0x700000, v20
	v_or3_b32 v19, v20, v21, v19
.LBB6_1744:                             ;   in Loop: Header=BB6_128 Depth=2
	s_or_b32 exec_lo, exec_lo, s28
.LBB6_1745:                             ;   in Loop: Header=BB6_128 Depth=2
	s_delay_alu instid0(SALU_CYCLE_1)
	s_or_b32 exec_lo, exec_lo, s27
.LBB6_1746:                             ;   in Loop: Header=BB6_128 Depth=2
	s_delay_alu instid0(SALU_CYCLE_1) | instskip(SKIP_2) | instid1(VALU_DEP_1)
	s_or_b32 exec_lo, exec_lo, s10
	v_and_b32_e32 v20, 0xff, v11
	s_mov_b32 s10, exec_lo
	v_cmpx_ne_u16_e32 0, v20
	s_cbranch_execz .LBB6_1752
; %bb.1747:                             ;   in Loop: Header=BB6_128 Depth=2
	v_bfrev_b32_e32 v18, 1
	s_mov_b32 s27, exec_lo
	v_cmpx_ne_u16_e32 0x80, v20
	s_cbranch_execz .LBB6_1751
; %bb.1748:                             ;   in Loop: Header=BB6_128 Depth=2
	v_and_b32_e32 v20, 0x7f, v11
	v_mov_b32_e32 v18, 0x7f800001
	s_mov_b32 s28, exec_lo
	s_delay_alu instid0(VALU_DEP_2)
	v_cmpx_ne_u32_e32 0x7f, v20
	s_cbranch_execz .LBB6_1750
; %bb.1749:                             ;   in Loop: Header=BB6_128 Depth=2
	v_dual_lshrrev_b32 v31, 3, v20 :: v_dual_bitop2_b32 v18, 7, v11 bitop3:0x40
	v_cmp_gt_u32_e32 vcc_lo, 8, v20
	v_mov_b32_e32 v20, v11
	s_delay_alu instid0(VALU_DEP_3) | instskip(NEXT) | instid1(VALU_DEP_1)
	v_clz_i32_u32_e32 v18, v18
	v_min_u32_e32 v18, 32, v18
	s_delay_alu instid0(VALU_DEP_1) | instskip(SKIP_1) | instid1(VALU_DEP_2)
	v_sub_nc_u32_e32 v54, 29, v18
	v_subrev_nc_u32_e32 v18, 28, v18
	v_dual_mov_b32 v21, v97 :: v_dual_cndmask_b32 v31, v31, v54, vcc_lo
	s_delay_alu instid0(VALU_DEP_2) | instskip(NEXT) | instid1(VALU_DEP_1)
	v_cndmask_b32_e32 v18, 0, v18, vcc_lo
	v_lshlrev_b64_e32 v[54:55], v18, v[20:21]
	v_lshlrev_b32_e32 v18, 24, v20
	s_delay_alu instid0(VALU_DEP_4) | instskip(NEXT) | instid1(VALU_DEP_3)
	v_lshl_add_u32 v21, v31, 23, 0x3c000000
	v_lshlrev_b32_e32 v20, 20, v54
	s_delay_alu instid0(VALU_DEP_3) | instskip(NEXT) | instid1(VALU_DEP_2)
	v_and_b32_e32 v18, 0x80000000, v18
	v_and_b32_e32 v20, 0x700000, v20
	s_delay_alu instid0(VALU_DEP_1)
	v_or3_b32 v18, v20, v18, v21
.LBB6_1750:                             ;   in Loop: Header=BB6_128 Depth=2
	s_or_b32 exec_lo, exec_lo, s28
.LBB6_1751:                             ;   in Loop: Header=BB6_128 Depth=2
	s_delay_alu instid0(SALU_CYCLE_1)
	s_or_b32 exec_lo, exec_lo, s27
.LBB6_1752:                             ;   in Loop: Header=BB6_128 Depth=2
	s_delay_alu instid0(SALU_CYCLE_1) | instskip(NEXT) | instid1(VALU_DEP_1)
	s_or_b32 exec_lo, exec_lo, s10
	v_dual_mul_f32 v18, v19, v18 :: v_dual_mov_b32 v21, v97
                                        ; implicit-def: $vgpr112
	s_mov_b32 s10, exec_lo
	s_delay_alu instid0(VALU_DEP_1) | instskip(SKIP_1) | instid1(VALU_DEP_2)
	v_and_b32_e32 v20, 0x7f800000, v18
	v_lshrrev_b32_e32 v19, 24, v18
	v_cmpx_ne_u64_e32 0x7f800000, v[20:21]
	s_xor_b32 s27, exec_lo, s10
	s_cbranch_execz .LBB6_1766
; %bb.1753:                             ;   in Loop: Header=BB6_128 Depth=2
	v_and_b32_e32 v20, 0x7fffffff, v18
	v_mov_b32_e32 v21, v97
	v_and_b32_e32 v113, 0x80, v19
                                        ; implicit-def: $vgpr112
	s_mov_b32 s10, exec_lo
	s_delay_alu instid0(VALU_DEP_2)
	v_cmpx_gt_u64_e32 0x43e00001, v[20:21]
	s_xor_b32 s28, exec_lo, s10
	s_cbranch_execz .LBB6_1763
; %bb.1754:                             ;   in Loop: Header=BB6_128 Depth=2
	v_mov_b32_e32 v112, 0
	s_mov_b32 s29, exec_lo
	v_cmpx_ne_u32_e32 0, v18
	s_cbranch_execz .LBB6_1762
; %bb.1755:                             ;   in Loop: Header=BB6_128 Depth=2
	v_bfe_u32 v31, v18, 23, 8
	v_and_b32_e32 v19, 0x7fffff, v18
	s_delay_alu instid0(VALU_DEP_2) | instskip(SKIP_2) | instid1(VALU_DEP_4)
	v_cmp_gt_u32_e64 s10, 0x7a, v31
	v_sub_nc_u32_e32 v18, 0x79, v31
	v_cmp_eq_u32_e32 vcc_lo, 0, v31
	v_or_b32_e32 v20, 0x800000, v19
	s_delay_alu instid0(VALU_DEP_3) | instskip(NEXT) | instid1(VALU_DEP_1)
	v_cndmask_b32_e64 v18, 0, v18, s10
	v_cndmask_b32_e64 v54, v18, 0x78, vcc_lo
	s_delay_alu instid0(VALU_DEP_3) | instskip(NEXT) | instid1(VALU_DEP_2)
	v_dual_cndmask_b32 v18, v20, v19 :: v_dual_mov_b32 v19, v97
	v_dual_add_nc_u32 v20, 20, v54 :: v_dual_add_nc_u32 v55, 19, v54
	s_delay_alu instid0(VALU_DEP_1) | instskip(NEXT) | instid1(VALU_DEP_2)
	v_lshlrev_b64_e64 v[20:21], v20, -1
	v_lshlrev_b64_e64 v[72:73], v55, 1
	s_delay_alu instid0(VALU_DEP_2) | instskip(SKIP_1) | instid1(VALU_DEP_4)
	v_bfi_b32 v20, v20, 0, v18
	v_lshrrev_b64 v[18:19], v54, v[18:19]
	v_bfi_b32 v21, v21, 0, 0
	s_delay_alu instid0(VALU_DEP_1) | instskip(NEXT) | instid1(VALU_DEP_3)
	v_cmp_eq_u64_e64 s10, v[20:21], v[72:73]
	v_mov_b64_e32 v[20:21], v[18:19]
	s_and_saveexec_b32 s40, s10
; %bb.1756:                             ;   in Loop: Header=BB6_128 Depth=2
	v_bfe_u32 v20, v18, 20, 1
	v_mov_b32_e32 v21, v97
	s_delay_alu instid0(VALU_DEP_1) | instskip(NEXT) | instid1(VALU_DEP_1)
	v_add_nc_u64_e32 v[20:21], v[18:19], v[20:21]
	v_add_nc_u64_e32 v[20:21], -1, v[20:21]
; %bb.1757:                             ;   in Loop: Header=BB6_128 Depth=2
	s_or_b32 exec_lo, exec_lo, s40
	v_add_nc_u32_e32 v19, 0xffffff81, v31
	v_lshrrev_b32_e32 v21, 23, v18
	s_mov_b32 s10, exec_lo
	s_delay_alu instid0(VALU_DEP_2) | instskip(NEXT) | instid1(VALU_DEP_1)
	v_cndmask_b32_e64 v19, v19, 0xffffff82, vcc_lo
	v_add3_u32 v31, v54, v19, v21
	v_and_b32_e32 v19, 0xfffff, v20
                                        ; implicit-def: $vgpr20
	s_delay_alu instid0(VALU_DEP_1) | instskip(SKIP_1) | instid1(VALU_DEP_2)
	v_dual_add_nc_u32 v21, 6, v31 :: v_dual_add_nc_u32 v18, v19, v18
	v_mov_b32_e32 v19, v97
	v_cmpx_ne_u32_e32 0, v21
	s_xor_b32 s10, exec_lo, s10
; %bb.1758:                             ;   in Loop: Header=BB6_128 Depth=2
	s_delay_alu instid0(VALU_DEP_2) | instskip(SKIP_1) | instid1(VALU_DEP_1)
	v_cmp_lt_u64_e32 vcc_lo, 0xffffff, v[18:19]
	v_add_nc_u32_e32 v20, 7, v31
	v_cndmask_b32_e32 v20, v21, v20, vcc_lo
	v_cndmask_b32_e64 v21, 0, 1, vcc_lo
	s_delay_alu instid0(VALU_DEP_1)
	v_lshrrev_b64 v[18:19], v21, v[18:19]
; %bb.1759:                             ;   in Loop: Header=BB6_128 Depth=2
	s_and_not1_saveexec_b32 s10, s10
; %bb.1760:                             ;   in Loop: Header=BB6_128 Depth=2
	s_delay_alu instid0(VALU_DEP_1)
	v_bfe_u32 v20, v18, 23, 1
; %bb.1761:                             ;   in Loop: Header=BB6_128 Depth=2
	s_or_b32 exec_lo, exec_lo, s10
	s_delay_alu instid0(VALU_DEP_2) | instskip(NEXT) | instid1(VALU_DEP_2)
	v_lshrrev_b64 v[18:19], 20, v[18:19]
	v_cmp_gt_i32_e32 vcc_lo, 16, v20
	v_min_i32_e32 v21, 15, v20
	v_cmp_eq_u32_e64 s10, 0, v20
	s_delay_alu instid0(VALU_DEP_2) | instskip(SKIP_1) | instid1(VALU_DEP_2)
	v_dual_cndmask_b32 v19, 0, v19, vcc_lo :: v_dual_lshlrev_b32 v21, 3, v21
	v_cndmask_b32_e32 v18, 7, v18, vcc_lo
	v_and_b32_e32 v21, 0xf8, v21
	s_delay_alu instid0(VALU_DEP_2) | instskip(NEXT) | instid1(VALU_DEP_2)
	v_cmp_eq_u64_e32 vcc_lo, 0, v[18:19]
	v_and_or_b32 v18, v18, 7, v21
	s_and_b32 s10, s10, vcc_lo
	s_delay_alu instid0(VALU_DEP_1) | instid1(SALU_CYCLE_1)
	v_cndmask_b32_e64 v18, v18, 0, s10
	s_delay_alu instid0(VALU_DEP_1)
	v_or_b32_e32 v112, v18, v113
.LBB6_1762:                             ;   in Loop: Header=BB6_128 Depth=2
	s_or_b32 exec_lo, exec_lo, s29
                                        ; implicit-def: $vgpr113
.LBB6_1763:                             ;   in Loop: Header=BB6_128 Depth=2
	s_and_not1_saveexec_b32 s10, s28
; %bb.1764:                             ;   in Loop: Header=BB6_128 Depth=2
	v_or_b32_e32 v112, 0x7e, v113
; %bb.1765:                             ;   in Loop: Header=BB6_128 Depth=2
	s_or_b32 exec_lo, exec_lo, s10
                                        ; implicit-def: $vgpr19
.LBB6_1766:                             ;   in Loop: Header=BB6_128 Depth=2
	s_and_not1_saveexec_b32 s10, s27
; %bb.1767:                             ;   in Loop: Header=BB6_128 Depth=2
	v_or_b32_e32 v112, 0x7f, v19
; %bb.1768:                             ;   in Loop: Header=BB6_128 Depth=2
	s_or_b32 exec_lo, exec_lo, s10
	v_lshrrev_b16 v19, 8, v96
	v_dual_mov_b32 v20, 0 :: v_dual_mov_b32 v18, 0
	s_mov_b32 s10, exec_lo
	s_delay_alu instid0(VALU_DEP_2)
	v_cmpx_ne_u16_e32 0, v19
	s_cbranch_execz .LBB6_1776
; %bb.1769:                             ;   in Loop: Header=BB6_128 Depth=2
	v_bfrev_b32_e32 v18, 1
	s_mov_b32 s27, exec_lo
	v_cmpx_ne_u16_e32 0x80, v19
	s_cbranch_execz .LBB6_1775
; %bb.1770:                             ;   in Loop: Header=BB6_128 Depth=2
	v_and_b32_e32 v19, 0xffff, v19
	v_mov_b32_e32 v18, 0x7f800001
	s_mov_b32 s28, exec_lo
	s_delay_alu instid0(VALU_DEP_2) | instskip(NEXT) | instid1(VALU_DEP_1)
	v_and_b32_e32 v31, 0x7f, v19
	v_cmpx_ne_u32_e32 0x7f, v31
	s_cbranch_execz .LBB6_1774
; %bb.1771:                             ;   in Loop: Header=BB6_128 Depth=2
	v_dual_mov_b32 v19, v97 :: v_dual_bitop2_b32 v18, 7, v19 bitop3:0x40
	v_lshrrev_b32_e32 v21, 3, v31
	s_mov_b32 s29, exec_lo
	v_cmpx_gt_u32_e32 8, v31
; %bb.1772:                             ;   in Loop: Header=BB6_128 Depth=2
	s_delay_alu instid0(VALU_DEP_3) | instskip(NEXT) | instid1(VALU_DEP_1)
	v_clz_i32_u32_e32 v21, v18
	v_min_u32_e32 v21, 32, v21
	s_delay_alu instid0(VALU_DEP_1) | instskip(NEXT) | instid1(VALU_DEP_1)
	v_subrev_nc_u32_e32 v31, 28, v21
	v_lshlrev_b64_e32 v[18:19], v31, v[18:19]
	s_delay_alu instid0(VALU_DEP_1)
	v_dual_sub_nc_u32 v21, 29, v21 :: v_dual_bitop2_b32 v18, 7, v18 bitop3:0x40
; %bb.1773:                             ;   in Loop: Header=BB6_128 Depth=2
	s_or_b32 exec_lo, exec_lo, s29
	s_delay_alu instid0(VALU_DEP_1) | instskip(NEXT) | instid1(VALU_DEP_2)
	v_dual_lshlrev_b32 v19, 16, v96 :: v_dual_lshlrev_b32 v18, 20, v18
	v_lshl_add_u32 v21, v21, 23, 0x3c000000
	s_delay_alu instid0(VALU_DEP_2) | instskip(NEXT) | instid1(VALU_DEP_1)
	v_and_b32_e32 v19, 0x80000000, v19
	v_or3_b32 v18, v18, v19, v21
.LBB6_1774:                             ;   in Loop: Header=BB6_128 Depth=2
	s_or_b32 exec_lo, exec_lo, s28
.LBB6_1775:                             ;   in Loop: Header=BB6_128 Depth=2
	s_delay_alu instid0(SALU_CYCLE_1)
	s_or_b32 exec_lo, exec_lo, s27
.LBB6_1776:                             ;   in Loop: Header=BB6_128 Depth=2
	s_delay_alu instid0(SALU_CYCLE_1) | instskip(SKIP_2) | instid1(VALU_DEP_1)
	s_or_b32 exec_lo, exec_lo, s10
	v_lshrrev_b16 v19, 8, v11
	s_mov_b32 s10, exec_lo
	v_cmpx_ne_u16_e32 0, v19
	s_cbranch_execz .LBB6_1784
; %bb.1777:                             ;   in Loop: Header=BB6_128 Depth=2
	v_bfrev_b32_e32 v20, 1
	s_mov_b32 s27, exec_lo
	v_cmpx_ne_u16_e32 0x80, v19
	s_cbranch_execz .LBB6_1783
; %bb.1778:                             ;   in Loop: Header=BB6_128 Depth=2
	v_and_b32_e32 v19, 0xffff, v19
	v_mov_b32_e32 v20, 0x7f800001
	s_mov_b32 s28, exec_lo
	s_delay_alu instid0(VALU_DEP_2) | instskip(NEXT) | instid1(VALU_DEP_1)
	v_and_b32_e32 v21, 0x7f, v19
	v_cmpx_ne_u32_e32 0x7f, v21
	s_cbranch_execz .LBB6_1782
; %bb.1779:                             ;   in Loop: Header=BB6_128 Depth=2
	v_dual_lshrrev_b32 v19, 3, v21 :: v_dual_bitop2_b32 v96, 7, v19 bitop3:0x40
	s_mov_b32 s29, exec_lo
	v_cmpx_gt_u32_e32 8, v21
; %bb.1780:                             ;   in Loop: Header=BB6_128 Depth=2
	s_delay_alu instid0(VALU_DEP_2) | instskip(NEXT) | instid1(VALU_DEP_1)
	v_clz_i32_u32_e32 v19, v96
	v_min_u32_e32 v19, 32, v19
	s_delay_alu instid0(VALU_DEP_1) | instskip(NEXT) | instid1(VALU_DEP_1)
	v_subrev_nc_u32_e32 v20, 28, v19
	v_lshlrev_b64_e32 v[20:21], v20, v[96:97]
	s_delay_alu instid0(VALU_DEP_1)
	v_dual_sub_nc_u32 v19, 29, v19 :: v_dual_bitop2_b32 v96, 7, v20 bitop3:0x40
; %bb.1781:                             ;   in Loop: Header=BB6_128 Depth=2
	s_or_b32 exec_lo, exec_lo, s29
	s_delay_alu instid0(VALU_DEP_1) | instskip(NEXT) | instid1(VALU_DEP_2)
	v_dual_lshlrev_b32 v20, 16, v11 :: v_dual_lshlrev_b32 v21, 20, v96
	v_lshl_add_u32 v19, v19, 23, 0x3c000000
	s_delay_alu instid0(VALU_DEP_2) | instskip(NEXT) | instid1(VALU_DEP_1)
	v_and_b32_e32 v20, 0x80000000, v20
	v_or3_b32 v20, v21, v20, v19
.LBB6_1782:                             ;   in Loop: Header=BB6_128 Depth=2
	s_or_b32 exec_lo, exec_lo, s28
.LBB6_1783:                             ;   in Loop: Header=BB6_128 Depth=2
	s_delay_alu instid0(SALU_CYCLE_1)
	s_or_b32 exec_lo, exec_lo, s27
.LBB6_1784:                             ;   in Loop: Header=BB6_128 Depth=2
	s_delay_alu instid0(SALU_CYCLE_1) | instskip(NEXT) | instid1(VALU_DEP_1)
	s_or_b32 exec_lo, exec_lo, s10
	v_mul_f32_e32 v18, v18, v20
                                        ; implicit-def: $vgpr113
	s_mov_b32 s10, exec_lo
	s_delay_alu instid0(VALU_DEP_1) | instskip(SKIP_1) | instid1(VALU_DEP_2)
	v_and_b32_e32 v96, 0x7f800000, v18
	v_lshrrev_b32_e32 v19, 24, v18
	v_cmpx_ne_u64_e32 0x7f800000, v[96:97]
	s_xor_b32 s27, exec_lo, s10
	s_cbranch_execz .LBB6_1798
; %bb.1785:                             ;   in Loop: Header=BB6_128 Depth=2
	v_and_b32_e32 v96, 0x7fffffff, v18
	v_and_b32_e32 v72, 0x80, v19
                                        ; implicit-def: $vgpr113
	s_mov_b32 s10, exec_lo
	s_delay_alu instid0(VALU_DEP_2)
	v_cmpx_gt_u64_e32 0x43e00001, v[96:97]
	s_xor_b32 s28, exec_lo, s10
	s_cbranch_execz .LBB6_1795
; %bb.1786:                             ;   in Loop: Header=BB6_128 Depth=2
	v_mov_b32_e32 v113, 0
	s_mov_b32 s29, exec_lo
	v_cmpx_ne_u32_e32 0, v18
	s_cbranch_execz .LBB6_1794
; %bb.1787:                             ;   in Loop: Header=BB6_128 Depth=2
	v_bfe_u32 v31, v18, 23, 8
	v_and_b32_e32 v19, 0x7fffff, v18
	s_delay_alu instid0(VALU_DEP_2) | instskip(SKIP_2) | instid1(VALU_DEP_4)
	v_cmp_gt_u32_e64 s10, 0x7a, v31
	v_sub_nc_u32_e32 v18, 0x79, v31
	v_cmp_eq_u32_e32 vcc_lo, 0, v31
	v_or_b32_e32 v20, 0x800000, v19
	s_delay_alu instid0(VALU_DEP_1) | instskip(NEXT) | instid1(VALU_DEP_1)
	v_dual_cndmask_b32 v18, 0, v18, s10 :: v_dual_cndmask_b32 v96, v20, v19, vcc_lo
	v_cndmask_b32_e64 v54, v18, 0x78, vcc_lo
	s_delay_alu instid0(VALU_DEP_1) | instskip(NEXT) | instid1(VALU_DEP_1)
	v_dual_add_nc_u32 v18, 20, v54 :: v_dual_add_nc_u32 v20, 19, v54
	v_lshlrev_b64_e64 v[18:19], v18, -1
	s_delay_alu instid0(VALU_DEP_2) | instskip(NEXT) | instid1(VALU_DEP_2)
	v_lshlrev_b64_e64 v[20:21], v20, 1
	v_bfi_b32 v19, v19, 0, 0
	s_delay_alu instid0(VALU_DEP_3) | instskip(NEXT) | instid1(VALU_DEP_1)
	v_bfi_b32 v18, v18, 0, v96
	v_cmp_eq_u64_e64 s10, v[18:19], v[20:21]
	v_lshrrev_b64 v[18:19], v54, v[96:97]
	s_delay_alu instid0(VALU_DEP_1)
	v_mov_b64_e32 v[20:21], v[18:19]
	s_and_saveexec_b32 s40, s10
; %bb.1788:                             ;   in Loop: Header=BB6_128 Depth=2
	v_bfe_u32 v96, v18, 20, 1
	s_delay_alu instid0(VALU_DEP_1) | instskip(NEXT) | instid1(VALU_DEP_1)
	v_add_nc_u64_e32 v[20:21], v[18:19], v[96:97]
	v_add_nc_u64_e32 v[20:21], -1, v[20:21]
; %bb.1789:                             ;   in Loop: Header=BB6_128 Depth=2
	s_or_b32 exec_lo, exec_lo, s40
	v_add_nc_u32_e32 v19, 0xffffff81, v31
	v_lshrrev_b32_e32 v21, 23, v18
	s_mov_b32 s10, exec_lo
	s_delay_alu instid0(VALU_DEP_2) | instskip(NEXT) | instid1(VALU_DEP_1)
	v_cndmask_b32_e64 v19, v19, 0xffffff82, vcc_lo
	v_add3_u32 v31, v54, v19, v21
	v_and_b32_e32 v19, 0xfffff, v20
                                        ; implicit-def: $vgpr20
	s_delay_alu instid0(VALU_DEP_1) | instskip(NEXT) | instid1(VALU_DEP_1)
	v_dual_add_nc_u32 v21, 6, v31 :: v_dual_add_nc_u32 v96, v19, v18
                                        ; implicit-def: $vgpr18_vgpr19
	v_cmpx_ne_u32_e32 0, v21
	s_xor_b32 s10, exec_lo, s10
; %bb.1790:                             ;   in Loop: Header=BB6_128 Depth=2
	s_delay_alu instid0(VALU_DEP_2) | instskip(SKIP_1) | instid1(VALU_DEP_1)
	v_cmp_lt_u64_e32 vcc_lo, 0xffffff, v[96:97]
	v_add_nc_u32_e32 v18, 7, v31
	v_cndmask_b32_e32 v20, v21, v18, vcc_lo
	v_cndmask_b32_e64 v18, 0, 1, vcc_lo
	s_delay_alu instid0(VALU_DEP_1)
	v_lshrrev_b64 v[18:19], v18, v[96:97]
; %bb.1791:                             ;   in Loop: Header=BB6_128 Depth=2
	s_and_not1_saveexec_b32 s10, s10
; %bb.1792:                             ;   in Loop: Header=BB6_128 Depth=2
	v_mov_b64_e32 v[18:19], v[96:97]
	v_bfe_u32 v20, v96, 23, 1
; %bb.1793:                             ;   in Loop: Header=BB6_128 Depth=2
	s_or_b32 exec_lo, exec_lo, s10
	s_delay_alu instid0(VALU_DEP_2) | instskip(NEXT) | instid1(VALU_DEP_2)
	v_lshrrev_b64 v[18:19], 20, v[18:19]
	v_cmp_gt_i32_e32 vcc_lo, 16, v20
	v_min_i32_e32 v21, 15, v20
	v_cmp_eq_u32_e64 s10, 0, v20
	s_delay_alu instid0(VALU_DEP_2) | instskip(SKIP_1) | instid1(VALU_DEP_2)
	v_dual_cndmask_b32 v19, 0, v19, vcc_lo :: v_dual_lshlrev_b32 v21, 3, v21
	v_cndmask_b32_e32 v18, 7, v18, vcc_lo
	v_and_b32_e32 v21, 0xf8, v21
	s_delay_alu instid0(VALU_DEP_2) | instskip(NEXT) | instid1(VALU_DEP_2)
	v_cmp_eq_u64_e32 vcc_lo, 0, v[18:19]
	v_and_or_b32 v18, v18, 7, v21
	s_and_b32 s10, s10, vcc_lo
	s_delay_alu instid0(VALU_DEP_1) | instid1(SALU_CYCLE_1)
	v_cndmask_b32_e64 v18, v18, 0, s10
	s_delay_alu instid0(VALU_DEP_1)
	v_or_b32_e32 v113, v18, v72
.LBB6_1794:                             ;   in Loop: Header=BB6_128 Depth=2
	s_or_b32 exec_lo, exec_lo, s29
                                        ; implicit-def: $vgpr72
.LBB6_1795:                             ;   in Loop: Header=BB6_128 Depth=2
	s_and_not1_saveexec_b32 s10, s28
; %bb.1796:                             ;   in Loop: Header=BB6_128 Depth=2
	v_or_b32_e32 v113, 0x7e, v72
; %bb.1797:                             ;   in Loop: Header=BB6_128 Depth=2
	s_or_b32 exec_lo, exec_lo, s10
                                        ; implicit-def: $vgpr19
.LBB6_1798:                             ;   in Loop: Header=BB6_128 Depth=2
	s_and_not1_saveexec_b32 s10, s27
; %bb.1799:                             ;   in Loop: Header=BB6_128 Depth=2
	v_or_b32_e32 v113, 0x7f, v19
; %bb.1800:                             ;   in Loop: Header=BB6_128 Depth=2
	s_or_b32 exec_lo, exec_lo, s10
	v_dual_lshrrev_b32 v20, 16, v15 :: v_dual_mov_b32 v18, 0
	v_mov_b32_e32 v19, 0
	s_mov_b32 s10, exec_lo
	s_delay_alu instid0(VALU_DEP_2) | instskip(NEXT) | instid1(VALU_DEP_1)
	v_and_b32_e32 v21, 0xff, v20
	v_cmpx_ne_u16_e32 0, v21
	s_cbranch_execz .LBB6_1808
; %bb.1801:                             ;   in Loop: Header=BB6_128 Depth=2
	v_bfrev_b32_e32 v19, 1
	s_mov_b32 s27, exec_lo
	v_cmpx_ne_u16_e32 0x80, v21
	s_cbranch_execz .LBB6_1807
; %bb.1802:                             ;   in Loop: Header=BB6_128 Depth=2
	v_bfe_u32 v21, v15, 16, 7
	v_mov_b32_e32 v19, 0x7f800001
	s_mov_b32 s28, exec_lo
	s_delay_alu instid0(VALU_DEP_2)
	v_cmpx_ne_u32_e32 0x7f, v21
	s_cbranch_execz .LBB6_1806
; %bb.1803:                             ;   in Loop: Header=BB6_128 Depth=2
	v_dual_lshrrev_b32 v19, 3, v21 :: v_dual_bitop2_b32 v96, 7, v20 bitop3:0x40
	s_mov_b32 s29, exec_lo
	v_cmpx_gt_u32_e32 8, v21
; %bb.1804:                             ;   in Loop: Header=BB6_128 Depth=2
	s_delay_alu instid0(VALU_DEP_2) | instskip(NEXT) | instid1(VALU_DEP_1)
	v_clz_i32_u32_e32 v19, v96
	v_min_u32_e32 v19, 32, v19
	s_delay_alu instid0(VALU_DEP_1) | instskip(NEXT) | instid1(VALU_DEP_1)
	v_subrev_nc_u32_e32 v21, 28, v19
	v_lshlrev_b64_e32 v[54:55], v21, v[96:97]
	s_delay_alu instid0(VALU_DEP_1)
	v_dual_sub_nc_u32 v19, 29, v19 :: v_dual_bitop2_b32 v96, 7, v54 bitop3:0x40
; %bb.1805:                             ;   in Loop: Header=BB6_128 Depth=2
	s_or_b32 exec_lo, exec_lo, s29
	v_lshlrev_b32_e32 v20, 24, v20
	s_delay_alu instid0(VALU_DEP_2) | instskip(NEXT) | instid1(VALU_DEP_3)
	v_lshlrev_b32_e32 v21, 20, v96
	v_lshl_add_u32 v19, v19, 23, 0x3c000000
	s_delay_alu instid0(VALU_DEP_3) | instskip(NEXT) | instid1(VALU_DEP_1)
	v_and_b32_e32 v20, 0x80000000, v20
	v_or3_b32 v19, v21, v20, v19
.LBB6_1806:                             ;   in Loop: Header=BB6_128 Depth=2
	s_or_b32 exec_lo, exec_lo, s28
.LBB6_1807:                             ;   in Loop: Header=BB6_128 Depth=2
	s_delay_alu instid0(SALU_CYCLE_1)
	s_or_b32 exec_lo, exec_lo, s27
.LBB6_1808:                             ;   in Loop: Header=BB6_128 Depth=2
	s_delay_alu instid0(SALU_CYCLE_1) | instskip(SKIP_2) | instid1(VALU_DEP_1)
	s_or_b32 exec_lo, exec_lo, s10
	v_lshrrev_b32_e32 v20, 16, v11
	s_mov_b32 s10, exec_lo
	v_and_b32_e32 v21, 0xff, v20
	s_delay_alu instid0(VALU_DEP_1)
	v_cmpx_ne_u16_e32 0, v21
	s_cbranch_execz .LBB6_1816
; %bb.1809:                             ;   in Loop: Header=BB6_128 Depth=2
	v_bfrev_b32_e32 v18, 1
	s_mov_b32 s27, exec_lo
	v_cmpx_ne_u16_e32 0x80, v21
	s_cbranch_execz .LBB6_1815
; %bb.1810:                             ;   in Loop: Header=BB6_128 Depth=2
	v_bfe_u32 v21, v11, 16, 7
	v_mov_b32_e32 v18, 0x7f800001
	s_mov_b32 s28, exec_lo
	s_delay_alu instid0(VALU_DEP_2)
	v_cmpx_ne_u32_e32 0x7f, v21
	s_cbranch_execz .LBB6_1814
; %bb.1811:                             ;   in Loop: Header=BB6_128 Depth=2
	v_dual_lshrrev_b32 v18, 3, v21 :: v_dual_bitop2_b32 v96, 7, v20 bitop3:0x40
	s_mov_b32 s29, exec_lo
	v_cmpx_gt_u32_e32 8, v21
; %bb.1812:                             ;   in Loop: Header=BB6_128 Depth=2
	s_delay_alu instid0(VALU_DEP_2) | instskip(NEXT) | instid1(VALU_DEP_1)
	v_clz_i32_u32_e32 v18, v96
	v_min_u32_e32 v18, 32, v18
	s_delay_alu instid0(VALU_DEP_1) | instskip(NEXT) | instid1(VALU_DEP_1)
	v_subrev_nc_u32_e32 v20, 28, v18
	v_lshlrev_b64_e32 v[20:21], v20, v[96:97]
	s_delay_alu instid0(VALU_DEP_1)
	v_dual_sub_nc_u32 v18, 29, v18 :: v_dual_bitop2_b32 v96, 7, v20 bitop3:0x40
; %bb.1813:                             ;   in Loop: Header=BB6_128 Depth=2
	s_or_b32 exec_lo, exec_lo, s29
	s_delay_alu instid0(VALU_DEP_1) | instskip(NEXT) | instid1(VALU_DEP_2)
	v_dual_lshlrev_b32 v20, 8, v11 :: v_dual_lshlrev_b32 v21, 20, v96
	v_lshl_add_u32 v18, v18, 23, 0x3c000000
	s_delay_alu instid0(VALU_DEP_2) | instskip(NEXT) | instid1(VALU_DEP_1)
	v_and_b32_e32 v20, 0x80000000, v20
	v_or3_b32 v18, v21, v20, v18
.LBB6_1814:                             ;   in Loop: Header=BB6_128 Depth=2
	s_or_b32 exec_lo, exec_lo, s28
.LBB6_1815:                             ;   in Loop: Header=BB6_128 Depth=2
	s_delay_alu instid0(SALU_CYCLE_1)
	s_or_b32 exec_lo, exec_lo, s27
.LBB6_1816:                             ;   in Loop: Header=BB6_128 Depth=2
	s_delay_alu instid0(SALU_CYCLE_1) | instskip(NEXT) | instid1(VALU_DEP_1)
	s_or_b32 exec_lo, exec_lo, s10
	v_mul_f32_e32 v19, v19, v18
                                        ; implicit-def: $vgpr18
	s_mov_b32 s10, exec_lo
	s_delay_alu instid0(VALU_DEP_1) | instskip(SKIP_1) | instid1(VALU_DEP_2)
	v_and_b32_e32 v96, 0x7f800000, v19
	v_lshrrev_b32_e32 v20, 24, v19
	v_cmpx_ne_u64_e32 0x7f800000, v[96:97]
	s_xor_b32 s27, exec_lo, s10
	s_cbranch_execz .LBB6_1830
; %bb.1817:                             ;   in Loop: Header=BB6_128 Depth=2
	v_and_b32_e32 v96, 0x7fffffff, v19
	v_and_b32_e32 v72, 0x80, v20
                                        ; implicit-def: $vgpr18
	s_mov_b32 s10, exec_lo
	s_delay_alu instid0(VALU_DEP_2)
	v_cmpx_gt_u64_e32 0x43e00001, v[96:97]
	s_xor_b32 s28, exec_lo, s10
	s_cbranch_execz .LBB6_1827
; %bb.1818:                             ;   in Loop: Header=BB6_128 Depth=2
	v_mov_b32_e32 v18, 0
	s_mov_b32 s29, exec_lo
	v_cmpx_ne_u32_e32 0, v19
	s_cbranch_execz .LBB6_1826
; %bb.1819:                             ;   in Loop: Header=BB6_128 Depth=2
	v_and_b32_e32 v18, 0x7fffff, v19
	v_bfe_u32 v31, v19, 23, 8
	s_delay_alu instid0(VALU_DEP_2) | instskip(NEXT) | instid1(VALU_DEP_2)
	v_or_b32_e32 v20, 0x800000, v18
	v_cmp_eq_u32_e32 vcc_lo, 0, v31
	v_cmp_gt_u32_e64 s10, 0x7a, v31
	s_delay_alu instid0(VALU_DEP_3) | instskip(NEXT) | instid1(VALU_DEP_1)
	v_dual_cndmask_b32 v96, v20, v18 :: v_dual_sub_nc_u32 v19, 0x79, v31
	v_cndmask_b32_e64 v19, 0, v19, s10
	s_delay_alu instid0(VALU_DEP_1) | instskip(NEXT) | instid1(VALU_DEP_1)
	v_cndmask_b32_e64 v54, v19, 0x78, vcc_lo
	v_dual_add_nc_u32 v18, 20, v54 :: v_dual_add_nc_u32 v20, 19, v54
	s_delay_alu instid0(VALU_DEP_1) | instskip(NEXT) | instid1(VALU_DEP_2)
	v_lshlrev_b64_e64 v[18:19], v18, -1
	v_lshlrev_b64_e64 v[20:21], v20, 1
	s_delay_alu instid0(VALU_DEP_2) | instskip(NEXT) | instid1(VALU_DEP_3)
	v_bfi_b32 v19, v19, 0, 0
	v_bfi_b32 v18, v18, 0, v96
	s_delay_alu instid0(VALU_DEP_1) | instskip(SKIP_1) | instid1(VALU_DEP_1)
	v_cmp_eq_u64_e64 s10, v[18:19], v[20:21]
	v_lshrrev_b64 v[18:19], v54, v[96:97]
	v_mov_b64_e32 v[20:21], v[18:19]
	s_and_saveexec_b32 s40, s10
; %bb.1820:                             ;   in Loop: Header=BB6_128 Depth=2
	v_bfe_u32 v96, v18, 20, 1
	s_delay_alu instid0(VALU_DEP_1) | instskip(NEXT) | instid1(VALU_DEP_1)
	v_add_nc_u64_e32 v[20:21], v[18:19], v[96:97]
	v_add_nc_u64_e32 v[20:21], -1, v[20:21]
; %bb.1821:                             ;   in Loop: Header=BB6_128 Depth=2
	s_or_b32 exec_lo, exec_lo, s40
	v_add_nc_u32_e32 v19, 0xffffff81, v31
	v_lshrrev_b32_e32 v21, 23, v18
	s_mov_b32 s10, exec_lo
	s_delay_alu instid0(VALU_DEP_2) | instskip(NEXT) | instid1(VALU_DEP_1)
	v_cndmask_b32_e64 v19, v19, 0xffffff82, vcc_lo
	v_add3_u32 v31, v54, v19, v21
	v_and_b32_e32 v19, 0xfffff, v20
                                        ; implicit-def: $vgpr20
	s_delay_alu instid0(VALU_DEP_1) | instskip(NEXT) | instid1(VALU_DEP_1)
	v_dual_add_nc_u32 v21, 6, v31 :: v_dual_add_nc_u32 v96, v19, v18
                                        ; implicit-def: $vgpr18_vgpr19
	v_cmpx_ne_u32_e32 0, v21
	s_xor_b32 s10, exec_lo, s10
; %bb.1822:                             ;   in Loop: Header=BB6_128 Depth=2
	s_delay_alu instid0(VALU_DEP_2) | instskip(SKIP_1) | instid1(VALU_DEP_1)
	v_cmp_lt_u64_e32 vcc_lo, 0xffffff, v[96:97]
	v_add_nc_u32_e32 v18, 7, v31
	v_cndmask_b32_e32 v20, v21, v18, vcc_lo
	v_cndmask_b32_e64 v18, 0, 1, vcc_lo
	s_delay_alu instid0(VALU_DEP_1)
	v_lshrrev_b64 v[18:19], v18, v[96:97]
; %bb.1823:                             ;   in Loop: Header=BB6_128 Depth=2
	s_and_not1_saveexec_b32 s10, s10
; %bb.1824:                             ;   in Loop: Header=BB6_128 Depth=2
	v_mov_b64_e32 v[18:19], v[96:97]
	v_bfe_u32 v20, v96, 23, 1
; %bb.1825:                             ;   in Loop: Header=BB6_128 Depth=2
	s_or_b32 exec_lo, exec_lo, s10
	s_delay_alu instid0(VALU_DEP_2) | instskip(NEXT) | instid1(VALU_DEP_2)
	v_lshrrev_b64 v[18:19], 20, v[18:19]
	v_cmp_gt_i32_e32 vcc_lo, 16, v20
	v_min_i32_e32 v21, 15, v20
	v_cmp_eq_u32_e64 s10, 0, v20
	s_delay_alu instid0(VALU_DEP_2) | instskip(SKIP_1) | instid1(VALU_DEP_2)
	v_dual_cndmask_b32 v19, 0, v19, vcc_lo :: v_dual_lshlrev_b32 v21, 3, v21
	v_cndmask_b32_e32 v18, 7, v18, vcc_lo
	v_and_b32_e32 v21, 0xf8, v21
	s_delay_alu instid0(VALU_DEP_2) | instskip(NEXT) | instid1(VALU_DEP_2)
	v_cmp_eq_u64_e32 vcc_lo, 0, v[18:19]
	v_and_or_b32 v18, v18, 7, v21
	s_and_b32 s10, s10, vcc_lo
	s_delay_alu instid0(VALU_DEP_1) | instid1(SALU_CYCLE_1)
	v_cndmask_b32_e64 v18, v18, 0, s10
	s_delay_alu instid0(VALU_DEP_1)
	v_or_b32_e32 v18, v18, v72
.LBB6_1826:                             ;   in Loop: Header=BB6_128 Depth=2
	s_or_b32 exec_lo, exec_lo, s29
                                        ; implicit-def: $vgpr72
.LBB6_1827:                             ;   in Loop: Header=BB6_128 Depth=2
	s_and_not1_saveexec_b32 s10, s28
; %bb.1828:                             ;   in Loop: Header=BB6_128 Depth=2
	v_or_b32_e32 v18, 0x7e, v72
; %bb.1829:                             ;   in Loop: Header=BB6_128 Depth=2
	s_or_b32 exec_lo, exec_lo, s10
                                        ; implicit-def: $vgpr20
.LBB6_1830:                             ;   in Loop: Header=BB6_128 Depth=2
	s_and_not1_saveexec_b32 s10, s27
; %bb.1831:                             ;   in Loop: Header=BB6_128 Depth=2
	v_or_b32_e32 v18, 0x7f, v20
; %bb.1832:                             ;   in Loop: Header=BB6_128 Depth=2
	s_or_b32 exec_lo, exec_lo, s10
	v_cmp_lt_u64_e32 vcc_lo, s[14:15], v[14:15]
	v_dual_mov_b32 v14, 0 :: v_dual_mov_b32 v19, 0
	s_and_saveexec_b32 s10, vcc_lo
	s_cbranch_execz .LBB6_1840
; %bb.1833:                             ;   in Loop: Header=BB6_128 Depth=2
	v_lshrrev_b32_e32 v20, 24, v15
	v_bfrev_b32_e32 v19, 1
	s_mov_b32 s27, exec_lo
	s_delay_alu instid0(VALU_DEP_2)
	v_cmpx_ne_u32_e32 0x80, v20
	s_cbranch_execz .LBB6_1839
; %bb.1834:                             ;   in Loop: Header=BB6_128 Depth=2
	v_bfe_u32 v21, v15, 24, 7
	v_mov_b32_e32 v19, 0x7f800001
	s_mov_b32 s28, exec_lo
	s_delay_alu instid0(VALU_DEP_2)
	v_cmpx_ne_u32_e32 0x7f, v21
	s_cbranch_execz .LBB6_1838
; %bb.1835:                             ;   in Loop: Header=BB6_128 Depth=2
	v_dual_lshrrev_b32 v15, 3, v21 :: v_dual_bitop2_b32 v96, 7, v20 bitop3:0x40
	s_mov_b32 s29, exec_lo
	v_cmpx_gt_u32_e32 8, v21
; %bb.1836:                             ;   in Loop: Header=BB6_128 Depth=2
	s_delay_alu instid0(VALU_DEP_2) | instskip(NEXT) | instid1(VALU_DEP_1)
	v_clz_i32_u32_e32 v15, v96
	v_min_u32_e32 v15, 32, v15
	s_delay_alu instid0(VALU_DEP_1) | instskip(NEXT) | instid1(VALU_DEP_1)
	v_subrev_nc_u32_e32 v19, 28, v15
	v_lshlrev_b64_e32 v[54:55], v19, v[96:97]
	s_delay_alu instid0(VALU_DEP_1)
	v_dual_sub_nc_u32 v15, 29, v15 :: v_dual_bitop2_b32 v96, 7, v54 bitop3:0x40
; %bb.1837:                             ;   in Loop: Header=BB6_128 Depth=2
	s_or_b32 exec_lo, exec_lo, s29
	v_lshlrev_b32_e32 v19, 24, v20
	s_delay_alu instid0(VALU_DEP_2) | instskip(NEXT) | instid1(VALU_DEP_3)
	v_lshlrev_b32_e32 v20, 20, v96
	v_lshl_add_u32 v15, v15, 23, 0x3c000000
	s_delay_alu instid0(VALU_DEP_3) | instskip(NEXT) | instid1(VALU_DEP_1)
	v_and_b32_e32 v19, 0x80000000, v19
	v_or3_b32 v19, v20, v19, v15
.LBB6_1838:                             ;   in Loop: Header=BB6_128 Depth=2
	s_or_b32 exec_lo, exec_lo, s28
.LBB6_1839:                             ;   in Loop: Header=BB6_128 Depth=2
	s_delay_alu instid0(SALU_CYCLE_1)
	s_or_b32 exec_lo, exec_lo, s27
.LBB6_1840:                             ;   in Loop: Header=BB6_128 Depth=2
	s_delay_alu instid0(SALU_CYCLE_1) | instskip(NEXT) | instid1(SALU_CYCLE_1)
	s_or_b32 exec_lo, exec_lo, s10
	s_mov_b32 s10, exec_lo
	v_cmpx_lt_u64_e64 s[14:15], v[10:11]
	s_cbranch_execz .LBB6_1848
; %bb.1841:                             ;   in Loop: Header=BB6_128 Depth=2
	v_lshrrev_b32_e32 v10, 24, v11
	v_bfrev_b32_e32 v14, 1
	s_mov_b32 s27, exec_lo
	s_delay_alu instid0(VALU_DEP_2)
	v_cmpx_ne_u32_e32 0x80, v10
	s_cbranch_execz .LBB6_1847
; %bb.1842:                             ;   in Loop: Header=BB6_128 Depth=2
	v_bfe_u32 v15, v11, 24, 7
	v_mov_b32_e32 v14, 0x7f800001
	s_mov_b32 s28, exec_lo
	s_delay_alu instid0(VALU_DEP_2)
	v_cmpx_ne_u32_e32 0x7f, v15
	s_cbranch_execz .LBB6_1846
; %bb.1843:                             ;   in Loop: Header=BB6_128 Depth=2
	v_dual_lshrrev_b32 v11, 3, v15 :: v_dual_bitop2_b32 v96, 7, v10 bitop3:0x40
	s_mov_b32 s29, exec_lo
	v_cmpx_gt_u32_e32 8, v15
; %bb.1844:                             ;   in Loop: Header=BB6_128 Depth=2
	s_delay_alu instid0(VALU_DEP_2) | instskip(NEXT) | instid1(VALU_DEP_1)
	v_clz_i32_u32_e32 v11, v96
	v_min_u32_e32 v11, 32, v11
	s_delay_alu instid0(VALU_DEP_1) | instskip(NEXT) | instid1(VALU_DEP_1)
	v_subrev_nc_u32_e32 v14, 28, v11
	v_lshlrev_b64_e32 v[14:15], v14, v[96:97]
	s_delay_alu instid0(VALU_DEP_1)
	v_dual_sub_nc_u32 v11, 29, v11 :: v_dual_bitop2_b32 v96, 7, v14 bitop3:0x40
; %bb.1845:                             ;   in Loop: Header=BB6_128 Depth=2
	s_or_b32 exec_lo, exec_lo, s29
	s_delay_alu instid0(VALU_DEP_1) | instskip(NEXT) | instid1(VALU_DEP_2)
	v_dual_lshlrev_b32 v10, 24, v10 :: v_dual_lshlrev_b32 v14, 20, v96
	v_lshl_add_u32 v11, v11, 23, 0x3c000000
	s_delay_alu instid0(VALU_DEP_2) | instskip(NEXT) | instid1(VALU_DEP_1)
	v_and_b32_e32 v10, 0x80000000, v10
	v_or3_b32 v14, v14, v10, v11
.LBB6_1846:                             ;   in Loop: Header=BB6_128 Depth=2
	s_or_b32 exec_lo, exec_lo, s28
.LBB6_1847:                             ;   in Loop: Header=BB6_128 Depth=2
	s_delay_alu instid0(SALU_CYCLE_1)
	s_or_b32 exec_lo, exec_lo, s27
.LBB6_1848:                             ;   in Loop: Header=BB6_128 Depth=2
	s_delay_alu instid0(SALU_CYCLE_1) | instskip(NEXT) | instid1(VALU_DEP_1)
	s_or_b32 exec_lo, exec_lo, s10
	v_mul_f32_e32 v10, v19, v14
                                        ; implicit-def: $vgpr19
	s_mov_b32 s10, exec_lo
	s_delay_alu instid0(VALU_DEP_1) | instskip(SKIP_1) | instid1(VALU_DEP_2)
	v_and_b32_e32 v96, 0x7f800000, v10
	v_lshrrev_b32_e32 v11, 24, v10
	v_cmpx_ne_u64_e32 0x7f800000, v[96:97]
	s_xor_b32 s27, exec_lo, s10
	s_cbranch_execz .LBB6_1862
; %bb.1849:                             ;   in Loop: Header=BB6_128 Depth=2
	v_and_b32_e32 v96, 0x7fffffff, v10
	v_and_b32_e32 v20, 0x80, v11
                                        ; implicit-def: $vgpr19
	s_mov_b32 s10, exec_lo
	s_delay_alu instid0(VALU_DEP_2)
	v_cmpx_gt_u64_e32 0x43e00001, v[96:97]
	s_xor_b32 s28, exec_lo, s10
	s_cbranch_execz .LBB6_1859
; %bb.1850:                             ;   in Loop: Header=BB6_128 Depth=2
	v_mov_b32_e32 v19, 0
	s_mov_b32 s29, exec_lo
	v_cmpx_ne_u32_e32 0, v10
	s_cbranch_execz .LBB6_1858
; %bb.1851:                             ;   in Loop: Header=BB6_128 Depth=2
	v_bfe_u32 v19, v10, 23, 8
	v_and_b32_e32 v11, 0x7fffff, v10
	s_delay_alu instid0(VALU_DEP_2) | instskip(SKIP_2) | instid1(VALU_DEP_4)
	v_cmp_gt_u32_e64 s10, 0x7a, v19
	v_sub_nc_u32_e32 v10, 0x79, v19
	v_cmp_eq_u32_e32 vcc_lo, 0, v19
	v_or_b32_e32 v14, 0x800000, v11
	s_delay_alu instid0(VALU_DEP_1) | instskip(NEXT) | instid1(VALU_DEP_1)
	v_dual_cndmask_b32 v10, 0, v10, s10 :: v_dual_cndmask_b32 v96, v14, v11, vcc_lo
	v_cndmask_b32_e64 v21, v10, 0x78, vcc_lo
	s_delay_alu instid0(VALU_DEP_1) | instskip(NEXT) | instid1(VALU_DEP_1)
	v_dual_add_nc_u32 v10, 20, v21 :: v_dual_add_nc_u32 v14, 19, v21
	v_lshlrev_b64_e64 v[10:11], v10, -1
	s_delay_alu instid0(VALU_DEP_2) | instskip(NEXT) | instid1(VALU_DEP_2)
	v_lshlrev_b64_e64 v[14:15], v14, 1
	v_bfi_b32 v11, v11, 0, 0
	s_delay_alu instid0(VALU_DEP_3) | instskip(NEXT) | instid1(VALU_DEP_1)
	v_bfi_b32 v10, v10, 0, v96
	v_cmp_eq_u64_e64 s10, v[10:11], v[14:15]
	v_lshrrev_b64 v[10:11], v21, v[96:97]
	s_delay_alu instid0(VALU_DEP_1)
	v_mov_b64_e32 v[14:15], v[10:11]
	s_and_saveexec_b32 s40, s10
; %bb.1852:                             ;   in Loop: Header=BB6_128 Depth=2
	v_bfe_u32 v96, v10, 20, 1
	s_delay_alu instid0(VALU_DEP_1) | instskip(NEXT) | instid1(VALU_DEP_1)
	v_add_nc_u64_e32 v[14:15], v[10:11], v[96:97]
	v_add_nc_u64_e32 v[14:15], -1, v[14:15]
; %bb.1853:                             ;   in Loop: Header=BB6_128 Depth=2
	s_or_b32 exec_lo, exec_lo, s40
	v_add_nc_u32_e32 v11, 0xffffff81, v19
	v_lshrrev_b32_e32 v15, 23, v10
	s_mov_b32 s10, exec_lo
	s_delay_alu instid0(VALU_DEP_2) | instskip(NEXT) | instid1(VALU_DEP_1)
	v_cndmask_b32_e64 v11, v11, 0xffffff82, vcc_lo
	v_add3_u32 v19, v21, v11, v15
	v_and_b32_e32 v11, 0xfffff, v14
                                        ; implicit-def: $vgpr14
	s_delay_alu instid0(VALU_DEP_1) | instskip(NEXT) | instid1(VALU_DEP_1)
	v_dual_add_nc_u32 v15, 6, v19 :: v_dual_add_nc_u32 v96, v11, v10
                                        ; implicit-def: $vgpr10_vgpr11
	v_cmpx_ne_u32_e32 0, v15
	s_xor_b32 s10, exec_lo, s10
; %bb.1854:                             ;   in Loop: Header=BB6_128 Depth=2
	s_delay_alu instid0(VALU_DEP_2) | instskip(SKIP_1) | instid1(VALU_DEP_1)
	v_cmp_lt_u64_e32 vcc_lo, 0xffffff, v[96:97]
	v_add_nc_u32_e32 v10, 7, v19
	v_cndmask_b32_e32 v14, v15, v10, vcc_lo
	v_cndmask_b32_e64 v10, 0, 1, vcc_lo
	s_delay_alu instid0(VALU_DEP_1)
	v_lshrrev_b64 v[10:11], v10, v[96:97]
; %bb.1855:                             ;   in Loop: Header=BB6_128 Depth=2
	s_and_not1_saveexec_b32 s10, s10
; %bb.1856:                             ;   in Loop: Header=BB6_128 Depth=2
	v_mov_b64_e32 v[10:11], v[96:97]
	v_bfe_u32 v14, v96, 23, 1
; %bb.1857:                             ;   in Loop: Header=BB6_128 Depth=2
	s_or_b32 exec_lo, exec_lo, s10
	s_delay_alu instid0(VALU_DEP_2) | instskip(NEXT) | instid1(VALU_DEP_2)
	v_lshrrev_b64 v[10:11], 20, v[10:11]
	v_cmp_gt_i32_e32 vcc_lo, 16, v14
	v_min_i32_e32 v15, 15, v14
	v_cmp_eq_u32_e64 s10, 0, v14
	s_delay_alu instid0(VALU_DEP_4) | instskip(NEXT) | instid1(VALU_DEP_3)
	v_cndmask_b32_e32 v11, 0, v11, vcc_lo
	v_dual_cndmask_b32 v10, 7, v10 :: v_dual_lshlrev_b32 v15, 3, v15
	s_delay_alu instid0(VALU_DEP_1) | instskip(NEXT) | instid1(VALU_DEP_2)
	v_and_b32_e32 v15, 0xf8, v15
	v_cmp_eq_u64_e32 vcc_lo, 0, v[10:11]
	s_delay_alu instid0(VALU_DEP_2)
	v_and_or_b32 v10, v10, 7, v15
	s_and_b32 s10, s10, vcc_lo
	s_delay_alu instid0(VALU_DEP_1) | instid1(SALU_CYCLE_1)
	v_cndmask_b32_e64 v10, v10, 0, s10
	s_delay_alu instid0(VALU_DEP_1)
	v_or_b32_e32 v19, v10, v20
.LBB6_1858:                             ;   in Loop: Header=BB6_128 Depth=2
	s_or_b32 exec_lo, exec_lo, s29
                                        ; implicit-def: $vgpr20
.LBB6_1859:                             ;   in Loop: Header=BB6_128 Depth=2
	s_and_not1_saveexec_b32 s10, s28
; %bb.1860:                             ;   in Loop: Header=BB6_128 Depth=2
	v_or_b32_e32 v19, 0x7e, v20
; %bb.1861:                             ;   in Loop: Header=BB6_128 Depth=2
	s_or_b32 exec_lo, exec_lo, s10
                                        ; implicit-def: $vgpr11
.LBB6_1862:                             ;   in Loop: Header=BB6_128 Depth=2
	s_and_not1_saveexec_b32 s10, s27
; %bb.1863:                             ;   in Loop: Header=BB6_128 Depth=2
	v_or_b32_e32 v19, 0x7f, v11
; %bb.1864:                             ;   in Loop: Header=BB6_128 Depth=2
	s_or_b32 exec_lo, exec_lo, s10
	v_and_b32_e32 v14, 0xff, v16
	v_dual_mov_b32 v10, 0 :: v_dual_mov_b32 v11, 0
	s_mov_b32 s10, exec_lo
	s_delay_alu instid0(VALU_DEP_2)
	v_cmpx_ne_u16_e32 0, v14
	s_cbranch_execz .LBB6_1870
; %bb.1865:                             ;   in Loop: Header=BB6_128 Depth=2
	v_bfrev_b32_e32 v11, 1
	s_mov_b32 s27, exec_lo
	v_cmpx_ne_u16_e32 0x80, v14
	s_cbranch_execz .LBB6_1869
; %bb.1866:                             ;   in Loop: Header=BB6_128 Depth=2
	v_and_b32_e32 v14, 0x7f, v16
	v_mov_b32_e32 v11, 0x7f800001
	s_mov_b32 s28, exec_lo
	s_delay_alu instid0(VALU_DEP_2)
	v_cmpx_ne_u32_e32 0x7f, v14
	s_cbranch_execz .LBB6_1868
; %bb.1867:                             ;   in Loop: Header=BB6_128 Depth=2
	v_dual_lshrrev_b32 v15, 3, v14 :: v_dual_bitop2_b32 v11, 7, v16 bitop3:0x40
	v_cmp_gt_u32_e32 vcc_lo, 8, v14
	s_delay_alu instid0(VALU_DEP_2) | instskip(NEXT) | instid1(VALU_DEP_1)
	v_clz_i32_u32_e32 v11, v11
	v_min_u32_e32 v11, 32, v11
	s_delay_alu instid0(VALU_DEP_1) | instskip(NEXT) | instid1(VALU_DEP_1)
	v_subrev_nc_u32_e32 v14, 28, v11
	v_dual_cndmask_b32 v14, 0, v14 :: v_dual_sub_nc_u32 v11, 29, v11
	s_delay_alu instid0(VALU_DEP_1) | instskip(NEXT) | instid1(VALU_DEP_2)
	v_cndmask_b32_e32 v11, v15, v11, vcc_lo
	v_lshlrev_b64_e32 v[14:15], v14, v[16:17]
	v_lshlrev_b32_e32 v15, 24, v16
	s_delay_alu instid0(VALU_DEP_1) | instskip(NEXT) | instid1(VALU_DEP_3)
	v_and_b32_e32 v15, 0x80000000, v15
	v_lshlrev_b32_e32 v14, 20, v14
	v_lshl_add_u32 v11, v11, 23, 0x3c000000
	s_delay_alu instid0(VALU_DEP_2) | instskip(NEXT) | instid1(VALU_DEP_1)
	v_and_b32_e32 v14, 0x700000, v14
	v_or3_b32 v11, v14, v15, v11
.LBB6_1868:                             ;   in Loop: Header=BB6_128 Depth=2
	s_or_b32 exec_lo, exec_lo, s28
.LBB6_1869:                             ;   in Loop: Header=BB6_128 Depth=2
	s_delay_alu instid0(SALU_CYCLE_1)
	s_or_b32 exec_lo, exec_lo, s27
.LBB6_1870:                             ;   in Loop: Header=BB6_128 Depth=2
	s_delay_alu instid0(SALU_CYCLE_1) | instskip(SKIP_2) | instid1(VALU_DEP_1)
	s_or_b32 exec_lo, exec_lo, s10
	v_and_b32_e32 v14, 0xff, v12
	s_mov_b32 s10, exec_lo
	v_cmpx_ne_u16_e32 0, v14
	s_cbranch_execz .LBB6_1876
; %bb.1871:                             ;   in Loop: Header=BB6_128 Depth=2
	v_bfrev_b32_e32 v10, 1
	s_mov_b32 s27, exec_lo
	v_cmpx_ne_u16_e32 0x80, v14
	s_cbranch_execz .LBB6_1875
; %bb.1872:                             ;   in Loop: Header=BB6_128 Depth=2
	v_and_b32_e32 v14, 0x7f, v12
	v_mov_b32_e32 v10, 0x7f800001
	s_mov_b32 s28, exec_lo
	s_delay_alu instid0(VALU_DEP_2)
	v_cmpx_ne_u32_e32 0x7f, v14
	s_cbranch_execz .LBB6_1874
; %bb.1873:                             ;   in Loop: Header=BB6_128 Depth=2
	v_dual_lshrrev_b32 v15, 3, v14 :: v_dual_bitop2_b32 v10, 7, v12 bitop3:0x40
	v_cmp_gt_u32_e32 vcc_lo, 8, v14
	s_delay_alu instid0(VALU_DEP_2) | instskip(NEXT) | instid1(VALU_DEP_1)
	v_clz_i32_u32_e32 v10, v10
	v_min_u32_e32 v10, 32, v10
	s_delay_alu instid0(VALU_DEP_1) | instskip(SKIP_1) | instid1(VALU_DEP_2)
	v_subrev_nc_u32_e32 v14, 28, v10
	v_sub_nc_u32_e32 v10, 29, v10
	v_cndmask_b32_e32 v14, 0, v14, vcc_lo
	s_delay_alu instid0(VALU_DEP_2) | instskip(NEXT) | instid1(VALU_DEP_2)
	v_cndmask_b32_e32 v10, v15, v10, vcc_lo
	v_lshlrev_b64_e32 v[14:15], v14, v[12:13]
	v_lshlrev_b32_e32 v15, 24, v12
	s_delay_alu instid0(VALU_DEP_3) | instskip(NEXT) | instid1(VALU_DEP_2)
	v_lshl_add_u32 v10, v10, 23, 0x3c000000
	v_and_b32_e32 v15, 0x80000000, v15
	s_delay_alu instid0(VALU_DEP_4) | instskip(NEXT) | instid1(VALU_DEP_1)
	v_lshlrev_b32_e32 v14, 20, v14
	v_and_b32_e32 v14, 0x700000, v14
	s_delay_alu instid0(VALU_DEP_1)
	v_or3_b32 v10, v14, v15, v10
.LBB6_1874:                             ;   in Loop: Header=BB6_128 Depth=2
	s_or_b32 exec_lo, exec_lo, s28
.LBB6_1875:                             ;   in Loop: Header=BB6_128 Depth=2
	s_delay_alu instid0(SALU_CYCLE_1)
	s_or_b32 exec_lo, exec_lo, s27
.LBB6_1876:                             ;   in Loop: Header=BB6_128 Depth=2
	s_delay_alu instid0(SALU_CYCLE_1) | instskip(NEXT) | instid1(VALU_DEP_1)
	s_or_b32 exec_lo, exec_lo, s10
	v_mul_f32_e32 v10, v11, v10
                                        ; implicit-def: $vgpr20
	s_mov_b32 s10, exec_lo
	s_delay_alu instid0(VALU_DEP_1) | instskip(SKIP_1) | instid1(VALU_DEP_2)
	v_and_b32_e32 v96, 0x7f800000, v10
	v_lshrrev_b32_e32 v11, 24, v10
	v_cmpx_ne_u64_e32 0x7f800000, v[96:97]
	s_xor_b32 s27, exec_lo, s10
	s_cbranch_execz .LBB6_1890
; %bb.1877:                             ;   in Loop: Header=BB6_128 Depth=2
	v_and_b32_e32 v96, 0x7fffffff, v10
	v_and_b32_e32 v21, 0x80, v11
                                        ; implicit-def: $vgpr20
	s_mov_b32 s10, exec_lo
	s_delay_alu instid0(VALU_DEP_2)
	v_cmpx_gt_u64_e32 0x43e00001, v[96:97]
	s_xor_b32 s28, exec_lo, s10
	s_cbranch_execz .LBB6_1887
; %bb.1878:                             ;   in Loop: Header=BB6_128 Depth=2
	v_mov_b32_e32 v20, 0
	s_mov_b32 s29, exec_lo
	v_cmpx_ne_u32_e32 0, v10
	s_cbranch_execz .LBB6_1886
; %bb.1879:                             ;   in Loop: Header=BB6_128 Depth=2
	v_bfe_u32 v20, v10, 23, 8
	v_and_b32_e32 v11, 0x7fffff, v10
	s_delay_alu instid0(VALU_DEP_2) | instskip(SKIP_2) | instid1(VALU_DEP_4)
	v_cmp_gt_u32_e64 s10, 0x7a, v20
	v_sub_nc_u32_e32 v10, 0x79, v20
	v_cmp_eq_u32_e32 vcc_lo, 0, v20
	v_or_b32_e32 v14, 0x800000, v11
	s_delay_alu instid0(VALU_DEP_1) | instskip(NEXT) | instid1(VALU_DEP_1)
	v_dual_cndmask_b32 v10, 0, v10, s10 :: v_dual_cndmask_b32 v96, v14, v11, vcc_lo
	v_cndmask_b32_e64 v31, v10, 0x78, vcc_lo
	s_delay_alu instid0(VALU_DEP_1) | instskip(NEXT) | instid1(VALU_DEP_1)
	v_dual_add_nc_u32 v10, 20, v31 :: v_dual_add_nc_u32 v14, 19, v31
	v_lshlrev_b64_e64 v[10:11], v10, -1
	s_delay_alu instid0(VALU_DEP_2) | instskip(NEXT) | instid1(VALU_DEP_2)
	v_lshlrev_b64_e64 v[14:15], v14, 1
	v_bfi_b32 v11, v11, 0, 0
	s_delay_alu instid0(VALU_DEP_3) | instskip(NEXT) | instid1(VALU_DEP_1)
	v_bfi_b32 v10, v10, 0, v96
	v_cmp_eq_u64_e64 s10, v[10:11], v[14:15]
	v_lshrrev_b64 v[10:11], v31, v[96:97]
	s_delay_alu instid0(VALU_DEP_1)
	v_mov_b64_e32 v[14:15], v[10:11]
	s_and_saveexec_b32 s40, s10
; %bb.1880:                             ;   in Loop: Header=BB6_128 Depth=2
	v_bfe_u32 v96, v10, 20, 1
	s_delay_alu instid0(VALU_DEP_1) | instskip(NEXT) | instid1(VALU_DEP_1)
	v_add_nc_u64_e32 v[14:15], v[10:11], v[96:97]
	v_add_nc_u64_e32 v[14:15], -1, v[14:15]
; %bb.1881:                             ;   in Loop: Header=BB6_128 Depth=2
	s_or_b32 exec_lo, exec_lo, s40
	v_add_nc_u32_e32 v11, 0xffffff81, v20
	v_lshrrev_b32_e32 v15, 23, v10
	s_mov_b32 s10, exec_lo
	s_delay_alu instid0(VALU_DEP_2) | instskip(NEXT) | instid1(VALU_DEP_1)
	v_cndmask_b32_e64 v11, v11, 0xffffff82, vcc_lo
	v_add3_u32 v20, v31, v11, v15
	v_and_b32_e32 v11, 0xfffff, v14
                                        ; implicit-def: $vgpr14
	s_delay_alu instid0(VALU_DEP_1) | instskip(NEXT) | instid1(VALU_DEP_1)
	v_dual_add_nc_u32 v15, 6, v20 :: v_dual_add_nc_u32 v96, v11, v10
                                        ; implicit-def: $vgpr10_vgpr11
	v_cmpx_ne_u32_e32 0, v15
	s_xor_b32 s10, exec_lo, s10
; %bb.1882:                             ;   in Loop: Header=BB6_128 Depth=2
	s_delay_alu instid0(VALU_DEP_2) | instskip(SKIP_1) | instid1(VALU_DEP_1)
	v_cmp_lt_u64_e32 vcc_lo, 0xffffff, v[96:97]
	v_add_nc_u32_e32 v10, 7, v20
	v_cndmask_b32_e32 v14, v15, v10, vcc_lo
	v_cndmask_b32_e64 v10, 0, 1, vcc_lo
	s_delay_alu instid0(VALU_DEP_1)
	v_lshrrev_b64 v[10:11], v10, v[96:97]
; %bb.1883:                             ;   in Loop: Header=BB6_128 Depth=2
	s_and_not1_saveexec_b32 s10, s10
; %bb.1884:                             ;   in Loop: Header=BB6_128 Depth=2
	v_mov_b64_e32 v[10:11], v[96:97]
	v_bfe_u32 v14, v96, 23, 1
; %bb.1885:                             ;   in Loop: Header=BB6_128 Depth=2
	s_or_b32 exec_lo, exec_lo, s10
	s_delay_alu instid0(VALU_DEP_2) | instskip(NEXT) | instid1(VALU_DEP_2)
	v_lshrrev_b64 v[10:11], 20, v[10:11]
	v_cmp_gt_i32_e32 vcc_lo, 16, v14
	v_min_i32_e32 v15, 15, v14
	v_cmp_eq_u32_e64 s10, 0, v14
	s_delay_alu instid0(VALU_DEP_4) | instskip(NEXT) | instid1(VALU_DEP_3)
	v_cndmask_b32_e32 v11, 0, v11, vcc_lo
	v_dual_cndmask_b32 v10, 7, v10 :: v_dual_lshlrev_b32 v15, 3, v15
	s_delay_alu instid0(VALU_DEP_1) | instskip(NEXT) | instid1(VALU_DEP_2)
	v_and_b32_e32 v15, 0xf8, v15
	v_cmp_eq_u64_e32 vcc_lo, 0, v[10:11]
	s_delay_alu instid0(VALU_DEP_2)
	v_and_or_b32 v10, v10, 7, v15
	s_and_b32 s10, s10, vcc_lo
	s_delay_alu instid0(VALU_DEP_1) | instid1(SALU_CYCLE_1)
	v_cndmask_b32_e64 v10, v10, 0, s10
	s_delay_alu instid0(VALU_DEP_1)
	v_or_b32_e32 v20, v10, v21
.LBB6_1886:                             ;   in Loop: Header=BB6_128 Depth=2
	s_or_b32 exec_lo, exec_lo, s29
                                        ; implicit-def: $vgpr21
.LBB6_1887:                             ;   in Loop: Header=BB6_128 Depth=2
	s_and_not1_saveexec_b32 s10, s28
; %bb.1888:                             ;   in Loop: Header=BB6_128 Depth=2
	v_or_b32_e32 v20, 0x7e, v21
; %bb.1889:                             ;   in Loop: Header=BB6_128 Depth=2
	s_or_b32 exec_lo, exec_lo, s10
                                        ; implicit-def: $vgpr11
.LBB6_1890:                             ;   in Loop: Header=BB6_128 Depth=2
	s_and_not1_saveexec_b32 s10, s27
; %bb.1891:                             ;   in Loop: Header=BB6_128 Depth=2
	v_or_b32_e32 v20, 0x7f, v11
; %bb.1892:                             ;   in Loop: Header=BB6_128 Depth=2
	s_or_b32 exec_lo, exec_lo, s10
	v_lshrrev_b16 v14, 8, v16
	v_dual_mov_b32 v10, 0 :: v_dual_mov_b32 v11, 0
	s_mov_b32 s10, exec_lo
	s_delay_alu instid0(VALU_DEP_2)
	v_cmpx_ne_u16_e32 0, v14
	s_cbranch_execz .LBB6_1900
; %bb.1893:                             ;   in Loop: Header=BB6_128 Depth=2
	v_bfrev_b32_e32 v11, 1
	s_mov_b32 s27, exec_lo
	v_cmpx_ne_u16_e32 0x80, v14
	s_cbranch_execz .LBB6_1899
; %bb.1894:                             ;   in Loop: Header=BB6_128 Depth=2
	v_and_b32_e32 v15, 0xffff, v14
	v_mov_b32_e32 v11, 0x7f800001
	s_mov_b32 s28, exec_lo
	s_delay_alu instid0(VALU_DEP_2) | instskip(NEXT) | instid1(VALU_DEP_1)
	v_and_b32_e32 v14, 0x7f, v15
	v_cmpx_ne_u32_e32 0x7f, v14
	s_cbranch_execz .LBB6_1898
; %bb.1895:                             ;   in Loop: Header=BB6_128 Depth=2
	v_dual_lshrrev_b32 v11, 3, v14 :: v_dual_bitop2_b32 v96, 7, v15 bitop3:0x40
	s_mov_b32 s29, exec_lo
	v_cmpx_gt_u32_e32 8, v14
; %bb.1896:                             ;   in Loop: Header=BB6_128 Depth=2
	s_delay_alu instid0(VALU_DEP_2) | instskip(NEXT) | instid1(VALU_DEP_1)
	v_clz_i32_u32_e32 v11, v96
	v_min_u32_e32 v11, 32, v11
	s_delay_alu instid0(VALU_DEP_1) | instskip(NEXT) | instid1(VALU_DEP_1)
	v_subrev_nc_u32_e32 v14, 28, v11
	v_lshlrev_b64_e32 v[14:15], v14, v[96:97]
	s_delay_alu instid0(VALU_DEP_1)
	v_dual_sub_nc_u32 v11, 29, v11 :: v_dual_bitop2_b32 v96, 7, v14 bitop3:0x40
; %bb.1897:                             ;   in Loop: Header=BB6_128 Depth=2
	s_or_b32 exec_lo, exec_lo, s29
	v_lshlrev_b32_e32 v14, 16, v16
	s_delay_alu instid0(VALU_DEP_2) | instskip(NEXT) | instid1(VALU_DEP_3)
	v_lshlrev_b32_e32 v15, 20, v96
	v_lshl_add_u32 v11, v11, 23, 0x3c000000
	s_delay_alu instid0(VALU_DEP_3) | instskip(NEXT) | instid1(VALU_DEP_1)
	v_and_b32_e32 v14, 0x80000000, v14
	v_or3_b32 v11, v15, v14, v11
.LBB6_1898:                             ;   in Loop: Header=BB6_128 Depth=2
	s_or_b32 exec_lo, exec_lo, s28
.LBB6_1899:                             ;   in Loop: Header=BB6_128 Depth=2
	s_delay_alu instid0(SALU_CYCLE_1)
	s_or_b32 exec_lo, exec_lo, s27
.LBB6_1900:                             ;   in Loop: Header=BB6_128 Depth=2
	s_delay_alu instid0(SALU_CYCLE_1) | instskip(SKIP_2) | instid1(VALU_DEP_1)
	s_or_b32 exec_lo, exec_lo, s10
	v_lshrrev_b16 v14, 8, v12
	s_mov_b32 s10, exec_lo
	v_cmpx_ne_u16_e32 0, v14
	s_cbranch_execz .LBB6_1908
; %bb.1901:                             ;   in Loop: Header=BB6_128 Depth=2
	v_bfrev_b32_e32 v10, 1
	s_mov_b32 s27, exec_lo
	v_cmpx_ne_u16_e32 0x80, v14
	s_cbranch_execz .LBB6_1907
; %bb.1902:                             ;   in Loop: Header=BB6_128 Depth=2
	v_and_b32_e32 v15, 0xffff, v14
	v_mov_b32_e32 v10, 0x7f800001
	s_mov_b32 s28, exec_lo
	s_delay_alu instid0(VALU_DEP_2) | instskip(NEXT) | instid1(VALU_DEP_1)
	v_and_b32_e32 v14, 0x7f, v15
	v_cmpx_ne_u32_e32 0x7f, v14
	s_cbranch_execz .LBB6_1906
; %bb.1903:                             ;   in Loop: Header=BB6_128 Depth=2
	v_dual_lshrrev_b32 v10, 3, v14 :: v_dual_bitop2_b32 v96, 7, v15 bitop3:0x40
	s_mov_b32 s29, exec_lo
	v_cmpx_gt_u32_e32 8, v14
; %bb.1904:                             ;   in Loop: Header=BB6_128 Depth=2
	s_delay_alu instid0(VALU_DEP_2) | instskip(NEXT) | instid1(VALU_DEP_1)
	v_clz_i32_u32_e32 v10, v96
	v_min_u32_e32 v10, 32, v10
	s_delay_alu instid0(VALU_DEP_1) | instskip(SKIP_1) | instid1(VALU_DEP_2)
	v_subrev_nc_u32_e32 v14, 28, v10
	v_sub_nc_u32_e32 v10, 29, v10
	v_lshlrev_b64_e32 v[14:15], v14, v[96:97]
	s_delay_alu instid0(VALU_DEP_1)
	v_and_b32_e32 v96, 7, v14
; %bb.1905:                             ;   in Loop: Header=BB6_128 Depth=2
	s_or_b32 exec_lo, exec_lo, s29
	v_lshlrev_b32_e32 v14, 16, v12
	s_delay_alu instid0(VALU_DEP_2) | instskip(SKIP_1) | instid1(VALU_DEP_3)
	v_lshlrev_b32_e32 v15, 20, v96
	v_lshl_add_u32 v10, v10, 23, 0x3c000000
	v_and_b32_e32 v14, 0x80000000, v14
	s_delay_alu instid0(VALU_DEP_1)
	v_or3_b32 v10, v15, v14, v10
.LBB6_1906:                             ;   in Loop: Header=BB6_128 Depth=2
	s_or_b32 exec_lo, exec_lo, s28
.LBB6_1907:                             ;   in Loop: Header=BB6_128 Depth=2
	s_delay_alu instid0(SALU_CYCLE_1)
	s_or_b32 exec_lo, exec_lo, s27
.LBB6_1908:                             ;   in Loop: Header=BB6_128 Depth=2
	s_delay_alu instid0(SALU_CYCLE_1) | instskip(NEXT) | instid1(VALU_DEP_1)
	s_or_b32 exec_lo, exec_lo, s10
	v_mul_f32_e32 v10, v11, v10
                                        ; implicit-def: $vgpr21
	s_mov_b32 s10, exec_lo
	s_delay_alu instid0(VALU_DEP_1) | instskip(SKIP_1) | instid1(VALU_DEP_2)
	v_and_b32_e32 v96, 0x7f800000, v10
	v_lshrrev_b32_e32 v11, 24, v10
	v_cmpx_ne_u64_e32 0x7f800000, v[96:97]
	s_xor_b32 s27, exec_lo, s10
	s_cbranch_execz .LBB6_1922
; %bb.1909:                             ;   in Loop: Header=BB6_128 Depth=2
	v_and_b32_e32 v96, 0x7fffffff, v10
	v_and_b32_e32 v72, 0x80, v11
                                        ; implicit-def: $vgpr21
	s_mov_b32 s10, exec_lo
	s_delay_alu instid0(VALU_DEP_2)
	v_cmpx_gt_u64_e32 0x43e00001, v[96:97]
	s_xor_b32 s28, exec_lo, s10
	s_cbranch_execz .LBB6_1919
; %bb.1910:                             ;   in Loop: Header=BB6_128 Depth=2
	v_mov_b32_e32 v21, 0
	s_mov_b32 s29, exec_lo
	v_cmpx_ne_u32_e32 0, v10
	s_cbranch_execz .LBB6_1918
; %bb.1911:                             ;   in Loop: Header=BB6_128 Depth=2
	v_bfe_u32 v21, v10, 23, 8
	v_and_b32_e32 v11, 0x7fffff, v10
	s_delay_alu instid0(VALU_DEP_2) | instskip(SKIP_2) | instid1(VALU_DEP_4)
	v_cmp_gt_u32_e64 s10, 0x7a, v21
	v_sub_nc_u32_e32 v10, 0x79, v21
	v_cmp_eq_u32_e32 vcc_lo, 0, v21
	v_or_b32_e32 v14, 0x800000, v11
	s_delay_alu instid0(VALU_DEP_1) | instskip(NEXT) | instid1(VALU_DEP_1)
	v_dual_cndmask_b32 v10, 0, v10, s10 :: v_dual_cndmask_b32 v96, v14, v11, vcc_lo
	v_cndmask_b32_e64 v31, v10, 0x78, vcc_lo
	s_delay_alu instid0(VALU_DEP_1) | instskip(NEXT) | instid1(VALU_DEP_1)
	v_dual_add_nc_u32 v10, 20, v31 :: v_dual_add_nc_u32 v14, 19, v31
	v_lshlrev_b64_e64 v[10:11], v10, -1
	s_delay_alu instid0(VALU_DEP_2) | instskip(NEXT) | instid1(VALU_DEP_2)
	v_lshlrev_b64_e64 v[14:15], v14, 1
	v_bfi_b32 v11, v11, 0, 0
	s_delay_alu instid0(VALU_DEP_3) | instskip(NEXT) | instid1(VALU_DEP_1)
	v_bfi_b32 v10, v10, 0, v96
	v_cmp_eq_u64_e64 s10, v[10:11], v[14:15]
	v_lshrrev_b64 v[10:11], v31, v[96:97]
	s_delay_alu instid0(VALU_DEP_1)
	v_mov_b64_e32 v[14:15], v[10:11]
	s_and_saveexec_b32 s40, s10
; %bb.1912:                             ;   in Loop: Header=BB6_128 Depth=2
	v_bfe_u32 v96, v10, 20, 1
	s_delay_alu instid0(VALU_DEP_1) | instskip(NEXT) | instid1(VALU_DEP_1)
	v_add_nc_u64_e32 v[14:15], v[10:11], v[96:97]
	v_add_nc_u64_e32 v[14:15], -1, v[14:15]
; %bb.1913:                             ;   in Loop: Header=BB6_128 Depth=2
	s_or_b32 exec_lo, exec_lo, s40
	v_add_nc_u32_e32 v11, 0xffffff81, v21
	v_lshrrev_b32_e32 v15, 23, v10
	s_mov_b32 s10, exec_lo
	s_delay_alu instid0(VALU_DEP_2) | instskip(NEXT) | instid1(VALU_DEP_1)
	v_cndmask_b32_e64 v11, v11, 0xffffff82, vcc_lo
	v_add3_u32 v21, v31, v11, v15
	v_and_b32_e32 v11, 0xfffff, v14
                                        ; implicit-def: $vgpr14
	s_delay_alu instid0(VALU_DEP_1) | instskip(NEXT) | instid1(VALU_DEP_1)
	v_dual_add_nc_u32 v15, 6, v21 :: v_dual_add_nc_u32 v96, v11, v10
                                        ; implicit-def: $vgpr10_vgpr11
	v_cmpx_ne_u32_e32 0, v15
	s_xor_b32 s10, exec_lo, s10
; %bb.1914:                             ;   in Loop: Header=BB6_128 Depth=2
	s_delay_alu instid0(VALU_DEP_2) | instskip(SKIP_1) | instid1(VALU_DEP_1)
	v_cmp_lt_u64_e32 vcc_lo, 0xffffff, v[96:97]
	v_add_nc_u32_e32 v10, 7, v21
	v_cndmask_b32_e32 v14, v15, v10, vcc_lo
	v_cndmask_b32_e64 v10, 0, 1, vcc_lo
	s_delay_alu instid0(VALU_DEP_1)
	v_lshrrev_b64 v[10:11], v10, v[96:97]
; %bb.1915:                             ;   in Loop: Header=BB6_128 Depth=2
	s_and_not1_saveexec_b32 s10, s10
; %bb.1916:                             ;   in Loop: Header=BB6_128 Depth=2
	v_mov_b64_e32 v[10:11], v[96:97]
	v_bfe_u32 v14, v96, 23, 1
; %bb.1917:                             ;   in Loop: Header=BB6_128 Depth=2
	s_or_b32 exec_lo, exec_lo, s10
	s_delay_alu instid0(VALU_DEP_2) | instskip(NEXT) | instid1(VALU_DEP_2)
	v_lshrrev_b64 v[10:11], 20, v[10:11]
	v_cmp_gt_i32_e32 vcc_lo, 16, v14
	v_min_i32_e32 v15, 15, v14
	v_cmp_eq_u32_e64 s10, 0, v14
	s_delay_alu instid0(VALU_DEP_4) | instskip(NEXT) | instid1(VALU_DEP_3)
	v_cndmask_b32_e32 v11, 0, v11, vcc_lo
	v_dual_cndmask_b32 v10, 7, v10 :: v_dual_lshlrev_b32 v15, 3, v15
	s_delay_alu instid0(VALU_DEP_1) | instskip(NEXT) | instid1(VALU_DEP_2)
	v_and_b32_e32 v15, 0xf8, v15
	v_cmp_eq_u64_e32 vcc_lo, 0, v[10:11]
	s_delay_alu instid0(VALU_DEP_2)
	v_and_or_b32 v10, v10, 7, v15
	s_and_b32 s10, s10, vcc_lo
	s_delay_alu instid0(VALU_DEP_1) | instid1(SALU_CYCLE_1)
	v_cndmask_b32_e64 v10, v10, 0, s10
	s_delay_alu instid0(VALU_DEP_1)
	v_or_b32_e32 v21, v10, v72
.LBB6_1918:                             ;   in Loop: Header=BB6_128 Depth=2
	s_or_b32 exec_lo, exec_lo, s29
                                        ; implicit-def: $vgpr72
.LBB6_1919:                             ;   in Loop: Header=BB6_128 Depth=2
	s_and_not1_saveexec_b32 s10, s28
; %bb.1920:                             ;   in Loop: Header=BB6_128 Depth=2
	v_or_b32_e32 v21, 0x7e, v72
; %bb.1921:                             ;   in Loop: Header=BB6_128 Depth=2
	s_or_b32 exec_lo, exec_lo, s10
                                        ; implicit-def: $vgpr11
.LBB6_1922:                             ;   in Loop: Header=BB6_128 Depth=2
	s_and_not1_saveexec_b32 s10, s27
; %bb.1923:                             ;   in Loop: Header=BB6_128 Depth=2
	v_or_b32_e32 v21, 0x7f, v11
; %bb.1924:                             ;   in Loop: Header=BB6_128 Depth=2
	s_or_b32 exec_lo, exec_lo, s10
	v_dual_lshrrev_b32 v14, 16, v16 :: v_dual_mov_b32 v10, 0
	v_mov_b32_e32 v11, 0
	s_mov_b32 s10, exec_lo
	s_delay_alu instid0(VALU_DEP_2) | instskip(NEXT) | instid1(VALU_DEP_1)
	v_and_b32_e32 v15, 0xff, v14
	v_cmpx_ne_u16_e32 0, v15
	s_cbranch_execz .LBB6_1932
; %bb.1925:                             ;   in Loop: Header=BB6_128 Depth=2
	v_bfrev_b32_e32 v11, 1
	s_mov_b32 s27, exec_lo
	v_cmpx_ne_u16_e32 0x80, v15
	s_cbranch_execz .LBB6_1931
; %bb.1926:                             ;   in Loop: Header=BB6_128 Depth=2
	v_bfe_u32 v15, v16, 16, 7
	v_mov_b32_e32 v11, 0x7f800001
	s_mov_b32 s28, exec_lo
	s_delay_alu instid0(VALU_DEP_2)
	v_cmpx_ne_u32_e32 0x7f, v15
	s_cbranch_execz .LBB6_1930
; %bb.1927:                             ;   in Loop: Header=BB6_128 Depth=2
	v_dual_lshrrev_b32 v11, 3, v15 :: v_dual_bitop2_b32 v96, 7, v14 bitop3:0x40
	s_mov_b32 s29, exec_lo
	v_cmpx_gt_u32_e32 8, v15
; %bb.1928:                             ;   in Loop: Header=BB6_128 Depth=2
	s_delay_alu instid0(VALU_DEP_2) | instskip(NEXT) | instid1(VALU_DEP_1)
	v_clz_i32_u32_e32 v11, v96
	v_min_u32_e32 v11, 32, v11
	s_delay_alu instid0(VALU_DEP_1) | instskip(NEXT) | instid1(VALU_DEP_1)
	v_subrev_nc_u32_e32 v15, 28, v11
	v_lshlrev_b64_e32 v[54:55], v15, v[96:97]
	s_delay_alu instid0(VALU_DEP_1)
	v_dual_sub_nc_u32 v11, 29, v11 :: v_dual_bitop2_b32 v96, 7, v54 bitop3:0x40
; %bb.1929:                             ;   in Loop: Header=BB6_128 Depth=2
	s_or_b32 exec_lo, exec_lo, s29
	s_delay_alu instid0(VALU_DEP_1) | instskip(NEXT) | instid1(VALU_DEP_2)
	v_dual_lshlrev_b32 v14, 24, v14 :: v_dual_lshlrev_b32 v15, 20, v96
	v_lshl_add_u32 v11, v11, 23, 0x3c000000
	s_delay_alu instid0(VALU_DEP_2) | instskip(NEXT) | instid1(VALU_DEP_1)
	v_and_b32_e32 v14, 0x80000000, v14
	v_or3_b32 v11, v15, v14, v11
.LBB6_1930:                             ;   in Loop: Header=BB6_128 Depth=2
	s_or_b32 exec_lo, exec_lo, s28
.LBB6_1931:                             ;   in Loop: Header=BB6_128 Depth=2
	s_delay_alu instid0(SALU_CYCLE_1)
	s_or_b32 exec_lo, exec_lo, s27
.LBB6_1932:                             ;   in Loop: Header=BB6_128 Depth=2
	s_delay_alu instid0(SALU_CYCLE_1) | instskip(SKIP_2) | instid1(VALU_DEP_1)
	s_or_b32 exec_lo, exec_lo, s10
	v_lshrrev_b32_e32 v14, 16, v12
	s_mov_b32 s10, exec_lo
	v_and_b32_e32 v15, 0xff, v14
	s_delay_alu instid0(VALU_DEP_1)
	v_cmpx_ne_u16_e32 0, v15
	s_cbranch_execz .LBB6_1940
; %bb.1933:                             ;   in Loop: Header=BB6_128 Depth=2
	v_bfrev_b32_e32 v10, 1
	s_mov_b32 s27, exec_lo
	v_cmpx_ne_u16_e32 0x80, v15
	s_cbranch_execz .LBB6_1939
; %bb.1934:                             ;   in Loop: Header=BB6_128 Depth=2
	v_bfe_u32 v15, v12, 16, 7
	v_mov_b32_e32 v10, 0x7f800001
	s_mov_b32 s28, exec_lo
	s_delay_alu instid0(VALU_DEP_2)
	v_cmpx_ne_u32_e32 0x7f, v15
	s_cbranch_execz .LBB6_1938
; %bb.1935:                             ;   in Loop: Header=BB6_128 Depth=2
	v_dual_lshrrev_b32 v10, 3, v15 :: v_dual_bitop2_b32 v96, 7, v14 bitop3:0x40
	s_mov_b32 s29, exec_lo
	v_cmpx_gt_u32_e32 8, v15
; %bb.1936:                             ;   in Loop: Header=BB6_128 Depth=2
	s_delay_alu instid0(VALU_DEP_2) | instskip(NEXT) | instid1(VALU_DEP_1)
	v_clz_i32_u32_e32 v10, v96
	v_min_u32_e32 v10, 32, v10
	s_delay_alu instid0(VALU_DEP_1) | instskip(SKIP_1) | instid1(VALU_DEP_2)
	v_subrev_nc_u32_e32 v14, 28, v10
	v_sub_nc_u32_e32 v10, 29, v10
	v_lshlrev_b64_e32 v[14:15], v14, v[96:97]
	s_delay_alu instid0(VALU_DEP_1)
	v_and_b32_e32 v96, 7, v14
; %bb.1937:                             ;   in Loop: Header=BB6_128 Depth=2
	s_or_b32 exec_lo, exec_lo, s29
	v_lshlrev_b32_e32 v14, 8, v12
	s_delay_alu instid0(VALU_DEP_2) | instskip(SKIP_1) | instid1(VALU_DEP_3)
	v_lshlrev_b32_e32 v15, 20, v96
	v_lshl_add_u32 v10, v10, 23, 0x3c000000
	v_and_b32_e32 v14, 0x80000000, v14
	s_delay_alu instid0(VALU_DEP_1)
	v_or3_b32 v10, v15, v14, v10
.LBB6_1938:                             ;   in Loop: Header=BB6_128 Depth=2
	s_or_b32 exec_lo, exec_lo, s28
.LBB6_1939:                             ;   in Loop: Header=BB6_128 Depth=2
	s_delay_alu instid0(SALU_CYCLE_1)
	s_or_b32 exec_lo, exec_lo, s27
.LBB6_1940:                             ;   in Loop: Header=BB6_128 Depth=2
	s_delay_alu instid0(SALU_CYCLE_1) | instskip(NEXT) | instid1(VALU_DEP_1)
	s_or_b32 exec_lo, exec_lo, s10
	v_mul_f32_e32 v10, v11, v10
                                        ; implicit-def: $vgpr72
	s_mov_b32 s10, exec_lo
	s_delay_alu instid0(VALU_DEP_1) | instskip(SKIP_1) | instid1(VALU_DEP_2)
	v_and_b32_e32 v96, 0x7f800000, v10
	v_lshrrev_b32_e32 v11, 24, v10
	v_cmpx_ne_u64_e32 0x7f800000, v[96:97]
	s_xor_b32 s27, exec_lo, s10
	s_cbranch_execz .LBB6_1954
; %bb.1941:                             ;   in Loop: Header=BB6_128 Depth=2
	v_and_b32_e32 v96, 0x7fffffff, v10
	v_and_b32_e32 v73, 0x80, v11
                                        ; implicit-def: $vgpr72
	s_mov_b32 s10, exec_lo
	s_delay_alu instid0(VALU_DEP_2)
	v_cmpx_gt_u64_e32 0x43e00001, v[96:97]
	s_xor_b32 s28, exec_lo, s10
	s_cbranch_execz .LBB6_1951
; %bb.1942:                             ;   in Loop: Header=BB6_128 Depth=2
	v_mov_b32_e32 v72, 0
	s_mov_b32 s29, exec_lo
	v_cmpx_ne_u32_e32 0, v10
	s_cbranch_execz .LBB6_1950
; %bb.1943:                             ;   in Loop: Header=BB6_128 Depth=2
	v_bfe_u32 v31, v10, 23, 8
	v_and_b32_e32 v11, 0x7fffff, v10
	s_delay_alu instid0(VALU_DEP_2) | instskip(SKIP_2) | instid1(VALU_DEP_4)
	v_cmp_gt_u32_e64 s10, 0x7a, v31
	v_sub_nc_u32_e32 v10, 0x79, v31
	v_cmp_eq_u32_e32 vcc_lo, 0, v31
	v_or_b32_e32 v14, 0x800000, v11
	s_delay_alu instid0(VALU_DEP_1) | instskip(NEXT) | instid1(VALU_DEP_1)
	v_dual_cndmask_b32 v10, 0, v10, s10 :: v_dual_cndmask_b32 v96, v14, v11, vcc_lo
	v_cndmask_b32_e64 v54, v10, 0x78, vcc_lo
	s_delay_alu instid0(VALU_DEP_1) | instskip(NEXT) | instid1(VALU_DEP_1)
	v_dual_add_nc_u32 v10, 20, v54 :: v_dual_add_nc_u32 v14, 19, v54
	v_lshlrev_b64_e64 v[10:11], v10, -1
	s_delay_alu instid0(VALU_DEP_2) | instskip(NEXT) | instid1(VALU_DEP_2)
	v_lshlrev_b64_e64 v[14:15], v14, 1
	v_bfi_b32 v11, v11, 0, 0
	s_delay_alu instid0(VALU_DEP_3) | instskip(NEXT) | instid1(VALU_DEP_1)
	v_bfi_b32 v10, v10, 0, v96
	v_cmp_eq_u64_e64 s10, v[10:11], v[14:15]
	v_lshrrev_b64 v[10:11], v54, v[96:97]
	s_delay_alu instid0(VALU_DEP_1)
	v_mov_b64_e32 v[14:15], v[10:11]
	s_and_saveexec_b32 s40, s10
; %bb.1944:                             ;   in Loop: Header=BB6_128 Depth=2
	v_bfe_u32 v96, v10, 20, 1
	s_delay_alu instid0(VALU_DEP_1) | instskip(NEXT) | instid1(VALU_DEP_1)
	v_add_nc_u64_e32 v[14:15], v[10:11], v[96:97]
	v_add_nc_u64_e32 v[14:15], -1, v[14:15]
; %bb.1945:                             ;   in Loop: Header=BB6_128 Depth=2
	s_or_b32 exec_lo, exec_lo, s40
	v_add_nc_u32_e32 v11, 0xffffff81, v31
	v_lshrrev_b32_e32 v15, 23, v10
	s_mov_b32 s10, exec_lo
	s_delay_alu instid0(VALU_DEP_2) | instskip(NEXT) | instid1(VALU_DEP_1)
	v_cndmask_b32_e64 v11, v11, 0xffffff82, vcc_lo
	v_add3_u32 v31, v54, v11, v15
	v_and_b32_e32 v11, 0xfffff, v14
                                        ; implicit-def: $vgpr14
	s_delay_alu instid0(VALU_DEP_1) | instskip(NEXT) | instid1(VALU_DEP_1)
	v_dual_add_nc_u32 v15, 6, v31 :: v_dual_add_nc_u32 v96, v11, v10
                                        ; implicit-def: $vgpr10_vgpr11
	v_cmpx_ne_u32_e32 0, v15
	s_xor_b32 s10, exec_lo, s10
; %bb.1946:                             ;   in Loop: Header=BB6_128 Depth=2
	s_delay_alu instid0(VALU_DEP_2) | instskip(SKIP_1) | instid1(VALU_DEP_1)
	v_cmp_lt_u64_e32 vcc_lo, 0xffffff, v[96:97]
	v_add_nc_u32_e32 v10, 7, v31
	v_cndmask_b32_e32 v14, v15, v10, vcc_lo
	v_cndmask_b32_e64 v10, 0, 1, vcc_lo
	s_delay_alu instid0(VALU_DEP_1)
	v_lshrrev_b64 v[10:11], v10, v[96:97]
; %bb.1947:                             ;   in Loop: Header=BB6_128 Depth=2
	s_and_not1_saveexec_b32 s10, s10
; %bb.1948:                             ;   in Loop: Header=BB6_128 Depth=2
	v_mov_b64_e32 v[10:11], v[96:97]
	v_bfe_u32 v14, v96, 23, 1
; %bb.1949:                             ;   in Loop: Header=BB6_128 Depth=2
	s_or_b32 exec_lo, exec_lo, s10
	s_delay_alu instid0(VALU_DEP_2) | instskip(NEXT) | instid1(VALU_DEP_2)
	v_lshrrev_b64 v[10:11], 20, v[10:11]
	v_cmp_gt_i32_e32 vcc_lo, 16, v14
	v_min_i32_e32 v15, 15, v14
	v_cmp_eq_u32_e64 s10, 0, v14
	s_delay_alu instid0(VALU_DEP_4) | instskip(NEXT) | instid1(VALU_DEP_3)
	v_cndmask_b32_e32 v11, 0, v11, vcc_lo
	v_dual_cndmask_b32 v10, 7, v10 :: v_dual_lshlrev_b32 v15, 3, v15
	s_delay_alu instid0(VALU_DEP_1) | instskip(NEXT) | instid1(VALU_DEP_2)
	v_and_b32_e32 v15, 0xf8, v15
	v_cmp_eq_u64_e32 vcc_lo, 0, v[10:11]
	s_delay_alu instid0(VALU_DEP_2)
	v_and_or_b32 v10, v10, 7, v15
	s_and_b32 s10, s10, vcc_lo
	s_delay_alu instid0(VALU_DEP_1) | instid1(SALU_CYCLE_1)
	v_cndmask_b32_e64 v10, v10, 0, s10
	s_delay_alu instid0(VALU_DEP_1)
	v_or_b32_e32 v72, v10, v73
.LBB6_1950:                             ;   in Loop: Header=BB6_128 Depth=2
	s_or_b32 exec_lo, exec_lo, s29
                                        ; implicit-def: $vgpr73
.LBB6_1951:                             ;   in Loop: Header=BB6_128 Depth=2
	s_and_not1_saveexec_b32 s10, s28
; %bb.1952:                             ;   in Loop: Header=BB6_128 Depth=2
	v_or_b32_e32 v72, 0x7e, v73
; %bb.1953:                             ;   in Loop: Header=BB6_128 Depth=2
	s_or_b32 exec_lo, exec_lo, s10
                                        ; implicit-def: $vgpr11
.LBB6_1954:                             ;   in Loop: Header=BB6_128 Depth=2
	s_and_not1_saveexec_b32 s10, s27
; %bb.1955:                             ;   in Loop: Header=BB6_128 Depth=2
	v_or_b32_e32 v72, 0x7f, v11
; %bb.1956:                             ;   in Loop: Header=BB6_128 Depth=2
	s_or_b32 exec_lo, exec_lo, s10
	v_dual_mov_b32 v10, 0 :: v_dual_mov_b32 v11, 0
	s_mov_b32 s10, exec_lo
	v_cmpx_lt_u32_e32 0xffffff, v16
	s_cbranch_execz .LBB6_1964
; %bb.1957:                             ;   in Loop: Header=BB6_128 Depth=2
	v_lshrrev_b32_e32 v14, 24, v16
	v_bfrev_b32_e32 v11, 1
	s_mov_b32 s27, exec_lo
	s_delay_alu instid0(VALU_DEP_2)
	v_cmpx_ne_u32_e32 0x80, v14
	s_cbranch_execz .LBB6_1963
; %bb.1958:                             ;   in Loop: Header=BB6_128 Depth=2
	v_bfe_u32 v15, v16, 24, 7
	v_mov_b32_e32 v11, 0x7f800001
	s_mov_b32 s28, exec_lo
	s_delay_alu instid0(VALU_DEP_2)
	v_cmpx_ne_u32_e32 0x7f, v15
	s_cbranch_execz .LBB6_1962
; %bb.1959:                             ;   in Loop: Header=BB6_128 Depth=2
	v_dual_lshrrev_b32 v11, 3, v15 :: v_dual_bitop2_b32 v96, 7, v14 bitop3:0x40
	s_mov_b32 s29, exec_lo
	v_cmpx_gt_u32_e32 8, v15
; %bb.1960:                             ;   in Loop: Header=BB6_128 Depth=2
	s_delay_alu instid0(VALU_DEP_2) | instskip(NEXT) | instid1(VALU_DEP_1)
	v_clz_i32_u32_e32 v11, v96
	v_min_u32_e32 v11, 32, v11
	s_delay_alu instid0(VALU_DEP_1) | instskip(NEXT) | instid1(VALU_DEP_1)
	v_subrev_nc_u32_e32 v15, 28, v11
	v_lshlrev_b64_e32 v[54:55], v15, v[96:97]
	s_delay_alu instid0(VALU_DEP_1)
	v_dual_sub_nc_u32 v11, 29, v11 :: v_dual_bitop2_b32 v96, 7, v54 bitop3:0x40
; %bb.1961:                             ;   in Loop: Header=BB6_128 Depth=2
	s_or_b32 exec_lo, exec_lo, s29
	s_delay_alu instid0(VALU_DEP_1) | instskip(NEXT) | instid1(VALU_DEP_2)
	v_dual_lshlrev_b32 v14, 24, v14 :: v_dual_lshlrev_b32 v15, 20, v96
	v_lshl_add_u32 v11, v11, 23, 0x3c000000
	s_delay_alu instid0(VALU_DEP_2) | instskip(NEXT) | instid1(VALU_DEP_1)
	v_and_b32_e32 v14, 0x80000000, v14
	v_or3_b32 v11, v15, v14, v11
.LBB6_1962:                             ;   in Loop: Header=BB6_128 Depth=2
	s_or_b32 exec_lo, exec_lo, s28
.LBB6_1963:                             ;   in Loop: Header=BB6_128 Depth=2
	s_delay_alu instid0(SALU_CYCLE_1)
	s_or_b32 exec_lo, exec_lo, s27
.LBB6_1964:                             ;   in Loop: Header=BB6_128 Depth=2
	s_delay_alu instid0(SALU_CYCLE_1) | instskip(NEXT) | instid1(SALU_CYCLE_1)
	s_or_b32 exec_lo, exec_lo, s10
	s_mov_b32 s10, exec_lo
	v_cmpx_lt_u32_e32 0xffffff, v12
	s_cbranch_execz .LBB6_1972
; %bb.1965:                             ;   in Loop: Header=BB6_128 Depth=2
	v_lshrrev_b32_e32 v14, 24, v12
	v_bfrev_b32_e32 v10, 1
	s_mov_b32 s27, exec_lo
	s_delay_alu instid0(VALU_DEP_2)
	v_cmpx_ne_u32_e32 0x80, v14
	s_cbranch_execz .LBB6_1971
; %bb.1966:                             ;   in Loop: Header=BB6_128 Depth=2
	v_bfe_u32 v15, v12, 24, 7
	v_mov_b32_e32 v10, 0x7f800001
	s_mov_b32 s28, exec_lo
	s_delay_alu instid0(VALU_DEP_2)
	v_cmpx_ne_u32_e32 0x7f, v15
	s_cbranch_execz .LBB6_1970
; %bb.1967:                             ;   in Loop: Header=BB6_128 Depth=2
	v_dual_lshrrev_b32 v10, 3, v15 :: v_dual_bitop2_b32 v96, 7, v14 bitop3:0x40
	s_mov_b32 s29, exec_lo
	v_cmpx_gt_u32_e32 8, v15
; %bb.1968:                             ;   in Loop: Header=BB6_128 Depth=2
	s_delay_alu instid0(VALU_DEP_2) | instskip(NEXT) | instid1(VALU_DEP_1)
	v_clz_i32_u32_e32 v10, v96
	v_min_u32_e32 v10, 32, v10
	s_delay_alu instid0(VALU_DEP_1) | instskip(SKIP_1) | instid1(VALU_DEP_2)
	v_subrev_nc_u32_e32 v15, 28, v10
	v_sub_nc_u32_e32 v10, 29, v10
	v_lshlrev_b64_e32 v[54:55], v15, v[96:97]
	s_delay_alu instid0(VALU_DEP_1)
	v_and_b32_e32 v96, 7, v54
; %bb.1969:                             ;   in Loop: Header=BB6_128 Depth=2
	s_or_b32 exec_lo, exec_lo, s29
	s_delay_alu instid0(VALU_DEP_1) | instskip(SKIP_1) | instid1(VALU_DEP_2)
	v_dual_lshlrev_b32 v14, 24, v14 :: v_dual_lshlrev_b32 v15, 20, v96
	v_lshl_add_u32 v10, v10, 23, 0x3c000000
	v_and_b32_e32 v14, 0x80000000, v14
	s_delay_alu instid0(VALU_DEP_1)
	v_or3_b32 v10, v15, v14, v10
.LBB6_1970:                             ;   in Loop: Header=BB6_128 Depth=2
	s_or_b32 exec_lo, exec_lo, s28
.LBB6_1971:                             ;   in Loop: Header=BB6_128 Depth=2
	s_delay_alu instid0(SALU_CYCLE_1)
	s_or_b32 exec_lo, exec_lo, s27
.LBB6_1972:                             ;   in Loop: Header=BB6_128 Depth=2
	s_delay_alu instid0(SALU_CYCLE_1) | instskip(NEXT) | instid1(VALU_DEP_1)
	s_or_b32 exec_lo, exec_lo, s10
	v_mul_f32_e32 v10, v11, v10
                                        ; implicit-def: $vgpr76
	s_mov_b32 s10, exec_lo
	s_delay_alu instid0(VALU_DEP_1) | instskip(SKIP_1) | instid1(VALU_DEP_2)
	v_and_b32_e32 v96, 0x7f800000, v10
	v_lshrrev_b32_e32 v11, 24, v10
	v_cmpx_ne_u64_e32 0x7f800000, v[96:97]
	s_xor_b32 s27, exec_lo, s10
	s_cbranch_execz .LBB6_1986
; %bb.1973:                             ;   in Loop: Header=BB6_128 Depth=2
	v_and_b32_e32 v96, 0x7fffffff, v10
	v_and_b32_e32 v73, 0x80, v11
                                        ; implicit-def: $vgpr76
	s_mov_b32 s10, exec_lo
	s_delay_alu instid0(VALU_DEP_2)
	v_cmpx_gt_u64_e32 0x43e00001, v[96:97]
	s_xor_b32 s28, exec_lo, s10
	s_cbranch_execz .LBB6_1983
; %bb.1974:                             ;   in Loop: Header=BB6_128 Depth=2
	v_mov_b32_e32 v76, 0
	s_mov_b32 s29, exec_lo
	v_cmpx_ne_u32_e32 0, v10
	s_cbranch_execz .LBB6_1982
; %bb.1975:                             ;   in Loop: Header=BB6_128 Depth=2
	v_bfe_u32 v31, v10, 23, 8
	v_and_b32_e32 v11, 0x7fffff, v10
	s_delay_alu instid0(VALU_DEP_2) | instskip(SKIP_2) | instid1(VALU_DEP_4)
	v_cmp_gt_u32_e64 s10, 0x7a, v31
	v_sub_nc_u32_e32 v10, 0x79, v31
	v_cmp_eq_u32_e32 vcc_lo, 0, v31
	v_or_b32_e32 v14, 0x800000, v11
	s_delay_alu instid0(VALU_DEP_1) | instskip(NEXT) | instid1(VALU_DEP_1)
	v_dual_cndmask_b32 v10, 0, v10, s10 :: v_dual_cndmask_b32 v96, v14, v11, vcc_lo
	v_cndmask_b32_e64 v54, v10, 0x78, vcc_lo
	s_delay_alu instid0(VALU_DEP_1) | instskip(NEXT) | instid1(VALU_DEP_1)
	v_dual_add_nc_u32 v10, 20, v54 :: v_dual_add_nc_u32 v14, 19, v54
	v_lshlrev_b64_e64 v[10:11], v10, -1
	s_delay_alu instid0(VALU_DEP_2) | instskip(NEXT) | instid1(VALU_DEP_2)
	v_lshlrev_b64_e64 v[14:15], v14, 1
	v_bfi_b32 v11, v11, 0, 0
	s_delay_alu instid0(VALU_DEP_3) | instskip(NEXT) | instid1(VALU_DEP_1)
	v_bfi_b32 v10, v10, 0, v96
	v_cmp_eq_u64_e64 s10, v[10:11], v[14:15]
	v_lshrrev_b64 v[10:11], v54, v[96:97]
	s_delay_alu instid0(VALU_DEP_1)
	v_mov_b64_e32 v[14:15], v[10:11]
	s_and_saveexec_b32 s40, s10
; %bb.1976:                             ;   in Loop: Header=BB6_128 Depth=2
	v_bfe_u32 v96, v10, 20, 1
	s_delay_alu instid0(VALU_DEP_1) | instskip(NEXT) | instid1(VALU_DEP_1)
	v_add_nc_u64_e32 v[14:15], v[10:11], v[96:97]
	v_add_nc_u64_e32 v[14:15], -1, v[14:15]
; %bb.1977:                             ;   in Loop: Header=BB6_128 Depth=2
	s_or_b32 exec_lo, exec_lo, s40
	v_add_nc_u32_e32 v11, 0xffffff81, v31
	v_lshrrev_b32_e32 v15, 23, v10
	s_mov_b32 s10, exec_lo
	s_delay_alu instid0(VALU_DEP_2) | instskip(NEXT) | instid1(VALU_DEP_1)
	v_cndmask_b32_e64 v11, v11, 0xffffff82, vcc_lo
	v_add3_u32 v31, v54, v11, v15
	v_and_b32_e32 v11, 0xfffff, v14
                                        ; implicit-def: $vgpr14
	s_delay_alu instid0(VALU_DEP_1) | instskip(NEXT) | instid1(VALU_DEP_1)
	v_dual_add_nc_u32 v15, 6, v31 :: v_dual_add_nc_u32 v96, v11, v10
                                        ; implicit-def: $vgpr10_vgpr11
	v_cmpx_ne_u32_e32 0, v15
	s_xor_b32 s10, exec_lo, s10
; %bb.1978:                             ;   in Loop: Header=BB6_128 Depth=2
	s_delay_alu instid0(VALU_DEP_2) | instskip(SKIP_1) | instid1(VALU_DEP_1)
	v_cmp_lt_u64_e32 vcc_lo, 0xffffff, v[96:97]
	v_add_nc_u32_e32 v10, 7, v31
	v_cndmask_b32_e32 v14, v15, v10, vcc_lo
	v_cndmask_b32_e64 v10, 0, 1, vcc_lo
	s_delay_alu instid0(VALU_DEP_1)
	v_lshrrev_b64 v[10:11], v10, v[96:97]
; %bb.1979:                             ;   in Loop: Header=BB6_128 Depth=2
	s_and_not1_saveexec_b32 s10, s10
; %bb.1980:                             ;   in Loop: Header=BB6_128 Depth=2
	v_mov_b64_e32 v[10:11], v[96:97]
	v_bfe_u32 v14, v96, 23, 1
; %bb.1981:                             ;   in Loop: Header=BB6_128 Depth=2
	s_or_b32 exec_lo, exec_lo, s10
	s_delay_alu instid0(VALU_DEP_2) | instskip(NEXT) | instid1(VALU_DEP_2)
	v_lshrrev_b64 v[10:11], 20, v[10:11]
	v_cmp_gt_i32_e32 vcc_lo, 16, v14
	v_min_i32_e32 v15, 15, v14
	v_cmp_eq_u32_e64 s10, 0, v14
	s_delay_alu instid0(VALU_DEP_4) | instskip(NEXT) | instid1(VALU_DEP_3)
	v_cndmask_b32_e32 v11, 0, v11, vcc_lo
	v_dual_cndmask_b32 v10, 7, v10 :: v_dual_lshlrev_b32 v15, 3, v15
	s_delay_alu instid0(VALU_DEP_1) | instskip(NEXT) | instid1(VALU_DEP_2)
	v_and_b32_e32 v15, 0xf8, v15
	v_cmp_eq_u64_e32 vcc_lo, 0, v[10:11]
	s_delay_alu instid0(VALU_DEP_2)
	v_and_or_b32 v10, v10, 7, v15
	s_and_b32 s10, s10, vcc_lo
	s_delay_alu instid0(VALU_DEP_1) | instid1(SALU_CYCLE_1)
	v_cndmask_b32_e64 v10, v10, 0, s10
	s_delay_alu instid0(VALU_DEP_1)
	v_or_b32_e32 v76, v10, v73
.LBB6_1982:                             ;   in Loop: Header=BB6_128 Depth=2
	s_or_b32 exec_lo, exec_lo, s29
                                        ; implicit-def: $vgpr73
.LBB6_1983:                             ;   in Loop: Header=BB6_128 Depth=2
	s_and_not1_saveexec_b32 s10, s28
; %bb.1984:                             ;   in Loop: Header=BB6_128 Depth=2
	v_or_b32_e32 v76, 0x7e, v73
; %bb.1985:                             ;   in Loop: Header=BB6_128 Depth=2
	s_or_b32 exec_lo, exec_lo, s10
                                        ; implicit-def: $vgpr11
.LBB6_1986:                             ;   in Loop: Header=BB6_128 Depth=2
	s_and_not1_saveexec_b32 s10, s27
; %bb.1987:                             ;   in Loop: Header=BB6_128 Depth=2
	v_or_b32_e32 v76, 0x7f, v11
; %bb.1988:                             ;   in Loop: Header=BB6_128 Depth=2
	s_or_b32 exec_lo, exec_lo, s10
	v_and_b32_e32 v14, 0xff, v17
	v_dual_mov_b32 v96, v17 :: v_dual_mov_b32 v10, 0
	v_mov_b32_e32 v11, 0
	s_mov_b32 s10, exec_lo
	s_delay_alu instid0(VALU_DEP_3)
	v_cmpx_ne_u16_e32 0, v14
	s_cbranch_execz .LBB6_1994
; %bb.1989:                             ;   in Loop: Header=BB6_128 Depth=2
	v_bfrev_b32_e32 v11, 1
	s_mov_b32 s27, exec_lo
	v_cmpx_ne_u16_e32 0x80, v14
	s_cbranch_execz .LBB6_1993
; %bb.1990:                             ;   in Loop: Header=BB6_128 Depth=2
	v_and_b32_e32 v14, 0x7f, v17
	v_mov_b32_e32 v11, 0x7f800001
	s_mov_b32 s28, exec_lo
	s_delay_alu instid0(VALU_DEP_2)
	v_cmpx_ne_u32_e32 0x7f, v14
	s_cbranch_execz .LBB6_1992
; %bb.1991:                             ;   in Loop: Header=BB6_128 Depth=2
	v_dual_lshrrev_b32 v15, 3, v14 :: v_dual_bitop2_b32 v11, 7, v17 bitop3:0x40
	v_cmp_gt_u32_e32 vcc_lo, 8, v14
	s_delay_alu instid0(VALU_DEP_2) | instskip(NEXT) | instid1(VALU_DEP_1)
	v_clz_i32_u32_e32 v11, v11
	v_min_u32_e32 v11, 32, v11
	s_delay_alu instid0(VALU_DEP_1) | instskip(NEXT) | instid1(VALU_DEP_1)
	v_subrev_nc_u32_e32 v14, 28, v11
	v_dual_cndmask_b32 v14, 0, v14 :: v_dual_sub_nc_u32 v11, 29, v11
	s_delay_alu instid0(VALU_DEP_1) | instskip(NEXT) | instid1(VALU_DEP_2)
	v_cndmask_b32_e32 v11, v15, v11, vcc_lo
	v_lshlrev_b64_e32 v[14:15], v14, v[96:97]
	v_lshlrev_b32_e32 v15, 24, v96
	s_delay_alu instid0(VALU_DEP_1) | instskip(NEXT) | instid1(VALU_DEP_3)
	v_and_b32_e32 v15, 0x80000000, v15
	v_lshlrev_b32_e32 v14, 20, v14
	v_lshl_add_u32 v11, v11, 23, 0x3c000000
	s_delay_alu instid0(VALU_DEP_2) | instskip(NEXT) | instid1(VALU_DEP_1)
	v_and_b32_e32 v14, 0x700000, v14
	v_or3_b32 v11, v14, v15, v11
.LBB6_1992:                             ;   in Loop: Header=BB6_128 Depth=2
	s_or_b32 exec_lo, exec_lo, s28
.LBB6_1993:                             ;   in Loop: Header=BB6_128 Depth=2
	s_delay_alu instid0(SALU_CYCLE_1)
	s_or_b32 exec_lo, exec_lo, s27
.LBB6_1994:                             ;   in Loop: Header=BB6_128 Depth=2
	s_delay_alu instid0(SALU_CYCLE_1) | instskip(SKIP_2) | instid1(VALU_DEP_1)
	s_or_b32 exec_lo, exec_lo, s10
	v_and_b32_e32 v14, 0xff, v13
	s_mov_b32 s10, exec_lo
	v_cmpx_ne_u16_e32 0, v14
	s_cbranch_execz .LBB6_2000
; %bb.1995:                             ;   in Loop: Header=BB6_128 Depth=2
	v_bfrev_b32_e32 v10, 1
	s_mov_b32 s27, exec_lo
	v_cmpx_ne_u16_e32 0x80, v14
	s_cbranch_execz .LBB6_1999
; %bb.1996:                             ;   in Loop: Header=BB6_128 Depth=2
	v_and_b32_e32 v14, 0x7f, v13
	v_mov_b32_e32 v10, 0x7f800001
	s_mov_b32 s28, exec_lo
	s_delay_alu instid0(VALU_DEP_2)
	v_cmpx_ne_u32_e32 0x7f, v14
	s_cbranch_execz .LBB6_1998
; %bb.1997:                             ;   in Loop: Header=BB6_128 Depth=2
	v_dual_lshrrev_b32 v31, 3, v14 :: v_dual_bitop2_b32 v10, 7, v13 bitop3:0x40
	v_cmp_gt_u32_e32 vcc_lo, 8, v14
	v_mov_b32_e32 v14, v13
	s_delay_alu instid0(VALU_DEP_3) | instskip(NEXT) | instid1(VALU_DEP_1)
	v_clz_i32_u32_e32 v10, v10
	v_min_u32_e32 v10, 32, v10
	s_delay_alu instid0(VALU_DEP_1) | instskip(SKIP_1) | instid1(VALU_DEP_2)
	v_sub_nc_u32_e32 v54, 29, v10
	v_subrev_nc_u32_e32 v10, 28, v10
	v_dual_mov_b32 v15, v97 :: v_dual_cndmask_b32 v31, v31, v54, vcc_lo
	s_delay_alu instid0(VALU_DEP_2) | instskip(NEXT) | instid1(VALU_DEP_1)
	v_cndmask_b32_e32 v10, 0, v10, vcc_lo
	v_lshlrev_b64_e32 v[54:55], v10, v[14:15]
	v_lshlrev_b32_e32 v10, 24, v14
	s_delay_alu instid0(VALU_DEP_4) | instskip(NEXT) | instid1(VALU_DEP_2)
	v_lshl_add_u32 v15, v31, 23, 0x3c000000
	v_and_b32_e32 v10, 0x80000000, v10
	s_delay_alu instid0(VALU_DEP_4) | instskip(NEXT) | instid1(VALU_DEP_1)
	v_lshlrev_b32_e32 v14, 20, v54
	v_and_b32_e32 v14, 0x700000, v14
	s_delay_alu instid0(VALU_DEP_1)
	v_or3_b32 v10, v14, v10, v15
.LBB6_1998:                             ;   in Loop: Header=BB6_128 Depth=2
	s_or_b32 exec_lo, exec_lo, s28
.LBB6_1999:                             ;   in Loop: Header=BB6_128 Depth=2
	s_delay_alu instid0(SALU_CYCLE_1)
	s_or_b32 exec_lo, exec_lo, s27
.LBB6_2000:                             ;   in Loop: Header=BB6_128 Depth=2
	s_delay_alu instid0(SALU_CYCLE_1) | instskip(NEXT) | instid1(VALU_DEP_1)
	s_or_b32 exec_lo, exec_lo, s10
	v_dual_mul_f32 v10, v11, v10 :: v_dual_mov_b32 v15, v97
                                        ; implicit-def: $vgpr75
	s_mov_b32 s10, exec_lo
	s_delay_alu instid0(VALU_DEP_1) | instskip(SKIP_1) | instid1(VALU_DEP_2)
	v_and_b32_e32 v14, 0x7f800000, v10
	v_lshrrev_b32_e32 v11, 24, v10
	v_cmpx_ne_u64_e32 0x7f800000, v[14:15]
	s_xor_b32 s27, exec_lo, s10
	s_cbranch_execz .LBB6_2014
; %bb.2001:                             ;   in Loop: Header=BB6_128 Depth=2
	v_and_b32_e32 v14, 0x7fffffff, v10
	v_mov_b32_e32 v15, v97
	v_and_b32_e32 v73, 0x80, v11
                                        ; implicit-def: $vgpr75
	s_mov_b32 s10, exec_lo
	s_delay_alu instid0(VALU_DEP_2)
	v_cmpx_gt_u64_e32 0x43e00001, v[14:15]
	s_xor_b32 s28, exec_lo, s10
	s_cbranch_execz .LBB6_2011
; %bb.2002:                             ;   in Loop: Header=BB6_128 Depth=2
	v_mov_b32_e32 v75, 0
	s_mov_b32 s29, exec_lo
	v_cmpx_ne_u32_e32 0, v10
	s_cbranch_execz .LBB6_2010
; %bb.2003:                             ;   in Loop: Header=BB6_128 Depth=2
	v_bfe_u32 v31, v10, 23, 8
	v_and_b32_e32 v11, 0x7fffff, v10
	s_delay_alu instid0(VALU_DEP_2) | instskip(SKIP_2) | instid1(VALU_DEP_4)
	v_cmp_gt_u32_e64 s10, 0x7a, v31
	v_sub_nc_u32_e32 v10, 0x79, v31
	v_cmp_eq_u32_e32 vcc_lo, 0, v31
	v_or_b32_e32 v14, 0x800000, v11
	s_delay_alu instid0(VALU_DEP_3) | instskip(NEXT) | instid1(VALU_DEP_1)
	v_cndmask_b32_e64 v10, 0, v10, s10
	v_cndmask_b32_e64 v54, v10, 0x78, vcc_lo
	s_delay_alu instid0(VALU_DEP_3) | instskip(NEXT) | instid1(VALU_DEP_2)
	v_dual_cndmask_b32 v10, v14, v11 :: v_dual_mov_b32 v11, v97
	v_dual_add_nc_u32 v14, 20, v54 :: v_dual_add_nc_u32 v55, 19, v54
	s_delay_alu instid0(VALU_DEP_1) | instskip(NEXT) | instid1(VALU_DEP_2)
	v_lshlrev_b64_e64 v[14:15], v14, -1
	v_lshlrev_b64_e64 v[66:67], v55, 1
	s_delay_alu instid0(VALU_DEP_2) | instskip(SKIP_1) | instid1(VALU_DEP_4)
	v_bfi_b32 v14, v14, 0, v10
	v_lshrrev_b64 v[10:11], v54, v[10:11]
	v_bfi_b32 v15, v15, 0, 0
	s_delay_alu instid0(VALU_DEP_1) | instskip(NEXT) | instid1(VALU_DEP_3)
	v_cmp_eq_u64_e64 s10, v[14:15], v[66:67]
	v_mov_b64_e32 v[14:15], v[10:11]
	s_and_saveexec_b32 s40, s10
; %bb.2004:                             ;   in Loop: Header=BB6_128 Depth=2
	v_bfe_u32 v14, v10, 20, 1
	v_mov_b32_e32 v15, v97
	s_delay_alu instid0(VALU_DEP_1) | instskip(NEXT) | instid1(VALU_DEP_1)
	v_add_nc_u64_e32 v[14:15], v[10:11], v[14:15]
	v_add_nc_u64_e32 v[14:15], -1, v[14:15]
; %bb.2005:                             ;   in Loop: Header=BB6_128 Depth=2
	s_or_b32 exec_lo, exec_lo, s40
	v_add_nc_u32_e32 v11, 0xffffff81, v31
	v_lshrrev_b32_e32 v15, 23, v10
	s_mov_b32 s10, exec_lo
	s_delay_alu instid0(VALU_DEP_2) | instskip(NEXT) | instid1(VALU_DEP_1)
	v_cndmask_b32_e64 v11, v11, 0xffffff82, vcc_lo
	v_add3_u32 v31, v54, v11, v15
	v_and_b32_e32 v11, 0xfffff, v14
                                        ; implicit-def: $vgpr14
	s_delay_alu instid0(VALU_DEP_1) | instskip(SKIP_1) | instid1(VALU_DEP_2)
	v_dual_add_nc_u32 v15, 6, v31 :: v_dual_add_nc_u32 v10, v11, v10
	v_mov_b32_e32 v11, v97
	v_cmpx_ne_u32_e32 0, v15
	s_xor_b32 s10, exec_lo, s10
; %bb.2006:                             ;   in Loop: Header=BB6_128 Depth=2
	s_delay_alu instid0(VALU_DEP_2) | instskip(SKIP_1) | instid1(VALU_DEP_1)
	v_cmp_lt_u64_e32 vcc_lo, 0xffffff, v[10:11]
	v_add_nc_u32_e32 v14, 7, v31
	v_cndmask_b32_e32 v14, v15, v14, vcc_lo
	v_cndmask_b32_e64 v15, 0, 1, vcc_lo
	s_delay_alu instid0(VALU_DEP_1)
	v_lshrrev_b64 v[10:11], v15, v[10:11]
; %bb.2007:                             ;   in Loop: Header=BB6_128 Depth=2
	s_and_not1_saveexec_b32 s10, s10
; %bb.2008:                             ;   in Loop: Header=BB6_128 Depth=2
	s_delay_alu instid0(VALU_DEP_1)
	v_bfe_u32 v14, v10, 23, 1
; %bb.2009:                             ;   in Loop: Header=BB6_128 Depth=2
	s_or_b32 exec_lo, exec_lo, s10
	s_delay_alu instid0(VALU_DEP_2) | instskip(NEXT) | instid1(VALU_DEP_2)
	v_lshrrev_b64 v[10:11], 20, v[10:11]
	v_cmp_gt_i32_e32 vcc_lo, 16, v14
	v_min_i32_e32 v15, 15, v14
	v_cmp_eq_u32_e64 s10, 0, v14
	s_delay_alu instid0(VALU_DEP_4) | instskip(NEXT) | instid1(VALU_DEP_3)
	v_cndmask_b32_e32 v11, 0, v11, vcc_lo
	v_dual_cndmask_b32 v10, 7, v10 :: v_dual_lshlrev_b32 v15, 3, v15
	s_delay_alu instid0(VALU_DEP_1) | instskip(NEXT) | instid1(VALU_DEP_2)
	v_and_b32_e32 v15, 0xf8, v15
	v_cmp_eq_u64_e32 vcc_lo, 0, v[10:11]
	s_delay_alu instid0(VALU_DEP_2)
	v_and_or_b32 v10, v10, 7, v15
	s_and_b32 s10, s10, vcc_lo
	s_delay_alu instid0(VALU_DEP_1) | instid1(SALU_CYCLE_1)
	v_cndmask_b32_e64 v10, v10, 0, s10
	s_delay_alu instid0(VALU_DEP_1)
	v_or_b32_e32 v75, v10, v73
.LBB6_2010:                             ;   in Loop: Header=BB6_128 Depth=2
	s_or_b32 exec_lo, exec_lo, s29
                                        ; implicit-def: $vgpr73
.LBB6_2011:                             ;   in Loop: Header=BB6_128 Depth=2
	s_and_not1_saveexec_b32 s10, s28
; %bb.2012:                             ;   in Loop: Header=BB6_128 Depth=2
	v_or_b32_e32 v75, 0x7e, v73
; %bb.2013:                             ;   in Loop: Header=BB6_128 Depth=2
	s_or_b32 exec_lo, exec_lo, s10
                                        ; implicit-def: $vgpr11
.LBB6_2014:                             ;   in Loop: Header=BB6_128 Depth=2
	s_and_not1_saveexec_b32 s10, s27
; %bb.2015:                             ;   in Loop: Header=BB6_128 Depth=2
	v_or_b32_e32 v75, 0x7f, v11
; %bb.2016:                             ;   in Loop: Header=BB6_128 Depth=2
	s_or_b32 exec_lo, exec_lo, s10
	v_lshrrev_b16 v11, 8, v96
	v_dual_mov_b32 v14, 0 :: v_dual_mov_b32 v10, 0
	s_mov_b32 s10, exec_lo
	s_delay_alu instid0(VALU_DEP_2)
	v_cmpx_ne_u16_e32 0, v11
	s_cbranch_execz .LBB6_2024
; %bb.2017:                             ;   in Loop: Header=BB6_128 Depth=2
	v_bfrev_b32_e32 v10, 1
	s_mov_b32 s27, exec_lo
	v_cmpx_ne_u16_e32 0x80, v11
	s_cbranch_execz .LBB6_2023
; %bb.2018:                             ;   in Loop: Header=BB6_128 Depth=2
	v_and_b32_e32 v11, 0xffff, v11
	v_mov_b32_e32 v10, 0x7f800001
	s_mov_b32 s28, exec_lo
	s_delay_alu instid0(VALU_DEP_2) | instskip(NEXT) | instid1(VALU_DEP_1)
	v_and_b32_e32 v31, 0x7f, v11
	v_cmpx_ne_u32_e32 0x7f, v31
	s_cbranch_execz .LBB6_2022
; %bb.2019:                             ;   in Loop: Header=BB6_128 Depth=2
	v_dual_mov_b32 v11, v97 :: v_dual_bitop2_b32 v10, 7, v11 bitop3:0x40
	v_lshrrev_b32_e32 v15, 3, v31
	s_mov_b32 s29, exec_lo
	v_cmpx_gt_u32_e32 8, v31
; %bb.2020:                             ;   in Loop: Header=BB6_128 Depth=2
	s_delay_alu instid0(VALU_DEP_3) | instskip(NEXT) | instid1(VALU_DEP_1)
	v_clz_i32_u32_e32 v15, v10
	v_min_u32_e32 v15, 32, v15
	s_delay_alu instid0(VALU_DEP_1) | instskip(NEXT) | instid1(VALU_DEP_1)
	v_subrev_nc_u32_e32 v31, 28, v15
	v_lshlrev_b64_e32 v[10:11], v31, v[10:11]
	s_delay_alu instid0(VALU_DEP_1)
	v_dual_sub_nc_u32 v15, 29, v15 :: v_dual_bitop2_b32 v10, 7, v10 bitop3:0x40
; %bb.2021:                             ;   in Loop: Header=BB6_128 Depth=2
	s_or_b32 exec_lo, exec_lo, s29
	s_delay_alu instid0(VALU_DEP_1) | instskip(NEXT) | instid1(VALU_DEP_2)
	v_dual_lshlrev_b32 v11, 16, v96 :: v_dual_lshlrev_b32 v10, 20, v10
	v_lshl_add_u32 v15, v15, 23, 0x3c000000
	s_delay_alu instid0(VALU_DEP_2) | instskip(NEXT) | instid1(VALU_DEP_1)
	v_and_b32_e32 v11, 0x80000000, v11
	v_or3_b32 v10, v10, v11, v15
.LBB6_2022:                             ;   in Loop: Header=BB6_128 Depth=2
	s_or_b32 exec_lo, exec_lo, s28
.LBB6_2023:                             ;   in Loop: Header=BB6_128 Depth=2
	s_delay_alu instid0(SALU_CYCLE_1)
	s_or_b32 exec_lo, exec_lo, s27
.LBB6_2024:                             ;   in Loop: Header=BB6_128 Depth=2
	s_delay_alu instid0(SALU_CYCLE_1) | instskip(SKIP_2) | instid1(VALU_DEP_1)
	s_or_b32 exec_lo, exec_lo, s10
	v_lshrrev_b16 v11, 8, v13
	s_mov_b32 s10, exec_lo
	v_cmpx_ne_u16_e32 0, v11
	s_cbranch_execz .LBB6_2032
; %bb.2025:                             ;   in Loop: Header=BB6_128 Depth=2
	v_bfrev_b32_e32 v14, 1
	s_mov_b32 s27, exec_lo
	v_cmpx_ne_u16_e32 0x80, v11
	s_cbranch_execz .LBB6_2031
; %bb.2026:                             ;   in Loop: Header=BB6_128 Depth=2
	v_and_b32_e32 v11, 0xffff, v11
	v_mov_b32_e32 v14, 0x7f800001
	s_mov_b32 s28, exec_lo
	s_delay_alu instid0(VALU_DEP_2) | instskip(NEXT) | instid1(VALU_DEP_1)
	v_and_b32_e32 v15, 0x7f, v11
	v_cmpx_ne_u32_e32 0x7f, v15
	s_cbranch_execz .LBB6_2030
; %bb.2027:                             ;   in Loop: Header=BB6_128 Depth=2
	v_and_b32_e32 v96, 7, v11
	v_lshrrev_b32_e32 v11, 3, v15
	s_mov_b32 s29, exec_lo
	v_cmpx_gt_u32_e32 8, v15
; %bb.2028:                             ;   in Loop: Header=BB6_128 Depth=2
	s_delay_alu instid0(VALU_DEP_3) | instskip(NEXT) | instid1(VALU_DEP_1)
	v_clz_i32_u32_e32 v11, v96
	v_min_u32_e32 v11, 32, v11
	s_delay_alu instid0(VALU_DEP_1) | instskip(NEXT) | instid1(VALU_DEP_1)
	v_subrev_nc_u32_e32 v14, 28, v11
	v_lshlrev_b64_e32 v[14:15], v14, v[96:97]
	s_delay_alu instid0(VALU_DEP_1)
	v_dual_sub_nc_u32 v11, 29, v11 :: v_dual_bitop2_b32 v96, 7, v14 bitop3:0x40
; %bb.2029:                             ;   in Loop: Header=BB6_128 Depth=2
	s_or_b32 exec_lo, exec_lo, s29
	s_delay_alu instid0(VALU_DEP_1) | instskip(NEXT) | instid1(VALU_DEP_2)
	v_dual_lshlrev_b32 v14, 16, v13 :: v_dual_lshlrev_b32 v15, 20, v96
	v_lshl_add_u32 v11, v11, 23, 0x3c000000
	s_delay_alu instid0(VALU_DEP_2) | instskip(NEXT) | instid1(VALU_DEP_1)
	v_and_b32_e32 v14, 0x80000000, v14
	v_or3_b32 v14, v15, v14, v11
.LBB6_2030:                             ;   in Loop: Header=BB6_128 Depth=2
	s_or_b32 exec_lo, exec_lo, s28
.LBB6_2031:                             ;   in Loop: Header=BB6_128 Depth=2
	s_delay_alu instid0(SALU_CYCLE_1)
	s_or_b32 exec_lo, exec_lo, s27
.LBB6_2032:                             ;   in Loop: Header=BB6_128 Depth=2
	s_delay_alu instid0(SALU_CYCLE_1) | instskip(NEXT) | instid1(VALU_DEP_1)
	s_or_b32 exec_lo, exec_lo, s10
	v_mul_f32_e32 v10, v10, v14
                                        ; implicit-def: $vgpr73
	s_mov_b32 s10, exec_lo
	s_delay_alu instid0(VALU_DEP_1) | instskip(SKIP_1) | instid1(VALU_DEP_2)
	v_and_b32_e32 v96, 0x7f800000, v10
	v_lshrrev_b32_e32 v11, 24, v10
	v_cmpx_ne_u64_e32 0x7f800000, v[96:97]
	s_xor_b32 s27, exec_lo, s10
	s_cbranch_execz .LBB6_2046
; %bb.2033:                             ;   in Loop: Header=BB6_128 Depth=2
	v_and_b32_e32 v96, 0x7fffffff, v10
	v_and_b32_e32 v31, 0x80, v11
                                        ; implicit-def: $vgpr73
	s_mov_b32 s10, exec_lo
	s_delay_alu instid0(VALU_DEP_2)
	v_cmpx_gt_u64_e32 0x43e00001, v[96:97]
	s_xor_b32 s28, exec_lo, s10
	s_cbranch_execz .LBB6_2043
; %bb.2034:                             ;   in Loop: Header=BB6_128 Depth=2
	v_mov_b32_e32 v73, 0
	s_mov_b32 s29, exec_lo
	v_cmpx_ne_u32_e32 0, v10
	s_cbranch_execz .LBB6_2042
; %bb.2035:                             ;   in Loop: Header=BB6_128 Depth=2
	v_bfe_u32 v73, v10, 23, 8
	v_and_b32_e32 v11, 0x7fffff, v10
	s_delay_alu instid0(VALU_DEP_2) | instskip(SKIP_2) | instid1(VALU_DEP_4)
	v_cmp_gt_u32_e64 s10, 0x7a, v73
	v_sub_nc_u32_e32 v10, 0x79, v73
	v_cmp_eq_u32_e32 vcc_lo, 0, v73
	v_or_b32_e32 v14, 0x800000, v11
	s_delay_alu instid0(VALU_DEP_1) | instskip(NEXT) | instid1(VALU_DEP_1)
	v_dual_cndmask_b32 v10, 0, v10, s10 :: v_dual_cndmask_b32 v96, v14, v11, vcc_lo
	v_cndmask_b32_e64 v54, v10, 0x78, vcc_lo
	s_delay_alu instid0(VALU_DEP_1) | instskip(NEXT) | instid1(VALU_DEP_1)
	v_dual_add_nc_u32 v10, 20, v54 :: v_dual_add_nc_u32 v14, 19, v54
	v_lshlrev_b64_e64 v[10:11], v10, -1
	s_delay_alu instid0(VALU_DEP_2) | instskip(NEXT) | instid1(VALU_DEP_2)
	v_lshlrev_b64_e64 v[14:15], v14, 1
	v_bfi_b32 v11, v11, 0, 0
	s_delay_alu instid0(VALU_DEP_3) | instskip(NEXT) | instid1(VALU_DEP_1)
	v_bfi_b32 v10, v10, 0, v96
	v_cmp_eq_u64_e64 s10, v[10:11], v[14:15]
	v_lshrrev_b64 v[10:11], v54, v[96:97]
	s_delay_alu instid0(VALU_DEP_1)
	v_mov_b64_e32 v[14:15], v[10:11]
	s_and_saveexec_b32 s40, s10
; %bb.2036:                             ;   in Loop: Header=BB6_128 Depth=2
	v_bfe_u32 v96, v10, 20, 1
	s_delay_alu instid0(VALU_DEP_1) | instskip(NEXT) | instid1(VALU_DEP_1)
	v_add_nc_u64_e32 v[14:15], v[10:11], v[96:97]
	v_add_nc_u64_e32 v[14:15], -1, v[14:15]
; %bb.2037:                             ;   in Loop: Header=BB6_128 Depth=2
	s_or_b32 exec_lo, exec_lo, s40
	v_add_nc_u32_e32 v11, 0xffffff81, v73
	v_lshrrev_b32_e32 v15, 23, v10
	s_mov_b32 s10, exec_lo
	s_delay_alu instid0(VALU_DEP_2) | instskip(NEXT) | instid1(VALU_DEP_1)
	v_cndmask_b32_e64 v11, v11, 0xffffff82, vcc_lo
	v_add3_u32 v54, v54, v11, v15
	v_and_b32_e32 v11, 0xfffff, v14
                                        ; implicit-def: $vgpr14
	s_delay_alu instid0(VALU_DEP_2) | instskip(NEXT) | instid1(VALU_DEP_2)
	v_add_nc_u32_e32 v15, 6, v54
	v_add_nc_u32_e32 v96, v11, v10
                                        ; implicit-def: $vgpr10_vgpr11
	s_delay_alu instid0(VALU_DEP_2)
	v_cmpx_ne_u32_e32 0, v15
	s_xor_b32 s10, exec_lo, s10
; %bb.2038:                             ;   in Loop: Header=BB6_128 Depth=2
	s_delay_alu instid0(VALU_DEP_2) | instskip(SKIP_1) | instid1(VALU_DEP_1)
	v_cmp_lt_u64_e32 vcc_lo, 0xffffff, v[96:97]
	v_add_nc_u32_e32 v10, 7, v54
	v_cndmask_b32_e32 v14, v15, v10, vcc_lo
	v_cndmask_b32_e64 v10, 0, 1, vcc_lo
	s_delay_alu instid0(VALU_DEP_1)
	v_lshrrev_b64 v[10:11], v10, v[96:97]
; %bb.2039:                             ;   in Loop: Header=BB6_128 Depth=2
	s_and_not1_saveexec_b32 s10, s10
; %bb.2040:                             ;   in Loop: Header=BB6_128 Depth=2
	v_mov_b64_e32 v[10:11], v[96:97]
	v_bfe_u32 v14, v96, 23, 1
; %bb.2041:                             ;   in Loop: Header=BB6_128 Depth=2
	s_or_b32 exec_lo, exec_lo, s10
	s_delay_alu instid0(VALU_DEP_2) | instskip(NEXT) | instid1(VALU_DEP_2)
	v_lshrrev_b64 v[10:11], 20, v[10:11]
	v_cmp_gt_i32_e32 vcc_lo, 16, v14
	v_min_i32_e32 v15, 15, v14
	v_cmp_eq_u32_e64 s10, 0, v14
	s_delay_alu instid0(VALU_DEP_4) | instskip(NEXT) | instid1(VALU_DEP_3)
	v_cndmask_b32_e32 v11, 0, v11, vcc_lo
	v_dual_cndmask_b32 v10, 7, v10 :: v_dual_lshlrev_b32 v15, 3, v15
	s_delay_alu instid0(VALU_DEP_1) | instskip(NEXT) | instid1(VALU_DEP_2)
	v_and_b32_e32 v15, 0xf8, v15
	v_cmp_eq_u64_e32 vcc_lo, 0, v[10:11]
	s_delay_alu instid0(VALU_DEP_2)
	v_and_or_b32 v10, v10, 7, v15
	s_and_b32 s10, s10, vcc_lo
	s_delay_alu instid0(VALU_DEP_1) | instid1(SALU_CYCLE_1)
	v_cndmask_b32_e64 v10, v10, 0, s10
	s_delay_alu instid0(VALU_DEP_1)
	v_or_b32_e32 v73, v10, v31
.LBB6_2042:                             ;   in Loop: Header=BB6_128 Depth=2
	s_or_b32 exec_lo, exec_lo, s29
                                        ; implicit-def: $vgpr31
.LBB6_2043:                             ;   in Loop: Header=BB6_128 Depth=2
	s_and_not1_saveexec_b32 s10, s28
; %bb.2044:                             ;   in Loop: Header=BB6_128 Depth=2
	v_or_b32_e32 v73, 0x7e, v31
; %bb.2045:                             ;   in Loop: Header=BB6_128 Depth=2
	s_or_b32 exec_lo, exec_lo, s10
                                        ; implicit-def: $vgpr11
.LBB6_2046:                             ;   in Loop: Header=BB6_128 Depth=2
	s_and_not1_saveexec_b32 s10, s27
; %bb.2047:                             ;   in Loop: Header=BB6_128 Depth=2
	v_or_b32_e32 v73, 0x7f, v11
; %bb.2048:                             ;   in Loop: Header=BB6_128 Depth=2
	s_or_b32 exec_lo, exec_lo, s10
	v_dual_lshrrev_b32 v14, 16, v17 :: v_dual_mov_b32 v10, 0
	v_mov_b32_e32 v11, 0
	s_mov_b32 s10, exec_lo
	s_delay_alu instid0(VALU_DEP_2) | instskip(NEXT) | instid1(VALU_DEP_1)
	v_and_b32_e32 v15, 0xff, v14
	v_cmpx_ne_u16_e32 0, v15
	s_cbranch_execz .LBB6_2056
; %bb.2049:                             ;   in Loop: Header=BB6_128 Depth=2
	v_bfrev_b32_e32 v11, 1
	s_mov_b32 s27, exec_lo
	v_cmpx_ne_u16_e32 0x80, v15
	s_cbranch_execz .LBB6_2055
; %bb.2050:                             ;   in Loop: Header=BB6_128 Depth=2
	v_bfe_u32 v15, v17, 16, 7
	v_mov_b32_e32 v11, 0x7f800001
	s_mov_b32 s28, exec_lo
	s_delay_alu instid0(VALU_DEP_2)
	v_cmpx_ne_u32_e32 0x7f, v15
	s_cbranch_execz .LBB6_2054
; %bb.2051:                             ;   in Loop: Header=BB6_128 Depth=2
	v_dual_lshrrev_b32 v11, 3, v15 :: v_dual_bitop2_b32 v96, 7, v14 bitop3:0x40
	s_mov_b32 s29, exec_lo
	v_cmpx_gt_u32_e32 8, v15
; %bb.2052:                             ;   in Loop: Header=BB6_128 Depth=2
	s_delay_alu instid0(VALU_DEP_2) | instskip(NEXT) | instid1(VALU_DEP_1)
	v_clz_i32_u32_e32 v11, v96
	v_min_u32_e32 v11, 32, v11
	s_delay_alu instid0(VALU_DEP_1) | instskip(NEXT) | instid1(VALU_DEP_1)
	v_subrev_nc_u32_e32 v15, 28, v11
	v_lshlrev_b64_e32 v[54:55], v15, v[96:97]
	s_delay_alu instid0(VALU_DEP_1)
	v_dual_sub_nc_u32 v11, 29, v11 :: v_dual_bitop2_b32 v96, 7, v54 bitop3:0x40
; %bb.2053:                             ;   in Loop: Header=BB6_128 Depth=2
	s_or_b32 exec_lo, exec_lo, s29
	s_delay_alu instid0(VALU_DEP_1) | instskip(NEXT) | instid1(VALU_DEP_2)
	v_dual_lshlrev_b32 v14, 24, v14 :: v_dual_lshlrev_b32 v15, 20, v96
	v_lshl_add_u32 v11, v11, 23, 0x3c000000
	s_delay_alu instid0(VALU_DEP_2) | instskip(NEXT) | instid1(VALU_DEP_1)
	v_and_b32_e32 v14, 0x80000000, v14
	v_or3_b32 v11, v15, v14, v11
.LBB6_2054:                             ;   in Loop: Header=BB6_128 Depth=2
	s_or_b32 exec_lo, exec_lo, s28
.LBB6_2055:                             ;   in Loop: Header=BB6_128 Depth=2
	s_delay_alu instid0(SALU_CYCLE_1)
	s_or_b32 exec_lo, exec_lo, s27
.LBB6_2056:                             ;   in Loop: Header=BB6_128 Depth=2
	s_delay_alu instid0(SALU_CYCLE_1) | instskip(SKIP_2) | instid1(VALU_DEP_1)
	s_or_b32 exec_lo, exec_lo, s10
	v_lshrrev_b32_e32 v14, 16, v13
	s_mov_b32 s10, exec_lo
	v_and_b32_e32 v15, 0xff, v14
	s_delay_alu instid0(VALU_DEP_1)
	v_cmpx_ne_u16_e32 0, v15
	s_cbranch_execz .LBB6_2064
; %bb.2057:                             ;   in Loop: Header=BB6_128 Depth=2
	v_bfrev_b32_e32 v10, 1
	s_mov_b32 s27, exec_lo
	v_cmpx_ne_u16_e32 0x80, v15
	s_cbranch_execz .LBB6_2063
; %bb.2058:                             ;   in Loop: Header=BB6_128 Depth=2
	v_bfe_u32 v15, v13, 16, 7
	v_mov_b32_e32 v10, 0x7f800001
	s_mov_b32 s28, exec_lo
	s_delay_alu instid0(VALU_DEP_2)
	v_cmpx_ne_u32_e32 0x7f, v15
	s_cbranch_execz .LBB6_2062
; %bb.2059:                             ;   in Loop: Header=BB6_128 Depth=2
	v_dual_lshrrev_b32 v10, 3, v15 :: v_dual_bitop2_b32 v96, 7, v14 bitop3:0x40
	s_mov_b32 s29, exec_lo
	v_cmpx_gt_u32_e32 8, v15
; %bb.2060:                             ;   in Loop: Header=BB6_128 Depth=2
	s_delay_alu instid0(VALU_DEP_2) | instskip(NEXT) | instid1(VALU_DEP_1)
	v_clz_i32_u32_e32 v10, v96
	v_min_u32_e32 v10, 32, v10
	s_delay_alu instid0(VALU_DEP_1) | instskip(SKIP_1) | instid1(VALU_DEP_2)
	v_subrev_nc_u32_e32 v14, 28, v10
	v_sub_nc_u32_e32 v10, 29, v10
	v_lshlrev_b64_e32 v[14:15], v14, v[96:97]
	s_delay_alu instid0(VALU_DEP_1)
	v_and_b32_e32 v96, 7, v14
; %bb.2061:                             ;   in Loop: Header=BB6_128 Depth=2
	s_or_b32 exec_lo, exec_lo, s29
	s_delay_alu instid0(VALU_DEP_1) | instskip(SKIP_1) | instid1(VALU_DEP_2)
	v_dual_lshlrev_b32 v14, 8, v13 :: v_dual_lshlrev_b32 v15, 20, v96
	v_lshl_add_u32 v10, v10, 23, 0x3c000000
	v_and_b32_e32 v14, 0x80000000, v14
	s_delay_alu instid0(VALU_DEP_1)
	v_or3_b32 v10, v15, v14, v10
.LBB6_2062:                             ;   in Loop: Header=BB6_128 Depth=2
	s_or_b32 exec_lo, exec_lo, s28
.LBB6_2063:                             ;   in Loop: Header=BB6_128 Depth=2
	s_delay_alu instid0(SALU_CYCLE_1)
	s_or_b32 exec_lo, exec_lo, s27
.LBB6_2064:                             ;   in Loop: Header=BB6_128 Depth=2
	s_delay_alu instid0(SALU_CYCLE_1) | instskip(NEXT) | instid1(VALU_DEP_1)
	s_or_b32 exec_lo, exec_lo, s10
	v_mul_f32_e32 v10, v11, v10
                                        ; implicit-def: $vgpr14
	s_mov_b32 s10, exec_lo
	s_delay_alu instid0(VALU_DEP_1) | instskip(SKIP_1) | instid1(VALU_DEP_2)
	v_and_b32_e32 v96, 0x7f800000, v10
	v_lshrrev_b32_e32 v11, 24, v10
	v_cmpx_ne_u64_e32 0x7f800000, v[96:97]
	s_xor_b32 s27, exec_lo, s10
	s_cbranch_execz .LBB6_2078
; %bb.2065:                             ;   in Loop: Header=BB6_128 Depth=2
	v_and_b32_e32 v96, 0x7fffffff, v10
	v_and_b32_e32 v31, 0x80, v11
                                        ; implicit-def: $vgpr14
	s_mov_b32 s10, exec_lo
	s_delay_alu instid0(VALU_DEP_2)
	v_cmpx_gt_u64_e32 0x43e00001, v[96:97]
	s_xor_b32 s28, exec_lo, s10
	s_cbranch_execz .LBB6_2075
; %bb.2066:                             ;   in Loop: Header=BB6_128 Depth=2
	v_mov_b32_e32 v14, 0
	s_mov_b32 s29, exec_lo
	v_cmpx_ne_u32_e32 0, v10
	s_cbranch_execz .LBB6_2074
; %bb.2067:                             ;   in Loop: Header=BB6_128 Depth=2
	v_bfe_u32 v54, v10, 23, 8
	v_and_b32_e32 v11, 0x7fffff, v10
	s_delay_alu instid0(VALU_DEP_2) | instskip(SKIP_2) | instid1(VALU_DEP_4)
	v_cmp_gt_u32_e64 s10, 0x7a, v54
	v_sub_nc_u32_e32 v10, 0x79, v54
	v_cmp_eq_u32_e32 vcc_lo, 0, v54
	v_or_b32_e32 v14, 0x800000, v11
	s_delay_alu instid0(VALU_DEP_1) | instskip(NEXT) | instid1(VALU_DEP_1)
	v_dual_cndmask_b32 v10, 0, v10, s10 :: v_dual_cndmask_b32 v96, v14, v11, vcc_lo
	v_cndmask_b32_e64 v55, v10, 0x78, vcc_lo
	s_delay_alu instid0(VALU_DEP_1) | instskip(NEXT) | instid1(VALU_DEP_1)
	v_dual_add_nc_u32 v10, 20, v55 :: v_dual_add_nc_u32 v14, 19, v55
	v_lshlrev_b64_e64 v[10:11], v10, -1
	s_delay_alu instid0(VALU_DEP_2) | instskip(NEXT) | instid1(VALU_DEP_2)
	v_lshlrev_b64_e64 v[14:15], v14, 1
	v_bfi_b32 v11, v11, 0, 0
	s_delay_alu instid0(VALU_DEP_3) | instskip(NEXT) | instid1(VALU_DEP_1)
	v_bfi_b32 v10, v10, 0, v96
	v_cmp_eq_u64_e64 s10, v[10:11], v[14:15]
	v_lshrrev_b64 v[10:11], v55, v[96:97]
	s_delay_alu instid0(VALU_DEP_1)
	v_mov_b64_e32 v[14:15], v[10:11]
	s_and_saveexec_b32 s40, s10
; %bb.2068:                             ;   in Loop: Header=BB6_128 Depth=2
	v_bfe_u32 v96, v10, 20, 1
	s_delay_alu instid0(VALU_DEP_1) | instskip(NEXT) | instid1(VALU_DEP_1)
	v_add_nc_u64_e32 v[14:15], v[10:11], v[96:97]
	v_add_nc_u64_e32 v[14:15], -1, v[14:15]
; %bb.2069:                             ;   in Loop: Header=BB6_128 Depth=2
	s_or_b32 exec_lo, exec_lo, s40
	v_add_nc_u32_e32 v11, 0xffffff81, v54
	v_lshrrev_b32_e32 v15, 23, v10
	s_mov_b32 s10, exec_lo
	s_delay_alu instid0(VALU_DEP_2) | instskip(NEXT) | instid1(VALU_DEP_1)
	v_cndmask_b32_e64 v11, v11, 0xffffff82, vcc_lo
	v_add3_u32 v54, v55, v11, v15
	v_and_b32_e32 v11, 0xfffff, v14
                                        ; implicit-def: $vgpr14
	s_delay_alu instid0(VALU_DEP_2) | instskip(NEXT) | instid1(VALU_DEP_2)
	v_add_nc_u32_e32 v15, 6, v54
	v_add_nc_u32_e32 v96, v11, v10
                                        ; implicit-def: $vgpr10_vgpr11
	s_delay_alu instid0(VALU_DEP_2)
	v_cmpx_ne_u32_e32 0, v15
	s_xor_b32 s10, exec_lo, s10
; %bb.2070:                             ;   in Loop: Header=BB6_128 Depth=2
	s_delay_alu instid0(VALU_DEP_2) | instskip(SKIP_1) | instid1(VALU_DEP_1)
	v_cmp_lt_u64_e32 vcc_lo, 0xffffff, v[96:97]
	v_add_nc_u32_e32 v10, 7, v54
	v_cndmask_b32_e32 v14, v15, v10, vcc_lo
	v_cndmask_b32_e64 v10, 0, 1, vcc_lo
	s_delay_alu instid0(VALU_DEP_1)
	v_lshrrev_b64 v[10:11], v10, v[96:97]
; %bb.2071:                             ;   in Loop: Header=BB6_128 Depth=2
	s_and_not1_saveexec_b32 s10, s10
; %bb.2072:                             ;   in Loop: Header=BB6_128 Depth=2
	v_mov_b64_e32 v[10:11], v[96:97]
	v_bfe_u32 v14, v96, 23, 1
; %bb.2073:                             ;   in Loop: Header=BB6_128 Depth=2
	s_or_b32 exec_lo, exec_lo, s10
	s_delay_alu instid0(VALU_DEP_2) | instskip(NEXT) | instid1(VALU_DEP_2)
	v_lshrrev_b64 v[10:11], 20, v[10:11]
	v_cmp_gt_i32_e32 vcc_lo, 16, v14
	v_min_i32_e32 v15, 15, v14
	v_cmp_eq_u32_e64 s10, 0, v14
	s_delay_alu instid0(VALU_DEP_4) | instskip(NEXT) | instid1(VALU_DEP_3)
	v_cndmask_b32_e32 v11, 0, v11, vcc_lo
	v_dual_cndmask_b32 v10, 7, v10 :: v_dual_lshlrev_b32 v15, 3, v15
	s_delay_alu instid0(VALU_DEP_1) | instskip(NEXT) | instid1(VALU_DEP_2)
	v_and_b32_e32 v15, 0xf8, v15
	v_cmp_eq_u64_e32 vcc_lo, 0, v[10:11]
	s_delay_alu instid0(VALU_DEP_2)
	v_and_or_b32 v10, v10, 7, v15
	s_and_b32 s10, s10, vcc_lo
	s_delay_alu instid0(VALU_DEP_1) | instid1(SALU_CYCLE_1)
	v_cndmask_b32_e64 v10, v10, 0, s10
	s_delay_alu instid0(VALU_DEP_1)
	v_or_b32_e32 v14, v10, v31
.LBB6_2074:                             ;   in Loop: Header=BB6_128 Depth=2
	s_or_b32 exec_lo, exec_lo, s29
                                        ; implicit-def: $vgpr31
.LBB6_2075:                             ;   in Loop: Header=BB6_128 Depth=2
	s_and_not1_saveexec_b32 s10, s28
; %bb.2076:                             ;   in Loop: Header=BB6_128 Depth=2
	v_or_b32_e32 v14, 0x7e, v31
; %bb.2077:                             ;   in Loop: Header=BB6_128 Depth=2
	s_or_b32 exec_lo, exec_lo, s10
                                        ; implicit-def: $vgpr11
.LBB6_2078:                             ;   in Loop: Header=BB6_128 Depth=2
	s_and_not1_saveexec_b32 s10, s27
; %bb.2079:                             ;   in Loop: Header=BB6_128 Depth=2
	v_or_b32_e32 v14, 0x7f, v11
; %bb.2080:                             ;   in Loop: Header=BB6_128 Depth=2
	s_or_b32 exec_lo, exec_lo, s10
	v_dual_mov_b32 v10, 0 :: v_dual_mov_b32 v11, 0
	s_mov_b32 s10, exec_lo
	v_cmpx_lt_u64_e64 s[14:15], v[16:17]
	s_cbranch_execz .LBB6_2088
; %bb.2081:                             ;   in Loop: Header=BB6_128 Depth=2
	v_lshrrev_b32_e32 v15, 24, v17
	v_bfrev_b32_e32 v11, 1
	s_mov_b32 s27, exec_lo
	s_delay_alu instid0(VALU_DEP_2)
	v_cmpx_ne_u32_e32 0x80, v15
	s_cbranch_execz .LBB6_2087
; %bb.2082:                             ;   in Loop: Header=BB6_128 Depth=2
	v_bfe_u32 v16, v17, 24, 7
	v_mov_b32_e32 v11, 0x7f800001
	s_mov_b32 s28, exec_lo
	s_delay_alu instid0(VALU_DEP_2)
	v_cmpx_ne_u32_e32 0x7f, v16
	s_cbranch_execz .LBB6_2086
; %bb.2083:                             ;   in Loop: Header=BB6_128 Depth=2
	v_dual_lshrrev_b32 v11, 3, v16 :: v_dual_bitop2_b32 v96, 7, v15 bitop3:0x40
	s_mov_b32 s29, exec_lo
	v_cmpx_gt_u32_e32 8, v16
; %bb.2084:                             ;   in Loop: Header=BB6_128 Depth=2
	s_delay_alu instid0(VALU_DEP_2) | instskip(NEXT) | instid1(VALU_DEP_1)
	v_clz_i32_u32_e32 v11, v96
	v_min_u32_e32 v11, 32, v11
	s_delay_alu instid0(VALU_DEP_1) | instskip(NEXT) | instid1(VALU_DEP_1)
	v_subrev_nc_u32_e32 v16, 28, v11
	v_lshlrev_b64_e32 v[16:17], v16, v[96:97]
	s_delay_alu instid0(VALU_DEP_1)
	v_dual_sub_nc_u32 v11, 29, v11 :: v_dual_bitop2_b32 v96, 7, v16 bitop3:0x40
; %bb.2085:                             ;   in Loop: Header=BB6_128 Depth=2
	s_or_b32 exec_lo, exec_lo, s29
	s_delay_alu instid0(VALU_DEP_1) | instskip(NEXT) | instid1(VALU_DEP_2)
	v_dual_lshlrev_b32 v15, 24, v15 :: v_dual_lshlrev_b32 v16, 20, v96
	v_lshl_add_u32 v11, v11, 23, 0x3c000000
	s_delay_alu instid0(VALU_DEP_2) | instskip(NEXT) | instid1(VALU_DEP_1)
	v_and_b32_e32 v15, 0x80000000, v15
	v_or3_b32 v11, v16, v15, v11
.LBB6_2086:                             ;   in Loop: Header=BB6_128 Depth=2
	s_or_b32 exec_lo, exec_lo, s28
.LBB6_2087:                             ;   in Loop: Header=BB6_128 Depth=2
	s_delay_alu instid0(SALU_CYCLE_1)
	s_or_b32 exec_lo, exec_lo, s27
.LBB6_2088:                             ;   in Loop: Header=BB6_128 Depth=2
	s_delay_alu instid0(SALU_CYCLE_1) | instskip(NEXT) | instid1(SALU_CYCLE_1)
	s_or_b32 exec_lo, exec_lo, s10
	s_mov_b32 s10, exec_lo
	v_cmpx_lt_u64_e64 s[14:15], v[12:13]
	s_cbranch_execz .LBB6_2096
; %bb.2089:                             ;   in Loop: Header=BB6_128 Depth=2
	v_lshrrev_b32_e32 v12, 24, v13
	v_bfrev_b32_e32 v10, 1
	s_mov_b32 s27, exec_lo
	s_delay_alu instid0(VALU_DEP_2)
	v_cmpx_ne_u32_e32 0x80, v12
	s_cbranch_execz .LBB6_2095
; %bb.2090:                             ;   in Loop: Header=BB6_128 Depth=2
	v_bfe_u32 v13, v13, 24, 7
	v_mov_b32_e32 v10, 0x7f800001
	s_mov_b32 s28, exec_lo
	s_delay_alu instid0(VALU_DEP_2)
	v_cmpx_ne_u32_e32 0x7f, v13
	s_cbranch_execz .LBB6_2094
; %bb.2091:                             ;   in Loop: Header=BB6_128 Depth=2
	v_dual_lshrrev_b32 v10, 3, v13 :: v_dual_bitop2_b32 v96, 7, v12 bitop3:0x40
	s_mov_b32 s29, exec_lo
	v_cmpx_gt_u32_e32 8, v13
; %bb.2092:                             ;   in Loop: Header=BB6_128 Depth=2
	s_delay_alu instid0(VALU_DEP_2) | instskip(NEXT) | instid1(VALU_DEP_1)
	v_clz_i32_u32_e32 v10, v96
	v_min_u32_e32 v10, 32, v10
	s_delay_alu instid0(VALU_DEP_1) | instskip(NEXT) | instid1(VALU_DEP_1)
	v_subrev_nc_u32_e32 v13, 28, v10
	v_lshlrev_b64_e32 v[16:17], v13, v[96:97]
	s_delay_alu instid0(VALU_DEP_1)
	v_dual_sub_nc_u32 v10, 29, v10 :: v_dual_bitop2_b32 v96, 7, v16 bitop3:0x40
; %bb.2093:                             ;   in Loop: Header=BB6_128 Depth=2
	s_or_b32 exec_lo, exec_lo, s29
	v_lshlrev_b32_e32 v12, 24, v12
	s_delay_alu instid0(VALU_DEP_2) | instskip(NEXT) | instid1(VALU_DEP_3)
	v_lshlrev_b32_e32 v13, 20, v96
	v_lshl_add_u32 v10, v10, 23, 0x3c000000
	s_delay_alu instid0(VALU_DEP_3) | instskip(NEXT) | instid1(VALU_DEP_1)
	v_and_b32_e32 v12, 0x80000000, v12
	v_or3_b32 v10, v13, v12, v10
.LBB6_2094:                             ;   in Loop: Header=BB6_128 Depth=2
	s_or_b32 exec_lo, exec_lo, s28
.LBB6_2095:                             ;   in Loop: Header=BB6_128 Depth=2
	s_delay_alu instid0(SALU_CYCLE_1)
	s_or_b32 exec_lo, exec_lo, s27
.LBB6_2096:                             ;   in Loop: Header=BB6_128 Depth=2
	s_delay_alu instid0(SALU_CYCLE_1) | instskip(NEXT) | instid1(VALU_DEP_1)
	s_or_b32 exec_lo, exec_lo, s10
	v_mul_f32_e32 v11, v11, v10
                                        ; implicit-def: $vgpr10
	s_mov_b32 s10, exec_lo
	s_delay_alu instid0(VALU_DEP_1) | instskip(SKIP_1) | instid1(VALU_DEP_2)
	v_and_b32_e32 v96, 0x7f800000, v11
	v_lshrrev_b32_e32 v12, 24, v11
	v_cmpx_ne_u64_e32 0x7f800000, v[96:97]
	s_xor_b32 s27, exec_lo, s10
	s_cbranch_execz .LBB6_2110
; %bb.2097:                             ;   in Loop: Header=BB6_128 Depth=2
	v_and_b32_e32 v96, 0x7fffffff, v11
	v_and_b32_e32 v15, 0x80, v12
                                        ; implicit-def: $vgpr10
	s_mov_b32 s10, exec_lo
	s_delay_alu instid0(VALU_DEP_2)
	v_cmpx_gt_u64_e32 0x43e00001, v[96:97]
	s_xor_b32 s28, exec_lo, s10
	s_cbranch_execz .LBB6_2107
; %bb.2098:                             ;   in Loop: Header=BB6_128 Depth=2
	v_mov_b32_e32 v10, 0
	s_mov_b32 s29, exec_lo
	v_cmpx_ne_u32_e32 0, v11
	s_cbranch_execz .LBB6_2106
; %bb.2099:                             ;   in Loop: Header=BB6_128 Depth=2
	v_and_b32_e32 v10, 0x7fffff, v11
	v_bfe_u32 v16, v11, 23, 8
	s_delay_alu instid0(VALU_DEP_2) | instskip(NEXT) | instid1(VALU_DEP_2)
	v_or_b32_e32 v12, 0x800000, v10
	v_cmp_eq_u32_e32 vcc_lo, 0, v16
	v_cmp_gt_u32_e64 s10, 0x7a, v16
	s_delay_alu instid0(VALU_DEP_3) | instskip(NEXT) | instid1(VALU_DEP_1)
	v_dual_cndmask_b32 v96, v12, v10 :: v_dual_sub_nc_u32 v11, 0x79, v16
	v_cndmask_b32_e64 v11, 0, v11, s10
	s_delay_alu instid0(VALU_DEP_1) | instskip(NEXT) | instid1(VALU_DEP_1)
	v_cndmask_b32_e64 v17, v11, 0x78, vcc_lo
	v_dual_add_nc_u32 v10, 20, v17 :: v_dual_add_nc_u32 v12, 19, v17
	s_delay_alu instid0(VALU_DEP_1) | instskip(NEXT) | instid1(VALU_DEP_2)
	v_lshlrev_b64_e64 v[10:11], v10, -1
	v_lshlrev_b64_e64 v[12:13], v12, 1
	s_delay_alu instid0(VALU_DEP_2) | instskip(NEXT) | instid1(VALU_DEP_3)
	v_bfi_b32 v11, v11, 0, 0
	v_bfi_b32 v10, v10, 0, v96
	s_delay_alu instid0(VALU_DEP_1) | instskip(SKIP_1) | instid1(VALU_DEP_1)
	v_cmp_eq_u64_e64 s10, v[10:11], v[12:13]
	v_lshrrev_b64 v[10:11], v17, v[96:97]
	v_mov_b64_e32 v[12:13], v[10:11]
	s_and_saveexec_b32 s40, s10
; %bb.2100:                             ;   in Loop: Header=BB6_128 Depth=2
	v_bfe_u32 v96, v10, 20, 1
	s_delay_alu instid0(VALU_DEP_1) | instskip(NEXT) | instid1(VALU_DEP_1)
	v_add_nc_u64_e32 v[12:13], v[10:11], v[96:97]
	v_add_nc_u64_e32 v[12:13], -1, v[12:13]
; %bb.2101:                             ;   in Loop: Header=BB6_128 Depth=2
	s_or_b32 exec_lo, exec_lo, s40
	v_add_nc_u32_e32 v11, 0xffffff81, v16
	v_lshrrev_b32_e32 v13, 23, v10
	s_mov_b32 s10, exec_lo
	s_delay_alu instid0(VALU_DEP_2) | instskip(NEXT) | instid1(VALU_DEP_1)
	v_cndmask_b32_e64 v11, v11, 0xffffff82, vcc_lo
	v_add3_u32 v16, v17, v11, v13
	v_and_b32_e32 v11, 0xfffff, v12
                                        ; implicit-def: $vgpr12
	s_delay_alu instid0(VALU_DEP_1) | instskip(NEXT) | instid1(VALU_DEP_1)
	v_dual_add_nc_u32 v13, 6, v16 :: v_dual_add_nc_u32 v96, v11, v10
                                        ; implicit-def: $vgpr10_vgpr11
	v_cmpx_ne_u32_e32 0, v13
	s_xor_b32 s10, exec_lo, s10
; %bb.2102:                             ;   in Loop: Header=BB6_128 Depth=2
	s_delay_alu instid0(VALU_DEP_2) | instskip(SKIP_1) | instid1(VALU_DEP_1)
	v_cmp_lt_u64_e32 vcc_lo, 0xffffff, v[96:97]
	v_add_nc_u32_e32 v10, 7, v16
	v_cndmask_b32_e32 v12, v13, v10, vcc_lo
	v_cndmask_b32_e64 v10, 0, 1, vcc_lo
	s_delay_alu instid0(VALU_DEP_1)
	v_lshrrev_b64 v[10:11], v10, v[96:97]
; %bb.2103:                             ;   in Loop: Header=BB6_128 Depth=2
	s_and_not1_saveexec_b32 s10, s10
; %bb.2104:                             ;   in Loop: Header=BB6_128 Depth=2
	v_mov_b64_e32 v[10:11], v[96:97]
	v_bfe_u32 v12, v96, 23, 1
; %bb.2105:                             ;   in Loop: Header=BB6_128 Depth=2
	s_or_b32 exec_lo, exec_lo, s10
	s_delay_alu instid0(VALU_DEP_2) | instskip(NEXT) | instid1(VALU_DEP_2)
	v_lshrrev_b64 v[10:11], 20, v[10:11]
	v_cmp_gt_i32_e32 vcc_lo, 16, v12
	v_min_i32_e32 v13, 15, v12
	v_cmp_eq_u32_e64 s10, 0, v12
	s_delay_alu instid0(VALU_DEP_2) | instskip(SKIP_1) | instid1(VALU_DEP_2)
	v_dual_cndmask_b32 v11, 0, v11, vcc_lo :: v_dual_lshlrev_b32 v13, 3, v13
	v_cndmask_b32_e32 v10, 7, v10, vcc_lo
	v_and_b32_e32 v13, 0xf8, v13
	s_delay_alu instid0(VALU_DEP_2) | instskip(NEXT) | instid1(VALU_DEP_2)
	v_cmp_eq_u64_e32 vcc_lo, 0, v[10:11]
	v_and_or_b32 v10, v10, 7, v13
	s_and_b32 s10, s10, vcc_lo
	s_delay_alu instid0(VALU_DEP_1) | instid1(SALU_CYCLE_1)
	v_cndmask_b32_e64 v10, v10, 0, s10
	s_delay_alu instid0(VALU_DEP_1)
	v_or_b32_e32 v10, v10, v15
.LBB6_2106:                             ;   in Loop: Header=BB6_128 Depth=2
	s_or_b32 exec_lo, exec_lo, s29
                                        ; implicit-def: $vgpr15
.LBB6_2107:                             ;   in Loop: Header=BB6_128 Depth=2
	s_and_not1_saveexec_b32 s10, s28
; %bb.2108:                             ;   in Loop: Header=BB6_128 Depth=2
	v_or_b32_e32 v10, 0x7e, v15
; %bb.2109:                             ;   in Loop: Header=BB6_128 Depth=2
	s_or_b32 exec_lo, exec_lo, s10
                                        ; implicit-def: $vgpr12
.LBB6_2110:                             ;   in Loop: Header=BB6_128 Depth=2
	s_and_not1_saveexec_b32 s10, s27
	s_cbranch_execz .LBB6_127
; %bb.2111:                             ;   in Loop: Header=BB6_128 Depth=2
	v_or_b32_e32 v10, 0x7f, v12
	s_branch .LBB6_127
.LBB6_2112:                             ;   in Loop: Header=BB6_49 Depth=1
	s_or_b32 exec_lo, exec_lo, s12
	scratch_load_b32 v112, off, s33 offset:220 ; 4-byte Folded Reload
	v_dual_mov_b32 v113, 1 :: v_dual_mov_b32 v46, 0x90
.LBB6_2113:                             ;   in Loop: Header=BB6_49 Depth=1
	s_wait_xcnt 0x0
	s_or_b32 exec_lo, exec_lo, s11
	v_and_b32_e32 v11, 0x3ffff800, v119
	v_mov_b32_e32 v20, 0
	s_mov_b32 s10, 0
	s_mov_b32 s27, exec_lo
                                        ; implicit-def: $vgpr21
                                        ; implicit-def: $vgpr22
                                        ; implicit-def: $vgpr10
	s_delay_alu instid0(VALU_DEP_2)
	v_cmpx_ne_u32_e64 v119, v11
	s_cbranch_execz .LBB6_2617
; %bb.2114:                             ;   in Loop: Header=BB6_49 Depth=1
	scratch_load_b32 v3, off, s33 offset:224 ; 4-byte Folded Reload
	v_lshlrev_b32_e32 v2, 5, v41
	v_and_b32_e32 v32, 0x1ff, v119
	v_bfe_u32 v13, v119, 9, 2
	v_and_b32_e32 v12, 0x7ff, v119
	s_mov_b32 s28, exec_lo
	s_delay_alu instid0(VALU_DEP_3) | instskip(NEXT) | instid1(VALU_DEP_3)
	v_cmp_lt_u32_e32 vcc_lo, 15, v32
	v_add_co_ci_u32_e64 v13, null, 0, v13, vcc_lo
	s_wait_loadcnt 0x0
	v_sub_nc_u32_e32 v2, v3, v2
	s_delay_alu instid0(VALU_DEP_1) | instskip(NEXT) | instid1(VALU_DEP_1)
	v_ashrrev_i32_e32 v3, 31, v2
	v_lshrrev_b32_e32 v3, 27, v3
	s_delay_alu instid0(VALU_DEP_1) | instskip(NEXT) | instid1(VALU_DEP_1)
	v_add_nc_u32_e32 v3, v2, v3
	v_and_b32_e32 v10, 0xffffffe0, v3
	s_delay_alu instid0(VALU_DEP_1) | instskip(NEXT) | instid1(VALU_DEP_1)
	v_dual_ashrrev_i32 v3, 5, v3 :: v_dual_sub_nc_u32 v2, v2, v10
	v_lshlrev_b32_e32 v10, 4, v2
	s_delay_alu instid0(VALU_DEP_1) | instskip(NEXT) | instid1(VALU_DEP_1)
	v_lshl_add_u32 v10, v3, 9, v10
	v_dual_sub_nc_u32 v3, v13, v3 :: v_dual_sub_nc_u32 v33, v12, v10
	s_wait_xcnt 0x0
	s_delay_alu instid0(VALU_DEP_1)
	v_cmpx_lt_i32_e32 15, v33
	s_cbranch_execz .LBB6_2614
; %bb.2115:                             ;   in Loop: Header=BB6_49 Depth=1
	s_trap 2
	ds_load_b64 v[12:13], v0
	v_add_nc_u32_e32 v10, v10, v11
	s_mov_b32 s29, 0
	s_delay_alu instid0(VALU_DEP_1) | instskip(NEXT) | instid1(VALU_DEP_1)
	v_ashrrev_i32_e32 v11, 31, v10
	v_add_nc_u64_e32 v[18:19], v[10:11], v[42:43]
	v_add_nc_u64_e32 v[22:23], v[10:11], v[44:45]
	s_wait_dscnt 0x0
	v_add_nc_u64_e32 v[20:21], v[12:13], v[10:11]
	s_branch .LBB6_2117
.LBB6_2116:                             ;   in Loop: Header=BB6_2117 Depth=2
	s_or_b32 exec_lo, exec_lo, s10
	v_lshl_or_b32 v11, v29, 8, v28
	v_dual_lshlrev_b32 v12, 16, v26 :: v_dual_lshlrev_b32 v13, 24, v27
	v_lshl_or_b32 v15, v35, 8, v34
	v_dual_lshlrev_b32 v16, 16, v36 :: v_dual_lshlrev_b32 v17, 24, v37
	;; [unrolled: 2-line block ×3, first 2 shown]
	v_lshlrev_b32_e32 v29, 24, v10
	v_lshlrev_b32_e32 v14, 16, v14
	v_lshl_or_b32 v24, v25, 8, v24
	v_or3_b32 v11, v11, v12, v13
	v_or3_b32 v10, v15, v16, v17
	;; [unrolled: 1-line block ×3, first 2 shown]
	v_sub_nc_u32_e32 v33, v33, v102
	v_or3_b32 v13, v24, v14, v29
	v_add_nc_u64_e32 v[18:19], v[18:19], v[102:103]
	v_add_nc_u64_e32 v[20:21], v[20:21], v[102:103]
	v_sub_nc_u32_e32 v3, v3, v86
	v_cmp_gt_i32_e64 s10, 16, v33
	global_store_b128 v[22:23], v[10:13], off th:TH_STORE_NT
	s_wait_xcnt 0x0
	v_add_nc_u64_e32 v[22:23], v[22:23], v[102:103]
	s_or_b32 s29, s10, s29
	s_delay_alu instid0(SALU_CYCLE_1)
	s_and_not1_b32 exec_lo, exec_lo, s29
	s_cbranch_execz .LBB6_2613
.LBB6_2117:                             ;   Parent Loop BB6_49 Depth=1
                                        ; =>  This Inner Loop Header: Depth=2
	global_load_b128 v[14:17], v[18:19], off th:TH_LOAD_NT
	global_load_b128 v[10:13], v[20:21], off th:TH_LOAD_NT
	v_mov_b32_e32 v24, 0
	s_mov_b32 s11, exec_lo
	s_wait_loadcnt 0x1
	v_and_b32_e32 v25, 0xff, v14
	s_wait_xcnt 0x0
	s_delay_alu instid0(VALU_DEP_1)
	v_cmpx_ne_u16_e32 0, v25
	s_cbranch_execz .LBB6_2123
; %bb.2118:                             ;   in Loop: Header=BB6_2117 Depth=2
	v_bfrev_b32_e32 v24, 1
	s_mov_b32 s12, exec_lo
	v_cmpx_ne_u16_e32 0x80, v25
	s_cbranch_execz .LBB6_2122
; %bb.2119:                             ;   in Loop: Header=BB6_2117 Depth=2
	v_and_b32_e32 v25, 0x7f, v14
	v_mov_b32_e32 v24, 0x7f800001
	s_mov_b32 s40, exec_lo
	s_delay_alu instid0(VALU_DEP_2)
	v_cmpx_ne_u32_e32 0x7f, v25
	s_cbranch_execz .LBB6_2121
; %bb.2120:                             ;   in Loop: Header=BB6_2117 Depth=2
	v_dual_lshrrev_b32 v26, 3, v25 :: v_dual_bitop2_b32 v24, 7, v14 bitop3:0x40
	v_cmp_gt_u32_e64 s10, 8, v25
	s_delay_alu instid0(VALU_DEP_2) | instskip(NEXT) | instid1(VALU_DEP_1)
	v_clz_i32_u32_e32 v24, v24
	v_min_u32_e32 v24, 32, v24
	s_delay_alu instid0(VALU_DEP_1) | instskip(SKIP_1) | instid1(VALU_DEP_1)
	v_subrev_nc_u32_e32 v27, 28, v24
	v_sub_nc_u32_e32 v24, 29, v24
	v_dual_cndmask_b32 v26, v26, v24, s10 :: v_dual_cndmask_b32 v24, 0, v27, s10
	s_delay_alu instid0(VALU_DEP_1) | instskip(NEXT) | instid1(VALU_DEP_2)
	v_lshl_add_u32 v26, v26, 23, 0x3c000000
	v_lshlrev_b64_e32 v[24:25], v24, v[14:15]
	v_lshlrev_b32_e32 v25, 24, v14
	s_delay_alu instid0(VALU_DEP_1) | instskip(NEXT) | instid1(VALU_DEP_3)
	v_and_b32_e32 v25, 0x80000000, v25
	v_lshlrev_b32_e32 v24, 20, v24
	s_delay_alu instid0(VALU_DEP_1) | instskip(NEXT) | instid1(VALU_DEP_1)
	v_and_b32_e32 v24, 0x700000, v24
	v_or3_b32 v24, v24, v25, v26
.LBB6_2121:                             ;   in Loop: Header=BB6_2117 Depth=2
	s_or_b32 exec_lo, exec_lo, s40
.LBB6_2122:                             ;   in Loop: Header=BB6_2117 Depth=2
	s_delay_alu instid0(SALU_CYCLE_1)
	s_or_b32 exec_lo, exec_lo, s12
.LBB6_2123:                             ;   in Loop: Header=BB6_2117 Depth=2
	s_delay_alu instid0(SALU_CYCLE_1) | instskip(SKIP_4) | instid1(VALU_DEP_1)
	s_or_b32 exec_lo, exec_lo, s11
	s_wait_loadcnt 0x0
	v_and_b32_e32 v26, 0xff, v10
	s_mov_b32 s11, 0
	s_mov_b32 s12, exec_lo
	v_cmpx_lt_i16_e32 0x7f, v26
	s_xor_b32 s12, exec_lo, s12
	s_cbranch_execz .LBB6_2158
; %bb.2124:                             ;   in Loop: Header=BB6_2117 Depth=2
	s_mov_b32 s11, -1
	s_mov_b32 s40, exec_lo
	v_cmpx_eq_u16_e32 0x80, v26
; %bb.2125:                             ;   in Loop: Header=BB6_2117 Depth=2
	s_xor_b32 s11, exec_lo, -1
; %bb.2126:                             ;   in Loop: Header=BB6_2117 Depth=2
	s_or_b32 exec_lo, exec_lo, s40
	s_delay_alu instid0(SALU_CYCLE_1)
	s_and_b32 s11, s11, exec_lo
                                        ; implicit-def: $vgpr26
	s_or_saveexec_b32 s12, s12
	v_bfrev_b32_e32 v25, 1
	s_xor_b32 exec_lo, exec_lo, s12
	s_cbranch_execnz .LBB6_2159
.LBB6_2127:                             ;   in Loop: Header=BB6_2117 Depth=2
	s_or_b32 exec_lo, exec_lo, s12
	s_and_saveexec_b32 s12, s11
	s_cbranch_execz .LBB6_2129
.LBB6_2128:                             ;   in Loop: Header=BB6_2117 Depth=2
	v_and_b32_e32 v28, 0x7f, v10
	v_bfe_u32 v26, v10, 3, 4
	s_delay_alu instid0(VALU_DEP_2) | instskip(SKIP_1) | instid1(VALU_DEP_1)
	v_cmp_gt_u32_e64 s10, 8, v28
	v_and_b32_e32 v25, 7, v10
	v_clz_i32_u32_e32 v25, v25
	s_delay_alu instid0(VALU_DEP_1) | instskip(NEXT) | instid1(VALU_DEP_1)
	v_min_u32_e32 v25, 32, v25
	v_subrev_nc_u32_e32 v27, 28, v25
	v_sub_nc_u32_e32 v25, 29, v25
	s_delay_alu instid0(VALU_DEP_1) | instskip(SKIP_1) | instid1(VALU_DEP_2)
	v_dual_cndmask_b32 v25, v26, v25, s10 :: v_dual_cndmask_b32 v26, 0, v27, s10
	v_cmp_ne_u32_e64 s10, 0x7f, v28
	v_lshlrev_b64_e32 v[26:27], v26, v[10:11]
	v_lshlrev_b32_e32 v27, 24, v10
	s_delay_alu instid0(VALU_DEP_1) | instskip(NEXT) | instid1(VALU_DEP_3)
	v_and_b32_e32 v27, 0x80000000, v27
	v_lshlrev_b32_e32 v26, 20, v26
	v_lshl_add_u32 v25, v25, 23, 0x3c000000
	s_delay_alu instid0(VALU_DEP_2) | instskip(NEXT) | instid1(VALU_DEP_1)
	v_and_b32_e32 v26, 0x700000, v26
	v_or3_b32 v25, v26, v27, v25
	s_delay_alu instid0(VALU_DEP_1)
	v_cndmask_b32_e64 v25, 0x7f800001, v25, s10
.LBB6_2129:                             ;   in Loop: Header=BB6_2117 Depth=2
	s_or_b32 exec_lo, exec_lo, s12
	s_delay_alu instid0(VALU_DEP_1) | instskip(SKIP_1) | instid1(VALU_DEP_1)
	v_mul_f32_e32 v24, v24, v25
                                        ; implicit-def: $vgpr34
	s_mov_b32 s11, exec_lo
	v_and_b32_e32 v96, 0x7f800000, v24
	v_lshrrev_b32_e32 v25, 24, v24
	s_delay_alu instid0(VALU_DEP_2)
	v_cmpx_ne_u64_e32 0x7f800000, v[96:97]
	s_xor_b32 s12, exec_lo, s11
	s_cbranch_execz .LBB6_2143
; %bb.2130:                             ;   in Loop: Header=BB6_2117 Depth=2
	v_and_b32_e32 v96, 0x7fffffff, v24
	v_and_b32_e32 v28, 0x80, v25
                                        ; implicit-def: $vgpr34
	s_mov_b32 s11, exec_lo
	s_delay_alu instid0(VALU_DEP_2)
	v_cmpx_gt_u64_e32 0x43e00001, v[96:97]
	s_xor_b32 s40, exec_lo, s11
	s_cbranch_execz .LBB6_2140
; %bb.2131:                             ;   in Loop: Header=BB6_2117 Depth=2
	v_mov_b32_e32 v34, 0
	s_mov_b32 s41, exec_lo
	v_cmpx_ne_u32_e32 0, v24
	s_cbranch_execz .LBB6_2139
; %bb.2132:                             ;   in Loop: Header=BB6_2117 Depth=2
	v_bfe_u32 v29, v24, 23, 8
	v_and_b32_e32 v26, 0x7fffff, v24
	s_delay_alu instid0(VALU_DEP_2) | instskip(SKIP_1) | instid1(VALU_DEP_3)
	v_sub_nc_u32_e32 v25, 0x79, v29
	v_cmp_gt_u32_e64 s10, 0x7a, v29
	v_or_b32_e32 v27, 0x800000, v26
	s_delay_alu instid0(VALU_DEP_2) | instskip(SKIP_1) | instid1(VALU_DEP_1)
	v_cndmask_b32_e64 v25, 0, v25, s10
	v_cmp_eq_u32_e64 s10, 0, v29
	v_cndmask_b32_e64 v31, v25, 0x78, s10
	s_delay_alu instid0(VALU_DEP_1) | instskip(SKIP_1) | instid1(VALU_DEP_2)
	v_dual_cndmask_b32 v96, v27, v26, s10 :: v_dual_add_nc_u32 v34, 19, v31
	v_add_nc_u32_e32 v24, 20, v31
	v_lshlrev_b64_e64 v[26:27], v34, 1
	s_delay_alu instid0(VALU_DEP_2) | instskip(NEXT) | instid1(VALU_DEP_1)
	v_lshlrev_b64_e64 v[24:25], v24, -1
	v_bfi_b32 v35, v25, 0, 0
	s_delay_alu instid0(VALU_DEP_2) | instskip(SKIP_1) | instid1(VALU_DEP_2)
	v_bfi_b32 v34, v24, 0, v96
	v_lshrrev_b64 v[24:25], v31, v[96:97]
	v_cmp_eq_u64_e64 s11, v[34:35], v[26:27]
	s_delay_alu instid0(VALU_DEP_2)
	v_mov_b64_e32 v[26:27], v[24:25]
	s_and_saveexec_b32 s42, s11
; %bb.2133:                             ;   in Loop: Header=BB6_2117 Depth=2
	v_bfe_u32 v96, v24, 20, 1
	s_delay_alu instid0(VALU_DEP_1) | instskip(NEXT) | instid1(VALU_DEP_1)
	v_add_nc_u64_e32 v[26:27], v[24:25], v[96:97]
	v_add_nc_u64_e32 v[26:27], -1, v[26:27]
; %bb.2134:                             ;   in Loop: Header=BB6_2117 Depth=2
	s_or_b32 exec_lo, exec_lo, s42
	v_add_nc_u32_e32 v25, 0xffffff81, v29
	v_lshrrev_b32_e32 v27, 23, v24
	s_mov_b32 s11, exec_lo
	s_delay_alu instid0(VALU_DEP_2) | instskip(NEXT) | instid1(VALU_DEP_1)
	v_cndmask_b32_e64 v25, v25, 0xffffff82, s10
	v_add3_u32 v27, v31, v25, v27
	v_and_b32_e32 v25, 0xfffff, v26
                                        ; implicit-def: $vgpr26
	s_delay_alu instid0(VALU_DEP_1) | instskip(NEXT) | instid1(VALU_DEP_1)
	v_dual_add_nc_u32 v29, 6, v27 :: v_dual_add_nc_u32 v96, v25, v24
                                        ; implicit-def: $vgpr24_vgpr25
	v_cmpx_ne_u32_e32 0, v29
	s_xor_b32 s11, exec_lo, s11
; %bb.2135:                             ;   in Loop: Header=BB6_2117 Depth=2
	s_delay_alu instid0(VALU_DEP_2) | instskip(SKIP_1) | instid1(VALU_DEP_1)
	v_cmp_lt_u64_e64 s10, 0xffffff, v[96:97]
	v_add_nc_u32_e32 v24, 7, v27
	v_cndmask_b32_e64 v26, v29, v24, s10
	v_cndmask_b32_e64 v24, 0, 1, s10
	s_delay_alu instid0(VALU_DEP_1)
	v_lshrrev_b64 v[24:25], v24, v[96:97]
; %bb.2136:                             ;   in Loop: Header=BB6_2117 Depth=2
	s_and_not1_saveexec_b32 s10, s11
; %bb.2137:                             ;   in Loop: Header=BB6_2117 Depth=2
	v_mov_b64_e32 v[24:25], v[96:97]
	v_bfe_u32 v26, v96, 23, 1
; %bb.2138:                             ;   in Loop: Header=BB6_2117 Depth=2
	s_or_b32 exec_lo, exec_lo, s10
	s_delay_alu instid0(VALU_DEP_2) | instskip(NEXT) | instid1(VALU_DEP_2)
	v_lshrrev_b64 v[24:25], 20, v[24:25]
	v_cmp_gt_i32_e64 s10, 16, v26
	v_min_i32_e32 v27, 15, v26
	v_cmp_eq_u32_e64 s11, 0, v26
	s_delay_alu instid0(VALU_DEP_2) | instskip(SKIP_1) | instid1(VALU_DEP_2)
	v_dual_cndmask_b32 v25, 0, v25, s10 :: v_dual_lshlrev_b32 v27, 3, v27
	v_cndmask_b32_e64 v24, 7, v24, s10
	v_and_b32_e32 v27, 0xf8, v27
	s_delay_alu instid0(VALU_DEP_2) | instskip(NEXT) | instid1(VALU_DEP_2)
	v_cmp_eq_u64_e64 s10, 0, v[24:25]
	v_and_or_b32 v24, v24, 7, v27
	s_and_b32 s10, s11, s10
	s_delay_alu instid0(VALU_DEP_1) | instid1(SALU_CYCLE_1)
	v_cndmask_b32_e64 v24, v24, 0, s10
	s_delay_alu instid0(VALU_DEP_1)
	v_or_b32_e32 v34, v24, v28
.LBB6_2139:                             ;   in Loop: Header=BB6_2117 Depth=2
	s_or_b32 exec_lo, exec_lo, s41
                                        ; implicit-def: $vgpr28
.LBB6_2140:                             ;   in Loop: Header=BB6_2117 Depth=2
	s_and_not1_saveexec_b32 s10, s40
; %bb.2141:                             ;   in Loop: Header=BB6_2117 Depth=2
	v_or_b32_e32 v34, 0x7e, v28
; %bb.2142:                             ;   in Loop: Header=BB6_2117 Depth=2
	s_or_b32 exec_lo, exec_lo, s10
                                        ; implicit-def: $vgpr25
.LBB6_2143:                             ;   in Loop: Header=BB6_2117 Depth=2
	s_and_not1_saveexec_b32 s10, s12
; %bb.2144:                             ;   in Loop: Header=BB6_2117 Depth=2
	v_or_b32_e32 v34, 0x7f, v25
; %bb.2145:                             ;   in Loop: Header=BB6_2117 Depth=2
	s_or_b32 exec_lo, exec_lo, s10
	v_lshrrev_b16 v24, 8, v14
	v_mov_b32_e32 v25, 0
	s_mov_b32 s11, exec_lo
	s_delay_alu instid0(VALU_DEP_2)
	v_cmpx_ne_u16_e32 0, v24
	s_cbranch_execz .LBB6_2153
; %bb.2146:                             ;   in Loop: Header=BB6_2117 Depth=2
	v_bfrev_b32_e32 v25, 1
	s_mov_b32 s12, exec_lo
	v_cmpx_ne_u16_e32 0x80, v24
	s_cbranch_execz .LBB6_2152
; %bb.2147:                             ;   in Loop: Header=BB6_2117 Depth=2
	v_and_b32_e32 v24, 0xffff, v24
	v_mov_b32_e32 v25, 0x7f800001
	s_mov_b32 s40, exec_lo
	s_delay_alu instid0(VALU_DEP_2) | instskip(NEXT) | instid1(VALU_DEP_1)
	v_and_b32_e32 v26, 0x7f, v24
	v_cmpx_ne_u32_e32 0x7f, v26
	s_cbranch_execz .LBB6_2151
; %bb.2148:                             ;   in Loop: Header=BB6_2117 Depth=2
	v_dual_lshrrev_b32 v24, 3, v26 :: v_dual_bitop2_b32 v96, 7, v24 bitop3:0x40
	s_mov_b32 s41, exec_lo
	v_cmpx_gt_u32_e32 8, v26
; %bb.2149:                             ;   in Loop: Header=BB6_2117 Depth=2
	s_delay_alu instid0(VALU_DEP_2) | instskip(NEXT) | instid1(VALU_DEP_1)
	v_clz_i32_u32_e32 v24, v96
	v_min_u32_e32 v24, 32, v24
	s_delay_alu instid0(VALU_DEP_1) | instskip(NEXT) | instid1(VALU_DEP_1)
	v_subrev_nc_u32_e32 v25, 28, v24
	v_lshlrev_b64_e32 v[26:27], v25, v[96:97]
	s_delay_alu instid0(VALU_DEP_1)
	v_dual_sub_nc_u32 v24, 29, v24 :: v_dual_bitop2_b32 v96, 7, v26 bitop3:0x40
; %bb.2150:                             ;   in Loop: Header=BB6_2117 Depth=2
	s_or_b32 exec_lo, exec_lo, s41
	s_delay_alu instid0(VALU_DEP_1) | instskip(NEXT) | instid1(VALU_DEP_2)
	v_dual_lshlrev_b32 v25, 16, v14 :: v_dual_lshlrev_b32 v26, 20, v96
	v_lshl_add_u32 v24, v24, 23, 0x3c000000
	s_delay_alu instid0(VALU_DEP_2) | instskip(NEXT) | instid1(VALU_DEP_1)
	v_and_b32_e32 v25, 0x80000000, v25
	v_or3_b32 v25, v26, v25, v24
.LBB6_2151:                             ;   in Loop: Header=BB6_2117 Depth=2
	s_or_b32 exec_lo, exec_lo, s40
.LBB6_2152:                             ;   in Loop: Header=BB6_2117 Depth=2
	s_delay_alu instid0(SALU_CYCLE_1)
	s_or_b32 exec_lo, exec_lo, s12
.LBB6_2153:                             ;   in Loop: Header=BB6_2117 Depth=2
	s_delay_alu instid0(SALU_CYCLE_1) | instskip(SKIP_3) | instid1(VALU_DEP_1)
	s_or_b32 exec_lo, exec_lo, s11
	v_lshrrev_b16 v26, 8, v10
	s_mov_b32 s12, 0
	s_mov_b32 s11, exec_lo
	v_cmpx_lt_i16_e32 0x7f, v26
	s_xor_b32 s11, exec_lo, s11
	s_cbranch_execz .LBB6_2160
; %bb.2154:                             ;   in Loop: Header=BB6_2117 Depth=2
	s_mov_b32 s12, -1
	s_mov_b32 s40, exec_lo
	v_cmpx_eq_u16_e32 0x80, v26
; %bb.2155:                             ;   in Loop: Header=BB6_2117 Depth=2
	s_xor_b32 s12, exec_lo, -1
; %bb.2156:                             ;   in Loop: Header=BB6_2117 Depth=2
	s_or_b32 exec_lo, exec_lo, s40
	s_delay_alu instid0(SALU_CYCLE_1)
	s_and_b32 s12, s12, exec_lo
	s_or_saveexec_b32 s11, s11
	v_bfrev_b32_e32 v27, 1
	s_xor_b32 exec_lo, exec_lo, s11
	s_cbranch_execnz .LBB6_2161
.LBB6_2157:                             ;   in Loop: Header=BB6_2117 Depth=2
	s_or_b32 exec_lo, exec_lo, s11
	s_and_saveexec_b32 s11, s12
	s_cbranch_execnz .LBB6_2162
	s_branch .LBB6_2165
.LBB6_2158:                             ;   in Loop: Header=BB6_2117 Depth=2
	s_or_saveexec_b32 s12, s12
	v_bfrev_b32_e32 v25, 1
	s_xor_b32 exec_lo, exec_lo, s12
	s_cbranch_execz .LBB6_2127
.LBB6_2159:                             ;   in Loop: Header=BB6_2117 Depth=2
	v_cmp_ne_u16_e64 s10, 0, v26
	v_mov_b32_e32 v25, 0
	s_and_not1_b32 s11, s11, exec_lo
	s_and_b32 s10, s10, exec_lo
	s_delay_alu instid0(SALU_CYCLE_1)
	s_or_b32 s11, s11, s10
	s_or_b32 exec_lo, exec_lo, s12
	s_and_saveexec_b32 s12, s11
	s_cbranch_execnz .LBB6_2128
	s_branch .LBB6_2129
.LBB6_2160:                             ;   in Loop: Header=BB6_2117 Depth=2
	s_or_saveexec_b32 s11, s11
	v_bfrev_b32_e32 v27, 1
	s_xor_b32 exec_lo, exec_lo, s11
	s_cbranch_execz .LBB6_2157
.LBB6_2161:                             ;   in Loop: Header=BB6_2117 Depth=2
	v_cmp_ne_u16_e64 s10, 0, v26
	v_mov_b32_e32 v27, 0
	s_and_not1_b32 s12, s12, exec_lo
	s_and_b32 s10, s10, exec_lo
	s_delay_alu instid0(SALU_CYCLE_1)
	s_or_b32 s12, s12, s10
	s_or_b32 exec_lo, exec_lo, s11
	s_and_saveexec_b32 s11, s12
	s_cbranch_execz .LBB6_2165
.LBB6_2162:                             ;   in Loop: Header=BB6_2117 Depth=2
	v_and_b32_e32 v24, 0xffff, v26
	v_mov_b32_e32 v27, 0x7f800001
	s_mov_b32 s12, exec_lo
	s_delay_alu instid0(VALU_DEP_2) | instskip(NEXT) | instid1(VALU_DEP_1)
	v_and_b32_e32 v28, 0x7f, v24
	v_cmpx_ne_u32_e32 0x7f, v28
	s_cbranch_execz .LBB6_2164
; %bb.2163:                             ;   in Loop: Header=BB6_2117 Depth=2
	v_and_b32_e32 v27, 7, v24
	v_cmp_gt_u32_e64 s10, 8, v28
	v_lshlrev_b32_e32 v26, 24, v26
	s_delay_alu instid0(VALU_DEP_3) | instskip(NEXT) | instid1(VALU_DEP_2)
	v_clz_i32_u32_e32 v29, v27
	v_and_b32_e32 v26, 0x80000000, v26
	s_delay_alu instid0(VALU_DEP_2) | instskip(NEXT) | instid1(VALU_DEP_1)
	v_min_u32_e32 v29, 32, v29
	v_subrev_nc_u32_e32 v31, 28, v29
	v_sub_nc_u32_e32 v29, 29, v29
	s_delay_alu instid0(VALU_DEP_2) | instskip(SKIP_1) | instid1(VALU_DEP_1)
	v_lshlrev_b64_e32 v[36:37], v31, v[24:25]
	v_lshrrev_b32_e32 v24, 3, v28
	v_dual_cndmask_b32 v24, v24, v29, s10 :: v_dual_bitop2_b32 v28, 7, v36 bitop3:0x40
	s_delay_alu instid0(VALU_DEP_1) | instskip(NEXT) | instid1(VALU_DEP_2)
	v_lshl_add_u32 v24, v24, 23, 0x3c000000
	v_cndmask_b32_e64 v27, v27, v28, s10
	s_delay_alu instid0(VALU_DEP_1) | instskip(NEXT) | instid1(VALU_DEP_1)
	v_lshlrev_b32_e32 v27, 20, v27
	v_or3_b32 v27, v27, v26, v24
.LBB6_2164:                             ;   in Loop: Header=BB6_2117 Depth=2
	s_or_b32 exec_lo, exec_lo, s12
.LBB6_2165:                             ;   in Loop: Header=BB6_2117 Depth=2
	s_delay_alu instid0(SALU_CYCLE_1) | instskip(NEXT) | instid1(VALU_DEP_1)
	s_or_b32 exec_lo, exec_lo, s11
	v_mul_f32_e32 v24, v25, v27
                                        ; implicit-def: $vgpr35
	s_mov_b32 s11, exec_lo
	s_delay_alu instid0(VALU_DEP_1) | instskip(SKIP_1) | instid1(VALU_DEP_2)
	v_and_b32_e32 v96, 0x7f800000, v24
	v_lshrrev_b32_e32 v25, 24, v24
	v_cmpx_ne_u64_e32 0x7f800000, v[96:97]
	s_xor_b32 s12, exec_lo, s11
	s_cbranch_execz .LBB6_2179
; %bb.2166:                             ;   in Loop: Header=BB6_2117 Depth=2
	v_and_b32_e32 v96, 0x7fffffff, v24
	v_and_b32_e32 v28, 0x80, v25
                                        ; implicit-def: $vgpr35
	s_mov_b32 s11, exec_lo
	s_delay_alu instid0(VALU_DEP_2)
	v_cmpx_gt_u64_e32 0x43e00001, v[96:97]
	s_xor_b32 s40, exec_lo, s11
	s_cbranch_execz .LBB6_2176
; %bb.2167:                             ;   in Loop: Header=BB6_2117 Depth=2
	v_mov_b32_e32 v35, 0
	s_mov_b32 s41, exec_lo
	v_cmpx_ne_u32_e32 0, v24
	s_cbranch_execz .LBB6_2175
; %bb.2168:                             ;   in Loop: Header=BB6_2117 Depth=2
	v_bfe_u32 v29, v24, 23, 8
	v_and_b32_e32 v26, 0x7fffff, v24
	s_delay_alu instid0(VALU_DEP_2) | instskip(SKIP_1) | instid1(VALU_DEP_3)
	v_sub_nc_u32_e32 v25, 0x79, v29
	v_cmp_gt_u32_e64 s10, 0x7a, v29
	v_or_b32_e32 v27, 0x800000, v26
	s_delay_alu instid0(VALU_DEP_2) | instskip(SKIP_1) | instid1(VALU_DEP_1)
	v_cndmask_b32_e64 v25, 0, v25, s10
	v_cmp_eq_u32_e64 s10, 0, v29
	v_cndmask_b32_e64 v31, v25, 0x78, s10
	s_delay_alu instid0(VALU_DEP_1) | instskip(SKIP_1) | instid1(VALU_DEP_2)
	v_dual_cndmask_b32 v96, v27, v26, s10 :: v_dual_add_nc_u32 v35, 19, v31
	v_add_nc_u32_e32 v24, 20, v31
	v_lshlrev_b64_e64 v[26:27], v35, 1
	s_delay_alu instid0(VALU_DEP_2) | instskip(NEXT) | instid1(VALU_DEP_1)
	v_lshlrev_b64_e64 v[24:25], v24, -1
	v_bfi_b32 v37, v25, 0, 0
	s_delay_alu instid0(VALU_DEP_2) | instskip(SKIP_1) | instid1(VALU_DEP_2)
	v_bfi_b32 v36, v24, 0, v96
	v_lshrrev_b64 v[24:25], v31, v[96:97]
	v_cmp_eq_u64_e64 s11, v[36:37], v[26:27]
	s_delay_alu instid0(VALU_DEP_2)
	v_mov_b64_e32 v[26:27], v[24:25]
	s_and_saveexec_b32 s42, s11
; %bb.2169:                             ;   in Loop: Header=BB6_2117 Depth=2
	v_bfe_u32 v96, v24, 20, 1
	s_delay_alu instid0(VALU_DEP_1) | instskip(NEXT) | instid1(VALU_DEP_1)
	v_add_nc_u64_e32 v[26:27], v[24:25], v[96:97]
	v_add_nc_u64_e32 v[26:27], -1, v[26:27]
; %bb.2170:                             ;   in Loop: Header=BB6_2117 Depth=2
	s_or_b32 exec_lo, exec_lo, s42
	v_add_nc_u32_e32 v25, 0xffffff81, v29
	v_lshrrev_b32_e32 v27, 23, v24
	s_mov_b32 s11, exec_lo
	s_delay_alu instid0(VALU_DEP_2) | instskip(NEXT) | instid1(VALU_DEP_1)
	v_cndmask_b32_e64 v25, v25, 0xffffff82, s10
	v_add3_u32 v27, v31, v25, v27
	v_and_b32_e32 v25, 0xfffff, v26
                                        ; implicit-def: $vgpr26
	s_delay_alu instid0(VALU_DEP_1) | instskip(NEXT) | instid1(VALU_DEP_1)
	v_dual_add_nc_u32 v29, 6, v27 :: v_dual_add_nc_u32 v96, v25, v24
                                        ; implicit-def: $vgpr24_vgpr25
	v_cmpx_ne_u32_e32 0, v29
	s_xor_b32 s11, exec_lo, s11
; %bb.2171:                             ;   in Loop: Header=BB6_2117 Depth=2
	s_delay_alu instid0(VALU_DEP_2) | instskip(SKIP_1) | instid1(VALU_DEP_1)
	v_cmp_lt_u64_e64 s10, 0xffffff, v[96:97]
	v_add_nc_u32_e32 v24, 7, v27
	v_cndmask_b32_e64 v26, v29, v24, s10
	v_cndmask_b32_e64 v24, 0, 1, s10
	s_delay_alu instid0(VALU_DEP_1)
	v_lshrrev_b64 v[24:25], v24, v[96:97]
; %bb.2172:                             ;   in Loop: Header=BB6_2117 Depth=2
	s_and_not1_saveexec_b32 s10, s11
; %bb.2173:                             ;   in Loop: Header=BB6_2117 Depth=2
	v_mov_b64_e32 v[24:25], v[96:97]
	v_bfe_u32 v26, v96, 23, 1
; %bb.2174:                             ;   in Loop: Header=BB6_2117 Depth=2
	s_or_b32 exec_lo, exec_lo, s10
	s_delay_alu instid0(VALU_DEP_2) | instskip(NEXT) | instid1(VALU_DEP_2)
	v_lshrrev_b64 v[24:25], 20, v[24:25]
	v_cmp_gt_i32_e64 s10, 16, v26
	v_min_i32_e32 v27, 15, v26
	v_cmp_eq_u32_e64 s11, 0, v26
	s_delay_alu instid0(VALU_DEP_2) | instskip(SKIP_1) | instid1(VALU_DEP_2)
	v_dual_cndmask_b32 v25, 0, v25, s10 :: v_dual_lshlrev_b32 v27, 3, v27
	v_cndmask_b32_e64 v24, 7, v24, s10
	v_and_b32_e32 v27, 0xf8, v27
	s_delay_alu instid0(VALU_DEP_2) | instskip(NEXT) | instid1(VALU_DEP_2)
	v_cmp_eq_u64_e64 s10, 0, v[24:25]
	v_and_or_b32 v24, v24, 7, v27
	s_and_b32 s10, s11, s10
	s_delay_alu instid0(VALU_DEP_1) | instid1(SALU_CYCLE_1)
	v_cndmask_b32_e64 v24, v24, 0, s10
	s_delay_alu instid0(VALU_DEP_1)
	v_or_b32_e32 v35, v24, v28
.LBB6_2175:                             ;   in Loop: Header=BB6_2117 Depth=2
	s_or_b32 exec_lo, exec_lo, s41
                                        ; implicit-def: $vgpr28
.LBB6_2176:                             ;   in Loop: Header=BB6_2117 Depth=2
	s_and_not1_saveexec_b32 s10, s40
; %bb.2177:                             ;   in Loop: Header=BB6_2117 Depth=2
	v_or_b32_e32 v35, 0x7e, v28
; %bb.2178:                             ;   in Loop: Header=BB6_2117 Depth=2
	s_or_b32 exec_lo, exec_lo, s10
                                        ; implicit-def: $vgpr25
.LBB6_2179:                             ;   in Loop: Header=BB6_2117 Depth=2
	s_and_not1_saveexec_b32 s10, s12
; %bb.2180:                             ;   in Loop: Header=BB6_2117 Depth=2
	v_or_b32_e32 v35, 0x7f, v25
; %bb.2181:                             ;   in Loop: Header=BB6_2117 Depth=2
	s_or_b32 exec_lo, exec_lo, s10
	v_dual_mov_b32 v25, 0 :: v_dual_lshrrev_b32 v24, 16, v14
	s_mov_b32 s11, exec_lo
	s_delay_alu instid0(VALU_DEP_1) | instskip(NEXT) | instid1(VALU_DEP_1)
	v_and_b32_e32 v26, 0xff, v24
	v_cmpx_ne_u16_e32 0, v26
	s_cbranch_execz .LBB6_2189
; %bb.2182:                             ;   in Loop: Header=BB6_2117 Depth=2
	v_bfrev_b32_e32 v25, 1
	s_mov_b32 s12, exec_lo
	v_cmpx_ne_u16_e32 0x80, v26
	s_cbranch_execz .LBB6_2188
; %bb.2183:                             ;   in Loop: Header=BB6_2117 Depth=2
	v_bfe_u32 v26, v14, 16, 7
	v_mov_b32_e32 v25, 0x7f800001
	s_mov_b32 s40, exec_lo
	s_delay_alu instid0(VALU_DEP_2)
	v_cmpx_ne_u32_e32 0x7f, v26
	s_cbranch_execz .LBB6_2187
; %bb.2184:                             ;   in Loop: Header=BB6_2117 Depth=2
	v_dual_lshrrev_b32 v25, 3, v26 :: v_dual_bitop2_b32 v96, 7, v24 bitop3:0x40
	s_mov_b32 s41, exec_lo
	v_cmpx_gt_u32_e32 8, v26
; %bb.2185:                             ;   in Loop: Header=BB6_2117 Depth=2
	s_delay_alu instid0(VALU_DEP_2) | instskip(NEXT) | instid1(VALU_DEP_1)
	v_clz_i32_u32_e32 v25, v96
	v_min_u32_e32 v25, 32, v25
	s_delay_alu instid0(VALU_DEP_1) | instskip(NEXT) | instid1(VALU_DEP_1)
	v_subrev_nc_u32_e32 v26, 28, v25
	v_lshlrev_b64_e32 v[26:27], v26, v[96:97]
	s_delay_alu instid0(VALU_DEP_1)
	v_dual_sub_nc_u32 v25, 29, v25 :: v_dual_bitop2_b32 v96, 7, v26 bitop3:0x40
; %bb.2186:                             ;   in Loop: Header=BB6_2117 Depth=2
	s_or_b32 exec_lo, exec_lo, s41
	v_lshlrev_b32_e32 v24, 24, v24
	s_delay_alu instid0(VALU_DEP_2) | instskip(NEXT) | instid1(VALU_DEP_3)
	v_lshlrev_b32_e32 v26, 20, v96
	v_lshl_add_u32 v25, v25, 23, 0x3c000000
	s_delay_alu instid0(VALU_DEP_3) | instskip(NEXT) | instid1(VALU_DEP_1)
	v_and_b32_e32 v24, 0x80000000, v24
	v_or3_b32 v25, v26, v24, v25
.LBB6_2187:                             ;   in Loop: Header=BB6_2117 Depth=2
	s_or_b32 exec_lo, exec_lo, s40
.LBB6_2188:                             ;   in Loop: Header=BB6_2117 Depth=2
	s_delay_alu instid0(SALU_CYCLE_1)
	s_or_b32 exec_lo, exec_lo, s12
.LBB6_2189:                             ;   in Loop: Header=BB6_2117 Depth=2
	s_delay_alu instid0(SALU_CYCLE_1) | instskip(SKIP_3) | instid1(VALU_DEP_1)
	s_or_b32 exec_lo, exec_lo, s11
	v_lshrrev_b32_e32 v24, 16, v10
	s_mov_b32 s12, 0
	s_mov_b32 s11, exec_lo
	v_and_b32_e32 v27, 0xff, v24
	s_delay_alu instid0(VALU_DEP_1)
	v_cmpx_lt_i16_e32 0x7f, v27
	s_xor_b32 s11, exec_lo, s11
	s_cbranch_execz .LBB6_2194
; %bb.2190:                             ;   in Loop: Header=BB6_2117 Depth=2
	s_mov_b32 s12, -1
	s_mov_b32 s40, exec_lo
	v_cmpx_eq_u16_e32 0x80, v27
; %bb.2191:                             ;   in Loop: Header=BB6_2117 Depth=2
	s_xor_b32 s12, exec_lo, -1
; %bb.2192:                             ;   in Loop: Header=BB6_2117 Depth=2
	s_or_b32 exec_lo, exec_lo, s40
	s_delay_alu instid0(SALU_CYCLE_1)
	s_and_b32 s12, s12, exec_lo
                                        ; implicit-def: $vgpr27
	s_or_saveexec_b32 s11, s11
	v_bfrev_b32_e32 v26, 1
	s_xor_b32 exec_lo, exec_lo, s11
	s_cbranch_execnz .LBB6_2195
.LBB6_2193:                             ;   in Loop: Header=BB6_2117 Depth=2
	s_or_b32 exec_lo, exec_lo, s11
	s_and_saveexec_b32 s11, s12
	s_cbranch_execnz .LBB6_2196
	s_branch .LBB6_2199
.LBB6_2194:                             ;   in Loop: Header=BB6_2117 Depth=2
	s_or_saveexec_b32 s11, s11
	v_bfrev_b32_e32 v26, 1
	s_xor_b32 exec_lo, exec_lo, s11
	s_cbranch_execz .LBB6_2193
.LBB6_2195:                             ;   in Loop: Header=BB6_2117 Depth=2
	v_cmp_ne_u16_e64 s10, 0, v27
	v_mov_b32_e32 v26, 0
	s_and_not1_b32 s12, s12, exec_lo
	s_and_b32 s10, s10, exec_lo
	s_delay_alu instid0(SALU_CYCLE_1)
	s_or_b32 s12, s12, s10
	s_or_b32 exec_lo, exec_lo, s11
	s_and_saveexec_b32 s11, s12
	s_cbranch_execz .LBB6_2199
.LBB6_2196:                             ;   in Loop: Header=BB6_2117 Depth=2
	v_and_b32_e32 v27, 0x7f, v24
	v_mov_b32_e32 v26, 0x7f800001
	s_mov_b32 s12, exec_lo
	s_delay_alu instid0(VALU_DEP_2)
	v_cmpx_ne_u32_e32 0x7f, v27
	s_cbranch_execz .LBB6_2198
; %bb.2197:                             ;   in Loop: Header=BB6_2117 Depth=2
	v_and_b32_e32 v26, 7, v24
	v_cmp_gt_u32_e64 s10, 8, v27
	s_delay_alu instid0(VALU_DEP_2) | instskip(NEXT) | instid1(VALU_DEP_1)
	v_clz_i32_u32_e32 v28, v26
	v_min_u32_e32 v31, 32, v28
	s_delay_alu instid0(VALU_DEP_1) | instskip(NEXT) | instid1(VALU_DEP_1)
	v_subrev_nc_u32_e32 v28, 28, v31
	v_lshlrev_b64_e32 v[28:29], v28, v[24:25]
	v_lshrrev_b32_e32 v29, 3, v27
	v_dual_sub_nc_u32 v31, 29, v31 :: v_dual_lshlrev_b32 v24, 24, v24
	s_delay_alu instid0(VALU_DEP_1) | instskip(NEXT) | instid1(VALU_DEP_2)
	v_dual_cndmask_b32 v28, v29, v31, s10 :: v_dual_bitop2_b32 v27, 7, v28 bitop3:0x40
	v_and_b32_e32 v24, 0x80000000, v24
	s_delay_alu instid0(VALU_DEP_2) | instskip(NEXT) | instid1(VALU_DEP_3)
	v_cndmask_b32_e64 v26, v26, v27, s10
	v_lshl_add_u32 v27, v28, 23, 0x3c000000
	s_delay_alu instid0(VALU_DEP_2) | instskip(NEXT) | instid1(VALU_DEP_1)
	v_lshlrev_b32_e32 v26, 20, v26
	v_or3_b32 v26, v26, v24, v27
.LBB6_2198:                             ;   in Loop: Header=BB6_2117 Depth=2
	s_or_b32 exec_lo, exec_lo, s12
.LBB6_2199:                             ;   in Loop: Header=BB6_2117 Depth=2
	s_delay_alu instid0(SALU_CYCLE_1) | instskip(NEXT) | instid1(VALU_DEP_1)
	s_or_b32 exec_lo, exec_lo, s11
	v_mul_f32_e32 v24, v25, v26
                                        ; implicit-def: $vgpr36
	s_mov_b32 s11, exec_lo
	s_delay_alu instid0(VALU_DEP_1) | instskip(SKIP_1) | instid1(VALU_DEP_2)
	v_and_b32_e32 v96, 0x7f800000, v24
	v_lshrrev_b32_e32 v25, 24, v24
	v_cmpx_ne_u64_e32 0x7f800000, v[96:97]
	s_xor_b32 s12, exec_lo, s11
	s_cbranch_execz .LBB6_2213
; %bb.2200:                             ;   in Loop: Header=BB6_2117 Depth=2
	v_and_b32_e32 v96, 0x7fffffff, v24
	v_and_b32_e32 v28, 0x80, v25
                                        ; implicit-def: $vgpr36
	s_mov_b32 s11, exec_lo
	s_delay_alu instid0(VALU_DEP_2)
	v_cmpx_gt_u64_e32 0x43e00001, v[96:97]
	s_xor_b32 s40, exec_lo, s11
	s_cbranch_execz .LBB6_2210
; %bb.2201:                             ;   in Loop: Header=BB6_2117 Depth=2
	v_mov_b32_e32 v36, 0
	s_mov_b32 s41, exec_lo
	v_cmpx_ne_u32_e32 0, v24
	s_cbranch_execz .LBB6_2209
; %bb.2202:                             ;   in Loop: Header=BB6_2117 Depth=2
	v_bfe_u32 v29, v24, 23, 8
	v_and_b32_e32 v26, 0x7fffff, v24
	s_delay_alu instid0(VALU_DEP_2) | instskip(SKIP_1) | instid1(VALU_DEP_3)
	v_sub_nc_u32_e32 v25, 0x79, v29
	v_cmp_gt_u32_e64 s10, 0x7a, v29
	v_or_b32_e32 v27, 0x800000, v26
	s_delay_alu instid0(VALU_DEP_2) | instskip(SKIP_1) | instid1(VALU_DEP_1)
	v_cndmask_b32_e64 v25, 0, v25, s10
	v_cmp_eq_u32_e64 s10, 0, v29
	v_cndmask_b32_e64 v31, v25, 0x78, s10
	s_delay_alu instid0(VALU_DEP_1) | instskip(SKIP_1) | instid1(VALU_DEP_2)
	v_dual_cndmask_b32 v96, v27, v26, s10 :: v_dual_add_nc_u32 v36, 19, v31
	v_add_nc_u32_e32 v24, 20, v31
	v_lshlrev_b64_e64 v[26:27], v36, 1
	s_delay_alu instid0(VALU_DEP_2) | instskip(NEXT) | instid1(VALU_DEP_1)
	v_lshlrev_b64_e64 v[24:25], v24, -1
	v_bfi_b32 v37, v25, 0, 0
	s_delay_alu instid0(VALU_DEP_2) | instskip(SKIP_1) | instid1(VALU_DEP_2)
	v_bfi_b32 v36, v24, 0, v96
	v_lshrrev_b64 v[24:25], v31, v[96:97]
	v_cmp_eq_u64_e64 s11, v[36:37], v[26:27]
	s_delay_alu instid0(VALU_DEP_2)
	v_mov_b64_e32 v[26:27], v[24:25]
	s_and_saveexec_b32 s42, s11
; %bb.2203:                             ;   in Loop: Header=BB6_2117 Depth=2
	v_bfe_u32 v96, v24, 20, 1
	s_delay_alu instid0(VALU_DEP_1) | instskip(NEXT) | instid1(VALU_DEP_1)
	v_add_nc_u64_e32 v[26:27], v[24:25], v[96:97]
	v_add_nc_u64_e32 v[26:27], -1, v[26:27]
; %bb.2204:                             ;   in Loop: Header=BB6_2117 Depth=2
	s_or_b32 exec_lo, exec_lo, s42
	v_add_nc_u32_e32 v25, 0xffffff81, v29
	v_lshrrev_b32_e32 v27, 23, v24
	s_mov_b32 s11, exec_lo
	s_delay_alu instid0(VALU_DEP_2) | instskip(NEXT) | instid1(VALU_DEP_1)
	v_cndmask_b32_e64 v25, v25, 0xffffff82, s10
	v_add3_u32 v27, v31, v25, v27
	v_and_b32_e32 v25, 0xfffff, v26
                                        ; implicit-def: $vgpr26
	s_delay_alu instid0(VALU_DEP_1) | instskip(NEXT) | instid1(VALU_DEP_1)
	v_dual_add_nc_u32 v29, 6, v27 :: v_dual_add_nc_u32 v96, v25, v24
                                        ; implicit-def: $vgpr24_vgpr25
	v_cmpx_ne_u32_e32 0, v29
	s_xor_b32 s11, exec_lo, s11
; %bb.2205:                             ;   in Loop: Header=BB6_2117 Depth=2
	s_delay_alu instid0(VALU_DEP_2) | instskip(SKIP_1) | instid1(VALU_DEP_1)
	v_cmp_lt_u64_e64 s10, 0xffffff, v[96:97]
	v_add_nc_u32_e32 v24, 7, v27
	v_cndmask_b32_e64 v26, v29, v24, s10
	v_cndmask_b32_e64 v24, 0, 1, s10
	s_delay_alu instid0(VALU_DEP_1)
	v_lshrrev_b64 v[24:25], v24, v[96:97]
; %bb.2206:                             ;   in Loop: Header=BB6_2117 Depth=2
	s_and_not1_saveexec_b32 s10, s11
; %bb.2207:                             ;   in Loop: Header=BB6_2117 Depth=2
	v_mov_b64_e32 v[24:25], v[96:97]
	v_bfe_u32 v26, v96, 23, 1
; %bb.2208:                             ;   in Loop: Header=BB6_2117 Depth=2
	s_or_b32 exec_lo, exec_lo, s10
	s_delay_alu instid0(VALU_DEP_2) | instskip(NEXT) | instid1(VALU_DEP_2)
	v_lshrrev_b64 v[24:25], 20, v[24:25]
	v_cmp_gt_i32_e64 s10, 16, v26
	v_min_i32_e32 v27, 15, v26
	v_cmp_eq_u32_e64 s11, 0, v26
	s_delay_alu instid0(VALU_DEP_2) | instskip(SKIP_1) | instid1(VALU_DEP_2)
	v_dual_cndmask_b32 v25, 0, v25, s10 :: v_dual_lshlrev_b32 v27, 3, v27
	v_cndmask_b32_e64 v24, 7, v24, s10
	v_and_b32_e32 v27, 0xf8, v27
	s_delay_alu instid0(VALU_DEP_2) | instskip(NEXT) | instid1(VALU_DEP_2)
	v_cmp_eq_u64_e64 s10, 0, v[24:25]
	v_and_or_b32 v24, v24, 7, v27
	s_and_b32 s10, s11, s10
	s_delay_alu instid0(VALU_DEP_1) | instid1(SALU_CYCLE_1)
	v_cndmask_b32_e64 v24, v24, 0, s10
	s_delay_alu instid0(VALU_DEP_1)
	v_or_b32_e32 v36, v24, v28
.LBB6_2209:                             ;   in Loop: Header=BB6_2117 Depth=2
	s_or_b32 exec_lo, exec_lo, s41
                                        ; implicit-def: $vgpr28
.LBB6_2210:                             ;   in Loop: Header=BB6_2117 Depth=2
	s_and_not1_saveexec_b32 s10, s40
; %bb.2211:                             ;   in Loop: Header=BB6_2117 Depth=2
	v_or_b32_e32 v36, 0x7e, v28
; %bb.2212:                             ;   in Loop: Header=BB6_2117 Depth=2
	s_or_b32 exec_lo, exec_lo, s10
                                        ; implicit-def: $vgpr25
.LBB6_2213:                             ;   in Loop: Header=BB6_2117 Depth=2
	s_and_not1_saveexec_b32 s10, s12
; %bb.2214:                             ;   in Loop: Header=BB6_2117 Depth=2
	v_or_b32_e32 v36, 0x7f, v25
; %bb.2215:                             ;   in Loop: Header=BB6_2117 Depth=2
	s_or_b32 exec_lo, exec_lo, s10
	v_mov_b32_e32 v25, 0
	s_mov_b32 s11, exec_lo
	v_cmpx_lt_u32_e32 0xffffff, v14
	s_cbranch_execz .LBB6_2223
; %bb.2216:                             ;   in Loop: Header=BB6_2117 Depth=2
	v_lshrrev_b32_e32 v24, 24, v14
	v_bfrev_b32_e32 v25, 1
	s_mov_b32 s12, exec_lo
	s_delay_alu instid0(VALU_DEP_2)
	v_cmpx_ne_u32_e32 0x80, v24
	s_cbranch_execz .LBB6_2222
; %bb.2217:                             ;   in Loop: Header=BB6_2117 Depth=2
	v_bfe_u32 v26, v14, 24, 7
	v_mov_b32_e32 v25, 0x7f800001
	s_mov_b32 s40, exec_lo
	s_delay_alu instid0(VALU_DEP_2)
	v_cmpx_ne_u32_e32 0x7f, v26
	s_cbranch_execz .LBB6_2221
; %bb.2218:                             ;   in Loop: Header=BB6_2117 Depth=2
	v_dual_lshrrev_b32 v25, 3, v26 :: v_dual_bitop2_b32 v96, 7, v24 bitop3:0x40
	s_mov_b32 s41, exec_lo
	v_cmpx_gt_u32_e32 8, v26
; %bb.2219:                             ;   in Loop: Header=BB6_2117 Depth=2
	s_delay_alu instid0(VALU_DEP_2) | instskip(NEXT) | instid1(VALU_DEP_1)
	v_clz_i32_u32_e32 v25, v96
	v_min_u32_e32 v25, 32, v25
	s_delay_alu instid0(VALU_DEP_1) | instskip(NEXT) | instid1(VALU_DEP_1)
	v_subrev_nc_u32_e32 v26, 28, v25
	v_lshlrev_b64_e32 v[26:27], v26, v[96:97]
	s_delay_alu instid0(VALU_DEP_1)
	v_dual_sub_nc_u32 v25, 29, v25 :: v_dual_bitop2_b32 v96, 7, v26 bitop3:0x40
; %bb.2220:                             ;   in Loop: Header=BB6_2117 Depth=2
	s_or_b32 exec_lo, exec_lo, s41
	v_lshlrev_b32_e32 v24, 24, v24
	s_delay_alu instid0(VALU_DEP_2) | instskip(NEXT) | instid1(VALU_DEP_3)
	v_lshlrev_b32_e32 v26, 20, v96
	v_lshl_add_u32 v25, v25, 23, 0x3c000000
	s_delay_alu instid0(VALU_DEP_3) | instskip(NEXT) | instid1(VALU_DEP_1)
	v_and_b32_e32 v24, 0x80000000, v24
	v_or3_b32 v25, v26, v24, v25
.LBB6_2221:                             ;   in Loop: Header=BB6_2117 Depth=2
	s_or_b32 exec_lo, exec_lo, s40
.LBB6_2222:                             ;   in Loop: Header=BB6_2117 Depth=2
	s_delay_alu instid0(SALU_CYCLE_1)
	s_or_b32 exec_lo, exec_lo, s12
.LBB6_2223:                             ;   in Loop: Header=BB6_2117 Depth=2
	s_delay_alu instid0(SALU_CYCLE_1) | instskip(SKIP_3) | instid1(VALU_DEP_3)
	s_or_b32 exec_lo, exec_lo, s11
	v_lshrrev_b32_e32 v24, 24, v10
	v_bfe_u32 v26, v10, 24, 7
	v_cmp_gt_u32_e64 s12, 0x1000000, v10
	v_cmp_eq_u32_e64 s10, 0x80, v24
	s_delay_alu instid0(VALU_DEP_3) | instskip(NEXT) | instid1(VALU_DEP_2)
	v_cmp_eq_u32_e64 s11, 0x7f, v26
	v_cndmask_b32_e64 v27, 0x7f800001, v77, s10
	s_or_b32 s10, s10, s11
	s_delay_alu instid0(SALU_CYCLE_1) | instskip(NEXT) | instid1(VALU_DEP_1)
	s_nor_b32 s10, s12, s10
	v_cndmask_b32_e64 v27, v27, 0, s12
	s_and_saveexec_b32 s11, s10
	s_cbranch_execz .LBB6_2225
; %bb.2224:                             ;   in Loop: Header=BB6_2117 Depth=2
	v_and_b32_e32 v27, 7, v24
	v_cmp_gt_u32_e64 s10, 8, v26
	s_delay_alu instid0(VALU_DEP_2) | instskip(NEXT) | instid1(VALU_DEP_1)
	v_clz_i32_u32_e32 v28, v27
	v_min_u32_e32 v31, 32, v28
	s_delay_alu instid0(VALU_DEP_1) | instskip(NEXT) | instid1(VALU_DEP_1)
	v_subrev_nc_u32_e32 v28, 28, v31
	v_lshlrev_b64_e32 v[28:29], v28, v[24:25]
	v_dual_lshrrev_b32 v29, 3, v26 :: v_dual_sub_nc_u32 v31, 29, v31
	v_lshlrev_b32_e32 v24, 24, v24
	s_delay_alu instid0(VALU_DEP_2) | instskip(NEXT) | instid1(VALU_DEP_2)
	v_dual_cndmask_b32 v28, v29, v31, s10 :: v_dual_bitop2_b32 v26, 7, v28 bitop3:0x40
	v_and_b32_e32 v24, 0x80000000, v24
	s_delay_alu instid0(VALU_DEP_2) | instskip(NEXT) | instid1(VALU_DEP_3)
	v_cndmask_b32_e64 v26, v27, v26, s10
	v_lshl_add_u32 v27, v28, 23, 0x3c000000
	s_delay_alu instid0(VALU_DEP_2) | instskip(NEXT) | instid1(VALU_DEP_1)
	v_lshlrev_b32_e32 v26, 20, v26
	v_or3_b32 v27, v26, v24, v27
.LBB6_2225:                             ;   in Loop: Header=BB6_2117 Depth=2
	s_or_b32 exec_lo, exec_lo, s11
	s_delay_alu instid0(VALU_DEP_1) | instskip(SKIP_1) | instid1(VALU_DEP_1)
	v_mul_f32_e32 v24, v25, v27
                                        ; implicit-def: $vgpr37
	s_mov_b32 s11, exec_lo
	v_and_b32_e32 v96, 0x7f800000, v24
	v_lshrrev_b32_e32 v25, 24, v24
	s_delay_alu instid0(VALU_DEP_2)
	v_cmpx_ne_u64_e32 0x7f800000, v[96:97]
	s_xor_b32 s12, exec_lo, s11
	s_cbranch_execz .LBB6_2239
; %bb.2226:                             ;   in Loop: Header=BB6_2117 Depth=2
	v_and_b32_e32 v96, 0x7fffffff, v24
	v_and_b32_e32 v28, 0x80, v25
                                        ; implicit-def: $vgpr37
	s_mov_b32 s11, exec_lo
	s_delay_alu instid0(VALU_DEP_2)
	v_cmpx_gt_u64_e32 0x43e00001, v[96:97]
	s_xor_b32 s40, exec_lo, s11
	s_cbranch_execz .LBB6_2236
; %bb.2227:                             ;   in Loop: Header=BB6_2117 Depth=2
	v_mov_b32_e32 v37, 0
	s_mov_b32 s41, exec_lo
	v_cmpx_ne_u32_e32 0, v24
	s_cbranch_execz .LBB6_2235
; %bb.2228:                             ;   in Loop: Header=BB6_2117 Depth=2
	v_bfe_u32 v29, v24, 23, 8
	v_and_b32_e32 v26, 0x7fffff, v24
	s_delay_alu instid0(VALU_DEP_2) | instskip(SKIP_1) | instid1(VALU_DEP_3)
	v_sub_nc_u32_e32 v25, 0x79, v29
	v_cmp_gt_u32_e64 s10, 0x7a, v29
	v_or_b32_e32 v27, 0x800000, v26
	s_delay_alu instid0(VALU_DEP_2) | instskip(SKIP_1) | instid1(VALU_DEP_1)
	v_cndmask_b32_e64 v25, 0, v25, s10
	v_cmp_eq_u32_e64 s10, 0, v29
	v_cndmask_b32_e64 v31, v25, 0x78, s10
	s_delay_alu instid0(VALU_DEP_1) | instskip(SKIP_1) | instid1(VALU_DEP_2)
	v_dual_cndmask_b32 v96, v27, v26, s10 :: v_dual_add_nc_u32 v37, 19, v31
	v_add_nc_u32_e32 v24, 20, v31
	v_lshlrev_b64_e64 v[26:27], v37, 1
	s_delay_alu instid0(VALU_DEP_2) | instskip(NEXT) | instid1(VALU_DEP_1)
	v_lshlrev_b64_e64 v[24:25], v24, -1
	v_bfi_b32 v39, v25, 0, 0
	s_delay_alu instid0(VALU_DEP_2) | instskip(SKIP_1) | instid1(VALU_DEP_2)
	v_bfi_b32 v38, v24, 0, v96
	v_lshrrev_b64 v[24:25], v31, v[96:97]
	v_cmp_eq_u64_e64 s11, v[38:39], v[26:27]
	s_delay_alu instid0(VALU_DEP_2)
	v_mov_b64_e32 v[26:27], v[24:25]
	s_and_saveexec_b32 s42, s11
; %bb.2229:                             ;   in Loop: Header=BB6_2117 Depth=2
	v_bfe_u32 v96, v24, 20, 1
	s_delay_alu instid0(VALU_DEP_1) | instskip(NEXT) | instid1(VALU_DEP_1)
	v_add_nc_u64_e32 v[26:27], v[24:25], v[96:97]
	v_add_nc_u64_e32 v[26:27], -1, v[26:27]
; %bb.2230:                             ;   in Loop: Header=BB6_2117 Depth=2
	s_or_b32 exec_lo, exec_lo, s42
	v_add_nc_u32_e32 v25, 0xffffff81, v29
	v_lshrrev_b32_e32 v27, 23, v24
	s_mov_b32 s11, exec_lo
	s_delay_alu instid0(VALU_DEP_2) | instskip(NEXT) | instid1(VALU_DEP_1)
	v_cndmask_b32_e64 v25, v25, 0xffffff82, s10
	v_add3_u32 v27, v31, v25, v27
	v_and_b32_e32 v25, 0xfffff, v26
                                        ; implicit-def: $vgpr26
	s_delay_alu instid0(VALU_DEP_1) | instskip(NEXT) | instid1(VALU_DEP_1)
	v_dual_add_nc_u32 v29, 6, v27 :: v_dual_add_nc_u32 v96, v25, v24
                                        ; implicit-def: $vgpr24_vgpr25
	v_cmpx_ne_u32_e32 0, v29
	s_xor_b32 s11, exec_lo, s11
; %bb.2231:                             ;   in Loop: Header=BB6_2117 Depth=2
	s_delay_alu instid0(VALU_DEP_2) | instskip(SKIP_1) | instid1(VALU_DEP_1)
	v_cmp_lt_u64_e64 s10, 0xffffff, v[96:97]
	v_add_nc_u32_e32 v24, 7, v27
	v_cndmask_b32_e64 v26, v29, v24, s10
	v_cndmask_b32_e64 v24, 0, 1, s10
	s_delay_alu instid0(VALU_DEP_1)
	v_lshrrev_b64 v[24:25], v24, v[96:97]
; %bb.2232:                             ;   in Loop: Header=BB6_2117 Depth=2
	s_and_not1_saveexec_b32 s10, s11
; %bb.2233:                             ;   in Loop: Header=BB6_2117 Depth=2
	v_mov_b64_e32 v[24:25], v[96:97]
	v_bfe_u32 v26, v96, 23, 1
; %bb.2234:                             ;   in Loop: Header=BB6_2117 Depth=2
	s_or_b32 exec_lo, exec_lo, s10
	s_delay_alu instid0(VALU_DEP_2) | instskip(NEXT) | instid1(VALU_DEP_2)
	v_lshrrev_b64 v[24:25], 20, v[24:25]
	v_cmp_gt_i32_e64 s10, 16, v26
	v_min_i32_e32 v27, 15, v26
	v_cmp_eq_u32_e64 s11, 0, v26
	s_delay_alu instid0(VALU_DEP_2) | instskip(SKIP_1) | instid1(VALU_DEP_2)
	v_dual_cndmask_b32 v25, 0, v25, s10 :: v_dual_lshlrev_b32 v27, 3, v27
	v_cndmask_b32_e64 v24, 7, v24, s10
	v_and_b32_e32 v27, 0xf8, v27
	s_delay_alu instid0(VALU_DEP_2) | instskip(NEXT) | instid1(VALU_DEP_2)
	v_cmp_eq_u64_e64 s10, 0, v[24:25]
	v_and_or_b32 v24, v24, 7, v27
	s_and_b32 s10, s11, s10
	s_delay_alu instid0(VALU_DEP_1) | instid1(SALU_CYCLE_1)
	v_cndmask_b32_e64 v24, v24, 0, s10
	s_delay_alu instid0(VALU_DEP_1)
	v_or_b32_e32 v37, v24, v28
.LBB6_2235:                             ;   in Loop: Header=BB6_2117 Depth=2
	s_or_b32 exec_lo, exec_lo, s41
                                        ; implicit-def: $vgpr28
.LBB6_2236:                             ;   in Loop: Header=BB6_2117 Depth=2
	s_and_not1_saveexec_b32 s10, s40
; %bb.2237:                             ;   in Loop: Header=BB6_2117 Depth=2
	v_or_b32_e32 v37, 0x7e, v28
; %bb.2238:                             ;   in Loop: Header=BB6_2117 Depth=2
	s_or_b32 exec_lo, exec_lo, s10
                                        ; implicit-def: $vgpr25
.LBB6_2239:                             ;   in Loop: Header=BB6_2117 Depth=2
	s_and_not1_saveexec_b32 s10, s12
; %bb.2240:                             ;   in Loop: Header=BB6_2117 Depth=2
	v_or_b32_e32 v37, 0x7f, v25
; %bb.2241:                             ;   in Loop: Header=BB6_2117 Depth=2
	s_or_b32 exec_lo, exec_lo, s10
	v_and_b32_e32 v24, 0xff, v15
	v_dual_mov_b32 v96, v15 :: v_dual_mov_b32 v26, 0
	s_mov_b32 s11, exec_lo
	s_delay_alu instid0(VALU_DEP_2)
	v_cmpx_ne_u16_e32 0, v24
	s_cbranch_execz .LBB6_2247
; %bb.2242:                             ;   in Loop: Header=BB6_2117 Depth=2
	v_bfrev_b32_e32 v26, 1
	s_mov_b32 s12, exec_lo
	v_cmpx_ne_u16_e32 0x80, v24
	s_cbranch_execz .LBB6_2246
; %bb.2243:                             ;   in Loop: Header=BB6_2117 Depth=2
	v_and_b32_e32 v24, 0x7f, v15
	v_mov_b32_e32 v26, 0x7f800001
	s_mov_b32 s40, exec_lo
	s_delay_alu instid0(VALU_DEP_2)
	v_cmpx_ne_u32_e32 0x7f, v24
	s_cbranch_execz .LBB6_2245
; %bb.2244:                             ;   in Loop: Header=BB6_2117 Depth=2
	v_dual_lshrrev_b32 v26, 3, v24 :: v_dual_bitop2_b32 v25, 7, v15 bitop3:0x40
	v_cmp_gt_u32_e64 s10, 8, v24
	s_delay_alu instid0(VALU_DEP_2) | instskip(NEXT) | instid1(VALU_DEP_1)
	v_clz_i32_u32_e32 v25, v25
	v_min_u32_e32 v25, 32, v25
	s_delay_alu instid0(VALU_DEP_1) | instskip(NEXT) | instid1(VALU_DEP_1)
	v_subrev_nc_u32_e32 v27, 28, v25
	v_dual_sub_nc_u32 v25, 29, v25 :: v_dual_cndmask_b32 v24, 0, v27, s10
	s_delay_alu instid0(VALU_DEP_1) | instskip(NEXT) | instid1(VALU_DEP_2)
	v_cndmask_b32_e64 v26, v26, v25, s10
	v_lshlrev_b64_e32 v[24:25], v24, v[96:97]
	v_lshlrev_b32_e32 v25, 24, v96
	s_delay_alu instid0(VALU_DEP_3) | instskip(NEXT) | instid1(VALU_DEP_2)
	v_lshl_add_u32 v26, v26, 23, 0x3c000000
	v_and_b32_e32 v25, 0x80000000, v25
	s_delay_alu instid0(VALU_DEP_4) | instskip(NEXT) | instid1(VALU_DEP_1)
	v_lshlrev_b32_e32 v24, 20, v24
	v_and_b32_e32 v24, 0x700000, v24
	s_delay_alu instid0(VALU_DEP_1)
	v_or3_b32 v26, v24, v25, v26
.LBB6_2245:                             ;   in Loop: Header=BB6_2117 Depth=2
	s_or_b32 exec_lo, exec_lo, s40
.LBB6_2246:                             ;   in Loop: Header=BB6_2117 Depth=2
	s_delay_alu instid0(SALU_CYCLE_1)
	s_or_b32 exec_lo, exec_lo, s12
.LBB6_2247:                             ;   in Loop: Header=BB6_2117 Depth=2
	s_delay_alu instid0(SALU_CYCLE_1) | instskip(SKIP_4) | instid1(VALU_DEP_2)
	s_or_b32 exec_lo, exec_lo, s11
	v_and_b32_e32 v25, 0xff, v11
	v_mov_b32_e32 v24, v11
	s_mov_b32 s11, 0
	s_mov_b32 s12, exec_lo
	v_cmpx_lt_i16_e32 0x7f, v25
	s_xor_b32 s12, exec_lo, s12
	s_cbranch_execz .LBB6_2282
; %bb.2248:                             ;   in Loop: Header=BB6_2117 Depth=2
	s_mov_b32 s11, -1
	s_mov_b32 s40, exec_lo
	v_cmpx_eq_u16_e32 0x80, v25
; %bb.2249:                             ;   in Loop: Header=BB6_2117 Depth=2
	s_xor_b32 s11, exec_lo, -1
; %bb.2250:                             ;   in Loop: Header=BB6_2117 Depth=2
	s_or_b32 exec_lo, exec_lo, s40
	s_delay_alu instid0(SALU_CYCLE_1)
	s_and_b32 s11, s11, exec_lo
                                        ; implicit-def: $vgpr25
	s_or_saveexec_b32 s12, s12
	v_bfrev_b32_e32 v27, 1
	s_xor_b32 exec_lo, exec_lo, s12
	s_cbranch_execnz .LBB6_2283
.LBB6_2251:                             ;   in Loop: Header=BB6_2117 Depth=2
	s_or_b32 exec_lo, exec_lo, s12
	v_mov_b32_e32 v25, v97
	s_and_saveexec_b32 s12, s11
	s_cbranch_execz .LBB6_2253
.LBB6_2252:                             ;   in Loop: Header=BB6_2117 Depth=2
	v_and_b32_e32 v31, 0x7f, v11
	v_bfe_u32 v28, v11, 3, 4
	s_delay_alu instid0(VALU_DEP_2) | instskip(SKIP_1) | instid1(VALU_DEP_1)
	v_cmp_gt_u32_e64 s10, 8, v31
	v_and_b32_e32 v27, 7, v11
	v_clz_i32_u32_e32 v27, v27
	s_delay_alu instid0(VALU_DEP_1) | instskip(NEXT) | instid1(VALU_DEP_1)
	v_min_u32_e32 v27, 32, v27
	v_subrev_nc_u32_e32 v29, 28, v27
	v_sub_nc_u32_e32 v27, 29, v27
	s_delay_alu instid0(VALU_DEP_1) | instskip(SKIP_1) | instid1(VALU_DEP_2)
	v_dual_cndmask_b32 v27, v28, v27, s10 :: v_dual_cndmask_b32 v28, 0, v29, s10
	v_cmp_ne_u32_e64 s10, 0x7f, v31
	v_lshlrev_b64_e32 v[28:29], v28, v[24:25]
	v_lshlrev_b32_e32 v25, 24, v24
	s_delay_alu instid0(VALU_DEP_1) | instskip(NEXT) | instid1(VALU_DEP_3)
	v_and_b32_e32 v25, 0x80000000, v25
	v_lshlrev_b32_e32 v28, 20, v28
	v_lshl_add_u32 v27, v27, 23, 0x3c000000
	s_delay_alu instid0(VALU_DEP_2) | instskip(NEXT) | instid1(VALU_DEP_1)
	v_and_b32_e32 v28, 0x700000, v28
	v_or3_b32 v25, v28, v25, v27
	s_delay_alu instid0(VALU_DEP_1)
	v_cndmask_b32_e64 v27, 0x7f800001, v25, s10
.LBB6_2253:                             ;   in Loop: Header=BB6_2117 Depth=2
	s_or_b32 exec_lo, exec_lo, s12
	s_delay_alu instid0(VALU_DEP_1) | instskip(NEXT) | instid1(VALU_DEP_1)
	v_dual_mul_f32 v26, v26, v27 :: v_dual_mov_b32 v29, v97
	v_and_b32_e32 v28, 0x7f800000, v26
	v_lshrrev_b32_e32 v25, 24, v26
	s_delay_alu instid0(VALU_DEP_2) | instskip(SKIP_1) | instid1(SALU_CYCLE_1)
	v_cmp_ne_u64_e64 s10, 0x7f800000, v[28:29]
                                        ; implicit-def: $vgpr28
	s_and_saveexec_b32 s11, s10
	s_xor_b32 s12, exec_lo, s11
	s_cbranch_execz .LBB6_2267
; %bb.2254:                             ;   in Loop: Header=BB6_2117 Depth=2
	v_and_b32_e32 v28, 0x7fffffff, v26
	v_mov_b32_e32 v29, v97
	v_and_b32_e32 v25, 0x80, v25
	s_delay_alu instid0(VALU_DEP_2) | instskip(SKIP_1) | instid1(SALU_CYCLE_1)
	v_cmp_gt_u64_e64 s10, 0x43e00001, v[28:29]
                                        ; implicit-def: $vgpr28
	s_and_saveexec_b32 s11, s10
	s_xor_b32 s40, exec_lo, s11
	s_cbranch_execz .LBB6_2264
; %bb.2255:                             ;   in Loop: Header=BB6_2117 Depth=2
	v_mov_b32_e32 v28, 0
	s_mov_b32 s41, exec_lo
	v_cmpx_ne_u32_e32 0, v26
	s_cbranch_execz .LBB6_2263
; %bb.2256:                             ;   in Loop: Header=BB6_2117 Depth=2
	v_bfe_u32 v31, v26, 23, 8
	v_and_b32_e32 v28, 0x7fffff, v26
	s_mov_b32 s42, exec_lo
	s_delay_alu instid0(VALU_DEP_2) | instskip(SKIP_1) | instid1(VALU_DEP_3)
	v_sub_nc_u32_e32 v27, 0x79, v31
	v_cmp_gt_u32_e64 s10, 0x7a, v31
	v_or_b32_e32 v29, 0x800000, v28
	s_delay_alu instid0(VALU_DEP_2) | instskip(SKIP_1) | instid1(VALU_DEP_1)
	v_cndmask_b32_e64 v27, 0, v27, s10
	v_cmp_eq_u32_e64 s10, 0, v31
	v_cndmask_b32_e64 v38, v27, 0x78, s10
	s_delay_alu instid0(VALU_DEP_4) | instskip(NEXT) | instid1(VALU_DEP_2)
	v_cndmask_b32_e64 v28, v29, v28, s10
	v_dual_mov_b32 v29, v97 :: v_dual_add_nc_u32 v26, 20, v38
	v_add_nc_u32_e32 v39, 19, v38
	s_delay_alu instid0(VALU_DEP_2) | instskip(NEXT) | instid1(VALU_DEP_2)
	v_lshlrev_b64_e64 v[26:27], v26, -1
	v_lshlrev_b64_e64 v[48:49], v39, 1
	s_delay_alu instid0(VALU_DEP_2) | instskip(NEXT) | instid1(VALU_DEP_3)
	v_bfi_b32 v51, v27, 0, 0
	v_bfi_b32 v50, v26, 0, v28
	v_lshrrev_b64 v[26:27], v38, v[28:29]
	s_delay_alu instid0(VALU_DEP_1) | instskip(NEXT) | instid1(VALU_DEP_3)
	v_mov_b64_e32 v[28:29], v[26:27]
	v_cmpx_eq_u64_e64 v[50:51], v[48:49]
; %bb.2257:                             ;   in Loop: Header=BB6_2117 Depth=2
	v_bfe_u32 v28, v26, 20, 1
	v_mov_b32_e32 v29, v97
	s_delay_alu instid0(VALU_DEP_1) | instskip(NEXT) | instid1(VALU_DEP_1)
	v_add_nc_u64_e32 v[28:29], v[26:27], v[28:29]
	v_add_nc_u64_e32 v[28:29], -1, v[28:29]
; %bb.2258:                             ;   in Loop: Header=BB6_2117 Depth=2
	s_or_b32 exec_lo, exec_lo, s42
	v_add_nc_u32_e32 v27, 0xffffff81, v31
	v_lshrrev_b32_e32 v29, 23, v26
	s_mov_b32 s11, exec_lo
	s_delay_alu instid0(VALU_DEP_2) | instskip(NEXT) | instid1(VALU_DEP_1)
	v_cndmask_b32_e64 v27, v27, 0xffffff82, s10
	v_add3_u32 v29, v38, v27, v29
	v_and_b32_e32 v27, 0xfffff, v28
                                        ; implicit-def: $vgpr28
	s_delay_alu instid0(VALU_DEP_1) | instskip(SKIP_1) | instid1(VALU_DEP_2)
	v_dual_add_nc_u32 v31, 6, v29 :: v_dual_add_nc_u32 v26, v27, v26
	v_mov_b32_e32 v27, v97
	v_cmpx_ne_u32_e32 0, v31
	s_xor_b32 s11, exec_lo, s11
; %bb.2259:                             ;   in Loop: Header=BB6_2117 Depth=2
	s_delay_alu instid0(VALU_DEP_2) | instskip(SKIP_1) | instid1(VALU_DEP_2)
	v_cmp_lt_u64_e64 s10, 0xffffff, v[26:27]
	v_add_nc_u32_e32 v28, 7, v29
	v_cndmask_b32_e64 v29, 0, 1, s10
	s_delay_alu instid0(VALU_DEP_2) | instskip(NEXT) | instid1(VALU_DEP_2)
	v_cndmask_b32_e64 v28, v31, v28, s10
	v_lshrrev_b64 v[26:27], v29, v[26:27]
; %bb.2260:                             ;   in Loop: Header=BB6_2117 Depth=2
	s_and_not1_saveexec_b32 s10, s11
; %bb.2261:                             ;   in Loop: Header=BB6_2117 Depth=2
	s_delay_alu instid0(VALU_DEP_1)
	v_bfe_u32 v28, v26, 23, 1
; %bb.2262:                             ;   in Loop: Header=BB6_2117 Depth=2
	s_or_b32 exec_lo, exec_lo, s10
	s_delay_alu instid0(VALU_DEP_2) | instskip(NEXT) | instid1(VALU_DEP_2)
	v_lshrrev_b64 v[26:27], 20, v[26:27]
	v_cmp_gt_i32_e64 s10, 16, v28
	v_min_i32_e32 v29, 15, v28
	v_cmp_eq_u32_e64 s11, 0, v28
	s_delay_alu instid0(VALU_DEP_2) | instskip(SKIP_1) | instid1(VALU_DEP_2)
	v_dual_cndmask_b32 v27, 0, v27, s10 :: v_dual_lshlrev_b32 v29, 3, v29
	v_cndmask_b32_e64 v26, 7, v26, s10
	v_and_b32_e32 v29, 0xf8, v29
	s_delay_alu instid0(VALU_DEP_2) | instskip(NEXT) | instid1(VALU_DEP_2)
	v_cmp_eq_u64_e64 s10, 0, v[26:27]
	v_and_or_b32 v26, v26, 7, v29
	s_and_b32 s10, s11, s10
	s_delay_alu instid0(VALU_DEP_1) | instid1(SALU_CYCLE_1)
	v_cndmask_b32_e64 v26, v26, 0, s10
	s_delay_alu instid0(VALU_DEP_1)
	v_or_b32_e32 v28, v26, v25
.LBB6_2263:                             ;   in Loop: Header=BB6_2117 Depth=2
	s_or_b32 exec_lo, exec_lo, s41
                                        ; implicit-def: $vgpr25
.LBB6_2264:                             ;   in Loop: Header=BB6_2117 Depth=2
	s_and_not1_saveexec_b32 s10, s40
; %bb.2265:                             ;   in Loop: Header=BB6_2117 Depth=2
	v_or_b32_e32 v28, 0x7e, v25
; %bb.2266:                             ;   in Loop: Header=BB6_2117 Depth=2
	s_or_b32 exec_lo, exec_lo, s10
                                        ; implicit-def: $vgpr25
.LBB6_2267:                             ;   in Loop: Header=BB6_2117 Depth=2
	s_and_not1_saveexec_b32 s10, s12
; %bb.2268:                             ;   in Loop: Header=BB6_2117 Depth=2
	v_or_b32_e32 v28, 0x7f, v25
; %bb.2269:                             ;   in Loop: Header=BB6_2117 Depth=2
	s_or_b32 exec_lo, exec_lo, s10
	v_lshrrev_b16 v26, 8, v96
	v_mov_b32_e32 v25, 0
	s_mov_b32 s11, exec_lo
	s_delay_alu instid0(VALU_DEP_2)
	v_cmpx_ne_u16_e32 0, v26
	s_cbranch_execz .LBB6_2277
; %bb.2270:                             ;   in Loop: Header=BB6_2117 Depth=2
	v_bfrev_b32_e32 v25, 1
	s_mov_b32 s12, exec_lo
	v_cmpx_ne_u16_e32 0x80, v26
	s_cbranch_execz .LBB6_2276
; %bb.2271:                             ;   in Loop: Header=BB6_2117 Depth=2
	v_and_b32_e32 v26, 0xffff, v26
	v_mov_b32_e32 v25, 0x7f800001
	s_mov_b32 s40, exec_lo
	s_delay_alu instid0(VALU_DEP_2) | instskip(NEXT) | instid1(VALU_DEP_1)
	v_and_b32_e32 v29, 0x7f, v26
	v_cmpx_ne_u32_e32 0x7f, v29
	s_cbranch_execz .LBB6_2275
; %bb.2272:                             ;   in Loop: Header=BB6_2117 Depth=2
	v_dual_mov_b32 v27, v97 :: v_dual_bitop2_b32 v26, 7, v26 bitop3:0x40
	v_lshrrev_b32_e32 v25, 3, v29
	s_mov_b32 s41, exec_lo
	v_cmpx_gt_u32_e32 8, v29
; %bb.2273:                             ;   in Loop: Header=BB6_2117 Depth=2
	s_delay_alu instid0(VALU_DEP_3) | instskip(NEXT) | instid1(VALU_DEP_1)
	v_clz_i32_u32_e32 v25, v26
	v_min_u32_e32 v25, 32, v25
	s_delay_alu instid0(VALU_DEP_1) | instskip(NEXT) | instid1(VALU_DEP_1)
	v_subrev_nc_u32_e32 v29, 28, v25
	v_lshlrev_b64_e32 v[26:27], v29, v[26:27]
	s_delay_alu instid0(VALU_DEP_1)
	v_dual_sub_nc_u32 v25, 29, v25 :: v_dual_bitop2_b32 v26, 7, v26 bitop3:0x40
; %bb.2274:                             ;   in Loop: Header=BB6_2117 Depth=2
	s_or_b32 exec_lo, exec_lo, s41
	s_delay_alu instid0(VALU_DEP_1) | instskip(NEXT) | instid1(VALU_DEP_2)
	v_dual_lshlrev_b32 v27, 16, v96 :: v_dual_lshlrev_b32 v26, 20, v26
	v_lshl_add_u32 v25, v25, 23, 0x3c000000
	s_delay_alu instid0(VALU_DEP_2) | instskip(NEXT) | instid1(VALU_DEP_1)
	v_and_b32_e32 v27, 0x80000000, v27
	v_or3_b32 v25, v26, v27, v25
.LBB6_2275:                             ;   in Loop: Header=BB6_2117 Depth=2
	s_or_b32 exec_lo, exec_lo, s40
.LBB6_2276:                             ;   in Loop: Header=BB6_2117 Depth=2
	s_delay_alu instid0(SALU_CYCLE_1)
	s_or_b32 exec_lo, exec_lo, s12
.LBB6_2277:                             ;   in Loop: Header=BB6_2117 Depth=2
	s_delay_alu instid0(SALU_CYCLE_1) | instskip(SKIP_3) | instid1(VALU_DEP_1)
	s_or_b32 exec_lo, exec_lo, s11
	v_lshrrev_b16 v26, 8, v24
	s_mov_b32 s12, 0
	s_mov_b32 s11, exec_lo
	v_cmpx_lt_i16_e32 0x7f, v26
	s_xor_b32 s11, exec_lo, s11
	s_cbranch_execz .LBB6_2284
; %bb.2278:                             ;   in Loop: Header=BB6_2117 Depth=2
	s_mov_b32 s12, -1
	s_mov_b32 s40, exec_lo
	v_cmpx_eq_u16_e32 0x80, v26
; %bb.2279:                             ;   in Loop: Header=BB6_2117 Depth=2
	s_xor_b32 s12, exec_lo, -1
; %bb.2280:                             ;   in Loop: Header=BB6_2117 Depth=2
	s_or_b32 exec_lo, exec_lo, s40
	s_delay_alu instid0(SALU_CYCLE_1)
	s_and_b32 s12, s12, exec_lo
	s_or_saveexec_b32 s11, s11
	v_bfrev_b32_e32 v27, 1
	s_xor_b32 exec_lo, exec_lo, s11
	s_cbranch_execnz .LBB6_2285
.LBB6_2281:                             ;   in Loop: Header=BB6_2117 Depth=2
	s_or_b32 exec_lo, exec_lo, s11
	s_and_saveexec_b32 s11, s12
	s_cbranch_execnz .LBB6_2286
	s_branch .LBB6_2289
.LBB6_2282:                             ;   in Loop: Header=BB6_2117 Depth=2
	s_or_saveexec_b32 s12, s12
	v_bfrev_b32_e32 v27, 1
	s_xor_b32 exec_lo, exec_lo, s12
	s_cbranch_execz .LBB6_2251
.LBB6_2283:                             ;   in Loop: Header=BB6_2117 Depth=2
	v_cmp_ne_u16_e64 s10, 0, v25
	v_mov_b32_e32 v27, 0
	s_and_not1_b32 s11, s11, exec_lo
	s_and_b32 s10, s10, exec_lo
	s_delay_alu instid0(SALU_CYCLE_1)
	s_or_b32 s11, s11, s10
	s_or_b32 exec_lo, exec_lo, s12
	v_mov_b32_e32 v25, v97
	s_and_saveexec_b32 s12, s11
	s_cbranch_execnz .LBB6_2252
	s_branch .LBB6_2253
.LBB6_2284:                             ;   in Loop: Header=BB6_2117 Depth=2
	s_or_saveexec_b32 s11, s11
	v_bfrev_b32_e32 v27, 1
	s_xor_b32 exec_lo, exec_lo, s11
	s_cbranch_execz .LBB6_2281
.LBB6_2285:                             ;   in Loop: Header=BB6_2117 Depth=2
	v_cmp_ne_u16_e64 s10, 0, v26
	v_mov_b32_e32 v27, 0
	s_and_not1_b32 s12, s12, exec_lo
	s_and_b32 s10, s10, exec_lo
	s_delay_alu instid0(SALU_CYCLE_1)
	s_or_b32 s12, s12, s10
	s_or_b32 exec_lo, exec_lo, s11
	s_and_saveexec_b32 s11, s12
	s_cbranch_execz .LBB6_2289
.LBB6_2286:                             ;   in Loop: Header=BB6_2117 Depth=2
	v_and_b32_e32 v24, 0xffff, v26
	v_mov_b32_e32 v27, 0x7f800001
	s_mov_b32 s12, exec_lo
	s_delay_alu instid0(VALU_DEP_2) | instskip(NEXT) | instid1(VALU_DEP_1)
	v_and_b32_e32 v29, 0x7f, v24
	v_cmpx_ne_u32_e32 0x7f, v29
	s_cbranch_execz .LBB6_2288
; %bb.2287:                             ;   in Loop: Header=BB6_2117 Depth=2
	v_and_b32_e32 v27, 7, v24
	v_cmp_gt_u32_e64 s10, 8, v29
	s_delay_alu instid0(VALU_DEP_2) | instskip(NEXT) | instid1(VALU_DEP_1)
	v_clz_i32_u32_e32 v31, v27
	v_min_u32_e32 v31, 32, v31
	s_delay_alu instid0(VALU_DEP_1) | instskip(NEXT) | instid1(VALU_DEP_1)
	v_subrev_nc_u32_e32 v38, 28, v31
	v_lshlrev_b64_e32 v[38:39], v38, v[24:25]
	v_dual_lshrrev_b32 v24, 3, v29 :: v_dual_sub_nc_u32 v31, 29, v31
	s_delay_alu instid0(VALU_DEP_2) | instskip(NEXT) | instid1(VALU_DEP_2)
	v_and_b32_e32 v29, 7, v38
	v_dual_lshlrev_b32 v26, 24, v26 :: v_dual_cndmask_b32 v24, v24, v31, s10
	s_delay_alu instid0(VALU_DEP_2) | instskip(NEXT) | instid1(VALU_DEP_2)
	v_cndmask_b32_e64 v27, v27, v29, s10
	v_and_b32_e32 v26, 0x80000000, v26
	s_delay_alu instid0(VALU_DEP_3) | instskip(NEXT) | instid1(VALU_DEP_3)
	v_lshl_add_u32 v24, v24, 23, 0x3c000000
	v_lshlrev_b32_e32 v27, 20, v27
	s_delay_alu instid0(VALU_DEP_1)
	v_or3_b32 v27, v27, v26, v24
.LBB6_2288:                             ;   in Loop: Header=BB6_2117 Depth=2
	s_or_b32 exec_lo, exec_lo, s12
.LBB6_2289:                             ;   in Loop: Header=BB6_2117 Depth=2
	s_delay_alu instid0(SALU_CYCLE_1) | instskip(NEXT) | instid1(VALU_DEP_1)
	s_or_b32 exec_lo, exec_lo, s11
	v_mul_f32_e32 v24, v25, v27
                                        ; implicit-def: $vgpr29
	s_mov_b32 s11, exec_lo
	s_delay_alu instid0(VALU_DEP_1) | instskip(SKIP_1) | instid1(VALU_DEP_2)
	v_and_b32_e32 v96, 0x7f800000, v24
	v_lshrrev_b32_e32 v25, 24, v24
	v_cmpx_ne_u64_e32 0x7f800000, v[96:97]
	s_xor_b32 s12, exec_lo, s11
	s_cbranch_execz .LBB6_2303
; %bb.2290:                             ;   in Loop: Header=BB6_2117 Depth=2
	v_and_b32_e32 v96, 0x7fffffff, v24
	v_and_b32_e32 v31, 0x80, v25
                                        ; implicit-def: $vgpr29
	s_mov_b32 s11, exec_lo
	s_delay_alu instid0(VALU_DEP_2)
	v_cmpx_gt_u64_e32 0x43e00001, v[96:97]
	s_xor_b32 s40, exec_lo, s11
	s_cbranch_execz .LBB6_2300
; %bb.2291:                             ;   in Loop: Header=BB6_2117 Depth=2
	v_mov_b32_e32 v29, 0
	s_mov_b32 s41, exec_lo
	v_cmpx_ne_u32_e32 0, v24
	s_cbranch_execz .LBB6_2299
; %bb.2292:                             ;   in Loop: Header=BB6_2117 Depth=2
	v_bfe_u32 v29, v24, 23, 8
	v_and_b32_e32 v26, 0x7fffff, v24
	s_delay_alu instid0(VALU_DEP_2) | instskip(SKIP_1) | instid1(VALU_DEP_3)
	v_sub_nc_u32_e32 v25, 0x79, v29
	v_cmp_gt_u32_e64 s10, 0x7a, v29
	v_or_b32_e32 v27, 0x800000, v26
	s_delay_alu instid0(VALU_DEP_2) | instskip(SKIP_1) | instid1(VALU_DEP_1)
	v_cndmask_b32_e64 v25, 0, v25, s10
	v_cmp_eq_u32_e64 s10, 0, v29
	v_cndmask_b32_e64 v38, v25, 0x78, s10
	s_delay_alu instid0(VALU_DEP_4) | instskip(NEXT) | instid1(VALU_DEP_2)
	v_cndmask_b32_e64 v96, v27, v26, s10
	v_dual_add_nc_u32 v24, 20, v38 :: v_dual_add_nc_u32 v39, 19, v38
	s_delay_alu instid0(VALU_DEP_1) | instskip(NEXT) | instid1(VALU_DEP_2)
	v_lshlrev_b64_e64 v[24:25], v24, -1
	v_lshlrev_b64_e64 v[26:27], v39, 1
	s_delay_alu instid0(VALU_DEP_2) | instskip(NEXT) | instid1(VALU_DEP_3)
	v_bfi_b32 v49, v25, 0, 0
	v_bfi_b32 v48, v24, 0, v96
	v_lshrrev_b64 v[24:25], v38, v[96:97]
	s_delay_alu instid0(VALU_DEP_2) | instskip(NEXT) | instid1(VALU_DEP_2)
	v_cmp_eq_u64_e64 s11, v[48:49], v[26:27]
	v_mov_b64_e32 v[26:27], v[24:25]
	s_and_saveexec_b32 s42, s11
; %bb.2293:                             ;   in Loop: Header=BB6_2117 Depth=2
	v_bfe_u32 v96, v24, 20, 1
	s_delay_alu instid0(VALU_DEP_1) | instskip(NEXT) | instid1(VALU_DEP_1)
	v_add_nc_u64_e32 v[26:27], v[24:25], v[96:97]
	v_add_nc_u64_e32 v[26:27], -1, v[26:27]
; %bb.2294:                             ;   in Loop: Header=BB6_2117 Depth=2
	s_or_b32 exec_lo, exec_lo, s42
	v_add_nc_u32_e32 v25, 0xffffff81, v29
	v_lshrrev_b32_e32 v27, 23, v24
	s_mov_b32 s11, exec_lo
	s_delay_alu instid0(VALU_DEP_2) | instskip(NEXT) | instid1(VALU_DEP_1)
	v_cndmask_b32_e64 v25, v25, 0xffffff82, s10
	v_add3_u32 v27, v38, v25, v27
	v_and_b32_e32 v25, 0xfffff, v26
                                        ; implicit-def: $vgpr26
	s_delay_alu instid0(VALU_DEP_1) | instskip(NEXT) | instid1(VALU_DEP_1)
	v_dual_add_nc_u32 v29, 6, v27 :: v_dual_add_nc_u32 v96, v25, v24
                                        ; implicit-def: $vgpr24_vgpr25
	v_cmpx_ne_u32_e32 0, v29
	s_xor_b32 s11, exec_lo, s11
; %bb.2295:                             ;   in Loop: Header=BB6_2117 Depth=2
	s_delay_alu instid0(VALU_DEP_2) | instskip(SKIP_1) | instid1(VALU_DEP_1)
	v_cmp_lt_u64_e64 s10, 0xffffff, v[96:97]
	v_add_nc_u32_e32 v24, 7, v27
	v_cndmask_b32_e64 v26, v29, v24, s10
	v_cndmask_b32_e64 v24, 0, 1, s10
	s_delay_alu instid0(VALU_DEP_1)
	v_lshrrev_b64 v[24:25], v24, v[96:97]
; %bb.2296:                             ;   in Loop: Header=BB6_2117 Depth=2
	s_and_not1_saveexec_b32 s10, s11
; %bb.2297:                             ;   in Loop: Header=BB6_2117 Depth=2
	v_mov_b64_e32 v[24:25], v[96:97]
	v_bfe_u32 v26, v96, 23, 1
; %bb.2298:                             ;   in Loop: Header=BB6_2117 Depth=2
	s_or_b32 exec_lo, exec_lo, s10
	s_delay_alu instid0(VALU_DEP_2) | instskip(NEXT) | instid1(VALU_DEP_2)
	v_lshrrev_b64 v[24:25], 20, v[24:25]
	v_cmp_gt_i32_e64 s10, 16, v26
	v_min_i32_e32 v27, 15, v26
	v_cmp_eq_u32_e64 s11, 0, v26
	s_delay_alu instid0(VALU_DEP_2) | instskip(SKIP_1) | instid1(VALU_DEP_2)
	v_dual_cndmask_b32 v25, 0, v25, s10 :: v_dual_lshlrev_b32 v27, 3, v27
	v_cndmask_b32_e64 v24, 7, v24, s10
	v_and_b32_e32 v27, 0xf8, v27
	s_delay_alu instid0(VALU_DEP_2) | instskip(NEXT) | instid1(VALU_DEP_2)
	v_cmp_eq_u64_e64 s10, 0, v[24:25]
	v_and_or_b32 v24, v24, 7, v27
	s_and_b32 s10, s11, s10
	s_delay_alu instid0(VALU_DEP_1) | instid1(SALU_CYCLE_1)
	v_cndmask_b32_e64 v24, v24, 0, s10
	s_delay_alu instid0(VALU_DEP_1)
	v_or_b32_e32 v29, v24, v31
.LBB6_2299:                             ;   in Loop: Header=BB6_2117 Depth=2
	s_or_b32 exec_lo, exec_lo, s41
                                        ; implicit-def: $vgpr31
.LBB6_2300:                             ;   in Loop: Header=BB6_2117 Depth=2
	s_and_not1_saveexec_b32 s10, s40
; %bb.2301:                             ;   in Loop: Header=BB6_2117 Depth=2
	v_or_b32_e32 v29, 0x7e, v31
; %bb.2302:                             ;   in Loop: Header=BB6_2117 Depth=2
	s_or_b32 exec_lo, exec_lo, s10
                                        ; implicit-def: $vgpr25
.LBB6_2303:                             ;   in Loop: Header=BB6_2117 Depth=2
	s_and_not1_saveexec_b32 s10, s12
; %bb.2304:                             ;   in Loop: Header=BB6_2117 Depth=2
	v_or_b32_e32 v29, 0x7f, v25
; %bb.2305:                             ;   in Loop: Header=BB6_2117 Depth=2
	s_or_b32 exec_lo, exec_lo, s10
	v_dual_mov_b32 v25, 0 :: v_dual_lshrrev_b32 v24, 16, v15
	s_mov_b32 s11, exec_lo
	s_delay_alu instid0(VALU_DEP_1) | instskip(NEXT) | instid1(VALU_DEP_1)
	v_and_b32_e32 v26, 0xff, v24
	v_cmpx_ne_u16_e32 0, v26
	s_cbranch_execz .LBB6_2313
; %bb.2306:                             ;   in Loop: Header=BB6_2117 Depth=2
	v_bfrev_b32_e32 v25, 1
	s_mov_b32 s12, exec_lo
	v_cmpx_ne_u16_e32 0x80, v26
	s_cbranch_execz .LBB6_2312
; %bb.2307:                             ;   in Loop: Header=BB6_2117 Depth=2
	v_bfe_u32 v26, v15, 16, 7
	v_mov_b32_e32 v25, 0x7f800001
	s_mov_b32 s40, exec_lo
	s_delay_alu instid0(VALU_DEP_2)
	v_cmpx_ne_u32_e32 0x7f, v26
	s_cbranch_execz .LBB6_2311
; %bb.2308:                             ;   in Loop: Header=BB6_2117 Depth=2
	v_dual_lshrrev_b32 v25, 3, v26 :: v_dual_bitop2_b32 v96, 7, v24 bitop3:0x40
	s_mov_b32 s41, exec_lo
	v_cmpx_gt_u32_e32 8, v26
; %bb.2309:                             ;   in Loop: Header=BB6_2117 Depth=2
	s_delay_alu instid0(VALU_DEP_2) | instskip(NEXT) | instid1(VALU_DEP_1)
	v_clz_i32_u32_e32 v25, v96
	v_min_u32_e32 v25, 32, v25
	s_delay_alu instid0(VALU_DEP_1) | instskip(NEXT) | instid1(VALU_DEP_1)
	v_subrev_nc_u32_e32 v26, 28, v25
	v_lshlrev_b64_e32 v[26:27], v26, v[96:97]
	s_delay_alu instid0(VALU_DEP_1)
	v_dual_sub_nc_u32 v25, 29, v25 :: v_dual_bitop2_b32 v96, 7, v26 bitop3:0x40
; %bb.2310:                             ;   in Loop: Header=BB6_2117 Depth=2
	s_or_b32 exec_lo, exec_lo, s41
	v_lshlrev_b32_e32 v24, 24, v24
	s_delay_alu instid0(VALU_DEP_2) | instskip(NEXT) | instid1(VALU_DEP_3)
	v_lshlrev_b32_e32 v26, 20, v96
	v_lshl_add_u32 v25, v25, 23, 0x3c000000
	s_delay_alu instid0(VALU_DEP_3) | instskip(NEXT) | instid1(VALU_DEP_1)
	v_and_b32_e32 v24, 0x80000000, v24
	v_or3_b32 v25, v26, v24, v25
.LBB6_2311:                             ;   in Loop: Header=BB6_2117 Depth=2
	s_or_b32 exec_lo, exec_lo, s40
.LBB6_2312:                             ;   in Loop: Header=BB6_2117 Depth=2
	s_delay_alu instid0(SALU_CYCLE_1)
	s_or_b32 exec_lo, exec_lo, s12
.LBB6_2313:                             ;   in Loop: Header=BB6_2117 Depth=2
	s_delay_alu instid0(SALU_CYCLE_1) | instskip(SKIP_3) | instid1(VALU_DEP_1)
	s_or_b32 exec_lo, exec_lo, s11
	v_lshrrev_b32_e32 v24, 16, v11
	s_mov_b32 s12, 0
	s_mov_b32 s11, exec_lo
	v_and_b32_e32 v27, 0xff, v24
	s_delay_alu instid0(VALU_DEP_1)
	v_cmpx_lt_i16_e32 0x7f, v27
	s_xor_b32 s11, exec_lo, s11
	s_cbranch_execz .LBB6_2318
; %bb.2314:                             ;   in Loop: Header=BB6_2117 Depth=2
	s_mov_b32 s12, -1
	s_mov_b32 s40, exec_lo
	v_cmpx_eq_u16_e32 0x80, v27
; %bb.2315:                             ;   in Loop: Header=BB6_2117 Depth=2
	s_xor_b32 s12, exec_lo, -1
; %bb.2316:                             ;   in Loop: Header=BB6_2117 Depth=2
	s_or_b32 exec_lo, exec_lo, s40
	s_delay_alu instid0(SALU_CYCLE_1)
	s_and_b32 s12, s12, exec_lo
                                        ; implicit-def: $vgpr27
	s_or_saveexec_b32 s11, s11
	v_bfrev_b32_e32 v26, 1
	s_xor_b32 exec_lo, exec_lo, s11
	s_cbranch_execnz .LBB6_2319
.LBB6_2317:                             ;   in Loop: Header=BB6_2117 Depth=2
	s_or_b32 exec_lo, exec_lo, s11
	s_and_saveexec_b32 s11, s12
	s_cbranch_execnz .LBB6_2320
	s_branch .LBB6_2323
.LBB6_2318:                             ;   in Loop: Header=BB6_2117 Depth=2
	s_or_saveexec_b32 s11, s11
	v_bfrev_b32_e32 v26, 1
	s_xor_b32 exec_lo, exec_lo, s11
	s_cbranch_execz .LBB6_2317
.LBB6_2319:                             ;   in Loop: Header=BB6_2117 Depth=2
	v_cmp_ne_u16_e64 s10, 0, v27
	v_mov_b32_e32 v26, 0
	s_and_not1_b32 s12, s12, exec_lo
	s_and_b32 s10, s10, exec_lo
	s_delay_alu instid0(SALU_CYCLE_1)
	s_or_b32 s12, s12, s10
	s_or_b32 exec_lo, exec_lo, s11
	s_and_saveexec_b32 s11, s12
	s_cbranch_execz .LBB6_2323
.LBB6_2320:                             ;   in Loop: Header=BB6_2117 Depth=2
	v_and_b32_e32 v27, 0x7f, v24
	v_mov_b32_e32 v26, 0x7f800001
	s_mov_b32 s12, exec_lo
	s_delay_alu instid0(VALU_DEP_2)
	v_cmpx_ne_u32_e32 0x7f, v27
	s_cbranch_execz .LBB6_2322
; %bb.2321:                             ;   in Loop: Header=BB6_2117 Depth=2
	v_and_b32_e32 v26, 7, v24
	v_cmp_gt_u32_e64 s10, 8, v27
	s_delay_alu instid0(VALU_DEP_2) | instskip(NEXT) | instid1(VALU_DEP_1)
	v_clz_i32_u32_e32 v31, v26
	v_min_u32_e32 v31, 32, v31
	s_delay_alu instid0(VALU_DEP_1) | instskip(NEXT) | instid1(VALU_DEP_1)
	v_subrev_nc_u32_e32 v38, 28, v31
	v_lshlrev_b64_e32 v[38:39], v38, v[24:25]
	v_lshrrev_b32_e32 v39, 3, v27
	s_delay_alu instid0(VALU_DEP_2) | instskip(NEXT) | instid1(VALU_DEP_1)
	v_dual_sub_nc_u32 v31, 29, v31 :: v_dual_bitop2_b32 v27, 7, v38 bitop3:0x40
	v_dual_lshlrev_b32 v24, 24, v24 :: v_dual_cndmask_b32 v31, v39, v31, s10
	s_delay_alu instid0(VALU_DEP_2) | instskip(NEXT) | instid1(VALU_DEP_2)
	v_cndmask_b32_e64 v26, v26, v27, s10
	v_and_b32_e32 v24, 0x80000000, v24
	s_delay_alu instid0(VALU_DEP_3) | instskip(NEXT) | instid1(VALU_DEP_3)
	v_lshl_add_u32 v27, v31, 23, 0x3c000000
	v_lshlrev_b32_e32 v26, 20, v26
	s_delay_alu instid0(VALU_DEP_1)
	v_or3_b32 v26, v26, v24, v27
.LBB6_2322:                             ;   in Loop: Header=BB6_2117 Depth=2
	s_or_b32 exec_lo, exec_lo, s12
.LBB6_2323:                             ;   in Loop: Header=BB6_2117 Depth=2
	s_delay_alu instid0(SALU_CYCLE_1) | instskip(NEXT) | instid1(VALU_DEP_1)
	s_or_b32 exec_lo, exec_lo, s11
	v_mul_f32_e32 v24, v25, v26
                                        ; implicit-def: $vgpr26
	s_mov_b32 s11, exec_lo
	s_delay_alu instid0(VALU_DEP_1) | instskip(SKIP_1) | instid1(VALU_DEP_2)
	v_and_b32_e32 v96, 0x7f800000, v24
	v_lshrrev_b32_e32 v25, 24, v24
	v_cmpx_ne_u64_e32 0x7f800000, v[96:97]
	s_xor_b32 s12, exec_lo, s11
	s_cbranch_execz .LBB6_2337
; %bb.2324:                             ;   in Loop: Header=BB6_2117 Depth=2
	v_and_b32_e32 v96, 0x7fffffff, v24
	v_and_b32_e32 v31, 0x80, v25
                                        ; implicit-def: $vgpr26
	s_mov_b32 s11, exec_lo
	s_delay_alu instid0(VALU_DEP_2)
	v_cmpx_gt_u64_e32 0x43e00001, v[96:97]
	s_xor_b32 s40, exec_lo, s11
	s_cbranch_execz .LBB6_2334
; %bb.2325:                             ;   in Loop: Header=BB6_2117 Depth=2
	v_mov_b32_e32 v26, 0
	s_mov_b32 s41, exec_lo
	v_cmpx_ne_u32_e32 0, v24
	s_cbranch_execz .LBB6_2333
; %bb.2326:                             ;   in Loop: Header=BB6_2117 Depth=2
	v_bfe_u32 v38, v24, 23, 8
	v_and_b32_e32 v26, 0x7fffff, v24
	s_delay_alu instid0(VALU_DEP_2) | instskip(SKIP_1) | instid1(VALU_DEP_3)
	v_sub_nc_u32_e32 v25, 0x79, v38
	v_cmp_gt_u32_e64 s10, 0x7a, v38
	v_or_b32_e32 v27, 0x800000, v26
	s_delay_alu instid0(VALU_DEP_2) | instskip(SKIP_1) | instid1(VALU_DEP_1)
	v_cndmask_b32_e64 v25, 0, v25, s10
	v_cmp_eq_u32_e64 s10, 0, v38
	v_cndmask_b32_e64 v39, v25, 0x78, s10
	s_delay_alu instid0(VALU_DEP_1) | instskip(SKIP_1) | instid1(VALU_DEP_2)
	v_dual_cndmask_b32 v96, v27, v26, s10 :: v_dual_add_nc_u32 v48, 19, v39
	v_add_nc_u32_e32 v24, 20, v39
	v_lshlrev_b64_e64 v[26:27], v48, 1
	s_delay_alu instid0(VALU_DEP_2) | instskip(NEXT) | instid1(VALU_DEP_1)
	v_lshlrev_b64_e64 v[24:25], v24, -1
	v_bfi_b32 v49, v25, 0, 0
	s_delay_alu instid0(VALU_DEP_2) | instskip(SKIP_1) | instid1(VALU_DEP_2)
	v_bfi_b32 v48, v24, 0, v96
	v_lshrrev_b64 v[24:25], v39, v[96:97]
	v_cmp_eq_u64_e64 s11, v[48:49], v[26:27]
	s_delay_alu instid0(VALU_DEP_2)
	v_mov_b64_e32 v[26:27], v[24:25]
	s_and_saveexec_b32 s42, s11
; %bb.2327:                             ;   in Loop: Header=BB6_2117 Depth=2
	v_bfe_u32 v96, v24, 20, 1
	s_delay_alu instid0(VALU_DEP_1) | instskip(NEXT) | instid1(VALU_DEP_1)
	v_add_nc_u64_e32 v[26:27], v[24:25], v[96:97]
	v_add_nc_u64_e32 v[26:27], -1, v[26:27]
; %bb.2328:                             ;   in Loop: Header=BB6_2117 Depth=2
	s_or_b32 exec_lo, exec_lo, s42
	v_add_nc_u32_e32 v25, 0xffffff81, v38
	v_lshrrev_b32_e32 v27, 23, v24
	s_mov_b32 s11, exec_lo
	s_delay_alu instid0(VALU_DEP_2) | instskip(NEXT) | instid1(VALU_DEP_1)
	v_cndmask_b32_e64 v25, v25, 0xffffff82, s10
	v_add3_u32 v27, v39, v25, v27
	v_and_b32_e32 v25, 0xfffff, v26
                                        ; implicit-def: $vgpr26
	s_delay_alu instid0(VALU_DEP_1) | instskip(NEXT) | instid1(VALU_DEP_1)
	v_dual_add_nc_u32 v38, 6, v27 :: v_dual_add_nc_u32 v96, v25, v24
                                        ; implicit-def: $vgpr24_vgpr25
	v_cmpx_ne_u32_e32 0, v38
	s_xor_b32 s11, exec_lo, s11
; %bb.2329:                             ;   in Loop: Header=BB6_2117 Depth=2
	s_delay_alu instid0(VALU_DEP_2) | instskip(SKIP_1) | instid1(VALU_DEP_1)
	v_cmp_lt_u64_e64 s10, 0xffffff, v[96:97]
	v_add_nc_u32_e32 v24, 7, v27
	v_cndmask_b32_e64 v26, v38, v24, s10
	v_cndmask_b32_e64 v24, 0, 1, s10
	s_delay_alu instid0(VALU_DEP_1)
	v_lshrrev_b64 v[24:25], v24, v[96:97]
; %bb.2330:                             ;   in Loop: Header=BB6_2117 Depth=2
	s_and_not1_saveexec_b32 s10, s11
; %bb.2331:                             ;   in Loop: Header=BB6_2117 Depth=2
	v_mov_b64_e32 v[24:25], v[96:97]
	v_bfe_u32 v26, v96, 23, 1
; %bb.2332:                             ;   in Loop: Header=BB6_2117 Depth=2
	s_or_b32 exec_lo, exec_lo, s10
	s_delay_alu instid0(VALU_DEP_2) | instskip(NEXT) | instid1(VALU_DEP_2)
	v_lshrrev_b64 v[24:25], 20, v[24:25]
	v_cmp_gt_i32_e64 s10, 16, v26
	v_min_i32_e32 v27, 15, v26
	v_cmp_eq_u32_e64 s11, 0, v26
	s_delay_alu instid0(VALU_DEP_2) | instskip(SKIP_1) | instid1(VALU_DEP_2)
	v_dual_cndmask_b32 v25, 0, v25, s10 :: v_dual_lshlrev_b32 v27, 3, v27
	v_cndmask_b32_e64 v24, 7, v24, s10
	v_and_b32_e32 v27, 0xf8, v27
	s_delay_alu instid0(VALU_DEP_2) | instskip(NEXT) | instid1(VALU_DEP_2)
	v_cmp_eq_u64_e64 s10, 0, v[24:25]
	v_and_or_b32 v24, v24, 7, v27
	s_and_b32 s10, s11, s10
	s_delay_alu instid0(VALU_DEP_1) | instid1(SALU_CYCLE_1)
	v_cndmask_b32_e64 v24, v24, 0, s10
	s_delay_alu instid0(VALU_DEP_1)
	v_or_b32_e32 v26, v24, v31
.LBB6_2333:                             ;   in Loop: Header=BB6_2117 Depth=2
	s_or_b32 exec_lo, exec_lo, s41
                                        ; implicit-def: $vgpr31
.LBB6_2334:                             ;   in Loop: Header=BB6_2117 Depth=2
	s_and_not1_saveexec_b32 s10, s40
; %bb.2335:                             ;   in Loop: Header=BB6_2117 Depth=2
	v_or_b32_e32 v26, 0x7e, v31
; %bb.2336:                             ;   in Loop: Header=BB6_2117 Depth=2
	s_or_b32 exec_lo, exec_lo, s10
                                        ; implicit-def: $vgpr25
.LBB6_2337:                             ;   in Loop: Header=BB6_2117 Depth=2
	s_and_not1_saveexec_b32 s10, s12
; %bb.2338:                             ;   in Loop: Header=BB6_2117 Depth=2
	v_or_b32_e32 v26, 0x7f, v25
; %bb.2339:                             ;   in Loop: Header=BB6_2117 Depth=2
	s_or_b32 exec_lo, exec_lo, s10
	v_mov_b32_e32 v24, 0
	s_mov_b32 s11, exec_lo
	v_cmpx_lt_u64_e64 s[14:15], v[14:15]
	s_cbranch_execz .LBB6_2347
; %bb.2340:                             ;   in Loop: Header=BB6_2117 Depth=2
	v_lshrrev_b32_e32 v14, 24, v15
	v_bfrev_b32_e32 v24, 1
	s_mov_b32 s12, exec_lo
	s_delay_alu instid0(VALU_DEP_2)
	v_cmpx_ne_u32_e32 0x80, v14
	s_cbranch_execz .LBB6_2346
; %bb.2341:                             ;   in Loop: Header=BB6_2117 Depth=2
	v_bfe_u32 v25, v15, 24, 7
	v_mov_b32_e32 v24, 0x7f800001
	s_mov_b32 s40, exec_lo
	s_delay_alu instid0(VALU_DEP_2)
	v_cmpx_ne_u32_e32 0x7f, v25
	s_cbranch_execz .LBB6_2345
; %bb.2342:                             ;   in Loop: Header=BB6_2117 Depth=2
	v_dual_lshrrev_b32 v15, 3, v25 :: v_dual_bitop2_b32 v96, 7, v14 bitop3:0x40
	s_mov_b32 s41, exec_lo
	v_cmpx_gt_u32_e32 8, v25
; %bb.2343:                             ;   in Loop: Header=BB6_2117 Depth=2
	s_delay_alu instid0(VALU_DEP_2) | instskip(NEXT) | instid1(VALU_DEP_1)
	v_clz_i32_u32_e32 v15, v96
	v_min_u32_e32 v15, 32, v15
	s_delay_alu instid0(VALU_DEP_1) | instskip(NEXT) | instid1(VALU_DEP_1)
	v_subrev_nc_u32_e32 v24, 28, v15
	v_lshlrev_b64_e32 v[24:25], v24, v[96:97]
	s_delay_alu instid0(VALU_DEP_1)
	v_dual_sub_nc_u32 v15, 29, v15 :: v_dual_bitop2_b32 v96, 7, v24 bitop3:0x40
; %bb.2344:                             ;   in Loop: Header=BB6_2117 Depth=2
	s_or_b32 exec_lo, exec_lo, s41
	s_delay_alu instid0(VALU_DEP_1) | instskip(NEXT) | instid1(VALU_DEP_2)
	v_dual_lshlrev_b32 v14, 24, v14 :: v_dual_lshlrev_b32 v24, 20, v96
	v_lshl_add_u32 v15, v15, 23, 0x3c000000
	s_delay_alu instid0(VALU_DEP_2) | instskip(NEXT) | instid1(VALU_DEP_1)
	v_and_b32_e32 v14, 0x80000000, v14
	v_or3_b32 v24, v24, v14, v15
.LBB6_2345:                             ;   in Loop: Header=BB6_2117 Depth=2
	s_or_b32 exec_lo, exec_lo, s40
.LBB6_2346:                             ;   in Loop: Header=BB6_2117 Depth=2
	s_delay_alu instid0(SALU_CYCLE_1)
	s_or_b32 exec_lo, exec_lo, s12
.LBB6_2347:                             ;   in Loop: Header=BB6_2117 Depth=2
	s_delay_alu instid0(SALU_CYCLE_1) | instskip(SKIP_3) | instid1(VALU_DEP_3)
	s_or_b32 exec_lo, exec_lo, s11
	v_lshrrev_b32_e32 v14, 24, v11
	v_bfe_u32 v15, v11, 24, 7
	v_cmp_gt_u64_e64 s12, s[16:17], v[10:11]
	v_cmp_eq_u32_e64 s11, 0x80, v14
	s_delay_alu instid0(VALU_DEP_3) | instskip(NEXT) | instid1(VALU_DEP_2)
	v_cmp_eq_u32_e64 s10, 0x7f, v15
	v_cndmask_b32_e64 v25, 0x7f800001, v77, s11
	s_or_b32 s10, s11, s10
	s_delay_alu instid0(SALU_CYCLE_1) | instskip(NEXT) | instid1(VALU_DEP_1)
	s_nor_b32 s10, s12, s10
	v_cndmask_b32_e64 v10, v25, 0, s12
	s_and_saveexec_b32 s11, s10
	s_cbranch_execz .LBB6_2349
; %bb.2348:                             ;   in Loop: Header=BB6_2117 Depth=2
	v_and_b32_e32 v25, 7, v14
	v_cmp_gt_u32_e64 s10, 8, v15
	s_delay_alu instid0(VALU_DEP_2) | instskip(NEXT) | instid1(VALU_DEP_1)
	v_clz_i32_u32_e32 v10, v25
	v_min_u32_e32 v27, 32, v10
	s_delay_alu instid0(VALU_DEP_1) | instskip(NEXT) | instid1(VALU_DEP_1)
	v_subrev_nc_u32_e32 v10, 28, v27
	v_lshlrev_b64_e32 v[10:11], v10, v[14:15]
	v_lshrrev_b32_e32 v11, 3, v15
	s_delay_alu instid0(VALU_DEP_2) | instskip(NEXT) | instid1(VALU_DEP_1)
	v_dual_sub_nc_u32 v27, 29, v27 :: v_dual_bitop2_b32 v10, 7, v10 bitop3:0x40
	v_dual_lshlrev_b32 v14, 24, v14 :: v_dual_cndmask_b32 v11, v11, v27, s10
	s_delay_alu instid0(VALU_DEP_2) | instskip(NEXT) | instid1(VALU_DEP_2)
	v_cndmask_b32_e64 v10, v25, v10, s10
	v_and_b32_e32 v14, 0x80000000, v14
	s_delay_alu instid0(VALU_DEP_3) | instskip(NEXT) | instid1(VALU_DEP_3)
	v_lshl_add_u32 v11, v11, 23, 0x3c000000
	v_lshlrev_b32_e32 v10, 20, v10
	s_delay_alu instid0(VALU_DEP_1)
	v_or3_b32 v10, v10, v14, v11
.LBB6_2349:                             ;   in Loop: Header=BB6_2117 Depth=2
	s_or_b32 exec_lo, exec_lo, s11
	s_delay_alu instid0(VALU_DEP_1) | instskip(SKIP_1) | instid1(VALU_DEP_1)
	v_mul_f32_e32 v10, v24, v10
                                        ; implicit-def: $vgpr27
	s_mov_b32 s11, exec_lo
	v_and_b32_e32 v96, 0x7f800000, v10
	v_lshrrev_b32_e32 v11, 24, v10
	s_delay_alu instid0(VALU_DEP_2)
	v_cmpx_ne_u64_e32 0x7f800000, v[96:97]
	s_xor_b32 s12, exec_lo, s11
	s_cbranch_execz .LBB6_2363
; %bb.2350:                             ;   in Loop: Header=BB6_2117 Depth=2
	v_and_b32_e32 v96, 0x7fffffff, v10
	v_and_b32_e32 v24, 0x80, v11
                                        ; implicit-def: $vgpr27
	s_mov_b32 s11, exec_lo
	s_delay_alu instid0(VALU_DEP_2)
	v_cmpx_gt_u64_e32 0x43e00001, v[96:97]
	s_xor_b32 s40, exec_lo, s11
	s_cbranch_execz .LBB6_2360
; %bb.2351:                             ;   in Loop: Header=BB6_2117 Depth=2
	v_mov_b32_e32 v27, 0
	s_mov_b32 s41, exec_lo
	v_cmpx_ne_u32_e32 0, v10
	s_cbranch_execz .LBB6_2359
; %bb.2352:                             ;   in Loop: Header=BB6_2117 Depth=2
	v_bfe_u32 v25, v10, 23, 8
	v_and_b32_e32 v14, 0x7fffff, v10
	s_delay_alu instid0(VALU_DEP_2) | instskip(SKIP_1) | instid1(VALU_DEP_3)
	v_sub_nc_u32_e32 v11, 0x79, v25
	v_cmp_gt_u32_e64 s10, 0x7a, v25
	v_or_b32_e32 v15, 0x800000, v14
	s_delay_alu instid0(VALU_DEP_2) | instskip(SKIP_1) | instid1(VALU_DEP_1)
	v_cndmask_b32_e64 v11, 0, v11, s10
	v_cmp_eq_u32_e64 s10, 0, v25
	v_cndmask_b32_e64 v96, v15, v14, s10
	s_delay_alu instid0(VALU_DEP_3) | instskip(NEXT) | instid1(VALU_DEP_1)
	v_cndmask_b32_e64 v27, v11, 0x78, s10
	v_dual_add_nc_u32 v10, 20, v27 :: v_dual_add_nc_u32 v31, 19, v27
	s_delay_alu instid0(VALU_DEP_1) | instskip(NEXT) | instid1(VALU_DEP_2)
	v_lshlrev_b64_e64 v[10:11], v10, -1
	v_lshlrev_b64_e64 v[14:15], v31, 1
	s_delay_alu instid0(VALU_DEP_2) | instskip(NEXT) | instid1(VALU_DEP_3)
	v_bfi_b32 v39, v11, 0, 0
	v_bfi_b32 v38, v10, 0, v96
	v_lshrrev_b64 v[10:11], v27, v[96:97]
	s_delay_alu instid0(VALU_DEP_2) | instskip(NEXT) | instid1(VALU_DEP_2)
	v_cmp_eq_u64_e64 s11, v[38:39], v[14:15]
	v_mov_b64_e32 v[14:15], v[10:11]
	s_and_saveexec_b32 s42, s11
; %bb.2353:                             ;   in Loop: Header=BB6_2117 Depth=2
	v_bfe_u32 v96, v10, 20, 1
	s_delay_alu instid0(VALU_DEP_1) | instskip(NEXT) | instid1(VALU_DEP_1)
	v_add_nc_u64_e32 v[14:15], v[10:11], v[96:97]
	v_add_nc_u64_e32 v[14:15], -1, v[14:15]
; %bb.2354:                             ;   in Loop: Header=BB6_2117 Depth=2
	s_or_b32 exec_lo, exec_lo, s42
	v_add_nc_u32_e32 v11, 0xffffff81, v25
	v_lshrrev_b32_e32 v15, 23, v10
	s_mov_b32 s11, exec_lo
	s_delay_alu instid0(VALU_DEP_2) | instskip(NEXT) | instid1(VALU_DEP_1)
	v_cndmask_b32_e64 v11, v11, 0xffffff82, s10
	v_add3_u32 v15, v27, v11, v15
	v_and_b32_e32 v11, 0xfffff, v14
                                        ; implicit-def: $vgpr14
	s_delay_alu instid0(VALU_DEP_1) | instskip(NEXT) | instid1(VALU_DEP_1)
	v_dual_add_nc_u32 v25, 6, v15 :: v_dual_add_nc_u32 v96, v11, v10
                                        ; implicit-def: $vgpr10_vgpr11
	v_cmpx_ne_u32_e32 0, v25
	s_xor_b32 s11, exec_lo, s11
; %bb.2355:                             ;   in Loop: Header=BB6_2117 Depth=2
	s_delay_alu instid0(VALU_DEP_2) | instskip(SKIP_1) | instid1(VALU_DEP_1)
	v_cmp_lt_u64_e64 s10, 0xffffff, v[96:97]
	v_add_nc_u32_e32 v10, 7, v15
	v_cndmask_b32_e64 v14, v25, v10, s10
	v_cndmask_b32_e64 v10, 0, 1, s10
	s_delay_alu instid0(VALU_DEP_1)
	v_lshrrev_b64 v[10:11], v10, v[96:97]
; %bb.2356:                             ;   in Loop: Header=BB6_2117 Depth=2
	s_and_not1_saveexec_b32 s10, s11
; %bb.2357:                             ;   in Loop: Header=BB6_2117 Depth=2
	v_mov_b64_e32 v[10:11], v[96:97]
	v_bfe_u32 v14, v96, 23, 1
; %bb.2358:                             ;   in Loop: Header=BB6_2117 Depth=2
	s_or_b32 exec_lo, exec_lo, s10
	s_delay_alu instid0(VALU_DEP_2) | instskip(NEXT) | instid1(VALU_DEP_2)
	v_lshrrev_b64 v[10:11], 20, v[10:11]
	v_cmp_gt_i32_e64 s10, 16, v14
	v_min_i32_e32 v15, 15, v14
	v_cmp_eq_u32_e64 s11, 0, v14
	s_delay_alu instid0(VALU_DEP_3) | instskip(NEXT) | instid1(VALU_DEP_3)
	v_cndmask_b32_e64 v11, 0, v11, s10
	v_dual_lshlrev_b32 v15, 3, v15 :: v_dual_cndmask_b32 v10, 7, v10, s10
	s_delay_alu instid0(VALU_DEP_1) | instskip(NEXT) | instid1(VALU_DEP_2)
	v_and_b32_e32 v15, 0xf8, v15
	v_cmp_eq_u64_e64 s10, 0, v[10:11]
	s_delay_alu instid0(VALU_DEP_2)
	v_and_or_b32 v10, v10, 7, v15
	s_and_b32 s10, s11, s10
	s_delay_alu instid0(VALU_DEP_1) | instid1(SALU_CYCLE_1)
	v_cndmask_b32_e64 v10, v10, 0, s10
	s_delay_alu instid0(VALU_DEP_1)
	v_or_b32_e32 v27, v10, v24
.LBB6_2359:                             ;   in Loop: Header=BB6_2117 Depth=2
	s_or_b32 exec_lo, exec_lo, s41
                                        ; implicit-def: $vgpr24
.LBB6_2360:                             ;   in Loop: Header=BB6_2117 Depth=2
	s_and_not1_saveexec_b32 s10, s40
; %bb.2361:                             ;   in Loop: Header=BB6_2117 Depth=2
	v_or_b32_e32 v27, 0x7e, v24
; %bb.2362:                             ;   in Loop: Header=BB6_2117 Depth=2
	s_or_b32 exec_lo, exec_lo, s10
                                        ; implicit-def: $vgpr11
.LBB6_2363:                             ;   in Loop: Header=BB6_2117 Depth=2
	s_and_not1_saveexec_b32 s10, s12
; %bb.2364:                             ;   in Loop: Header=BB6_2117 Depth=2
	v_or_b32_e32 v27, 0x7f, v11
; %bb.2365:                             ;   in Loop: Header=BB6_2117 Depth=2
	s_or_b32 exec_lo, exec_lo, s10
	v_and_b32_e32 v11, 0xff, v16
	v_mov_b32_e32 v10, 0
	s_mov_b32 s11, exec_lo
	s_delay_alu instid0(VALU_DEP_2)
	v_cmpx_ne_u16_e32 0, v11
	s_cbranch_execz .LBB6_2371
; %bb.2366:                             ;   in Loop: Header=BB6_2117 Depth=2
	v_bfrev_b32_e32 v10, 1
	s_mov_b32 s12, exec_lo
	v_cmpx_ne_u16_e32 0x80, v11
	s_cbranch_execz .LBB6_2370
; %bb.2367:                             ;   in Loop: Header=BB6_2117 Depth=2
	v_and_b32_e32 v11, 0x7f, v16
	v_mov_b32_e32 v10, 0x7f800001
	s_mov_b32 s40, exec_lo
	s_delay_alu instid0(VALU_DEP_2)
	v_cmpx_ne_u32_e32 0x7f, v11
	s_cbranch_execz .LBB6_2369
; %bb.2368:                             ;   in Loop: Header=BB6_2117 Depth=2
	v_dual_lshrrev_b32 v14, 3, v11 :: v_dual_bitop2_b32 v10, 7, v16 bitop3:0x40
	v_cmp_gt_u32_e64 s10, 8, v11
	s_delay_alu instid0(VALU_DEP_2) | instskip(NEXT) | instid1(VALU_DEP_1)
	v_clz_i32_u32_e32 v10, v10
	v_min_u32_e32 v10, 32, v10
	s_delay_alu instid0(VALU_DEP_1) | instskip(SKIP_1) | instid1(VALU_DEP_1)
	v_subrev_nc_u32_e32 v15, 28, v10
	v_sub_nc_u32_e32 v10, 29, v10
	v_dual_cndmask_b32 v14, v14, v10, s10 :: v_dual_cndmask_b32 v10, 0, v15, s10
	s_delay_alu instid0(VALU_DEP_1) | instskip(NEXT) | instid1(VALU_DEP_2)
	v_lshl_add_u32 v14, v14, 23, 0x3c000000
	v_lshlrev_b64_e32 v[10:11], v10, v[16:17]
	v_lshlrev_b32_e32 v11, 24, v16
	s_delay_alu instid0(VALU_DEP_1) | instskip(NEXT) | instid1(VALU_DEP_3)
	v_and_b32_e32 v11, 0x80000000, v11
	v_lshlrev_b32_e32 v10, 20, v10
	s_delay_alu instid0(VALU_DEP_1) | instskip(NEXT) | instid1(VALU_DEP_1)
	v_and_b32_e32 v10, 0x700000, v10
	v_or3_b32 v10, v10, v11, v14
.LBB6_2369:                             ;   in Loop: Header=BB6_2117 Depth=2
	s_or_b32 exec_lo, exec_lo, s40
.LBB6_2370:                             ;   in Loop: Header=BB6_2117 Depth=2
	s_delay_alu instid0(SALU_CYCLE_1)
	s_or_b32 exec_lo, exec_lo, s12
.LBB6_2371:                             ;   in Loop: Header=BB6_2117 Depth=2
	s_delay_alu instid0(SALU_CYCLE_1) | instskip(SKIP_3) | instid1(VALU_DEP_1)
	s_or_b32 exec_lo, exec_lo, s11
	v_and_b32_e32 v14, 0xff, v12
	s_mov_b32 s11, 0
	s_mov_b32 s12, exec_lo
	v_cmpx_lt_i16_e32 0x7f, v14
	s_xor_b32 s12, exec_lo, s12
	s_cbranch_execz .LBB6_2406
; %bb.2372:                             ;   in Loop: Header=BB6_2117 Depth=2
	s_mov_b32 s11, -1
	s_mov_b32 s40, exec_lo
	v_cmpx_eq_u16_e32 0x80, v14
; %bb.2373:                             ;   in Loop: Header=BB6_2117 Depth=2
	s_xor_b32 s11, exec_lo, -1
; %bb.2374:                             ;   in Loop: Header=BB6_2117 Depth=2
	s_or_b32 exec_lo, exec_lo, s40
	s_delay_alu instid0(SALU_CYCLE_1)
	s_and_b32 s11, s11, exec_lo
                                        ; implicit-def: $vgpr14
	s_or_saveexec_b32 s12, s12
	v_bfrev_b32_e32 v11, 1
	s_xor_b32 exec_lo, exec_lo, s12
	s_cbranch_execnz .LBB6_2407
.LBB6_2375:                             ;   in Loop: Header=BB6_2117 Depth=2
	s_or_b32 exec_lo, exec_lo, s12
	s_and_saveexec_b32 s12, s11
	s_cbranch_execz .LBB6_2377
.LBB6_2376:                             ;   in Loop: Header=BB6_2117 Depth=2
	v_and_b32_e32 v24, 0x7f, v12
	v_bfe_u32 v14, v12, 3, 4
	s_delay_alu instid0(VALU_DEP_2) | instskip(SKIP_1) | instid1(VALU_DEP_1)
	v_cmp_gt_u32_e64 s10, 8, v24
	v_and_b32_e32 v11, 7, v12
	v_clz_i32_u32_e32 v11, v11
	s_delay_alu instid0(VALU_DEP_1) | instskip(NEXT) | instid1(VALU_DEP_1)
	v_min_u32_e32 v11, 32, v11
	v_subrev_nc_u32_e32 v15, 28, v11
	v_sub_nc_u32_e32 v11, 29, v11
	s_delay_alu instid0(VALU_DEP_1) | instskip(NEXT) | instid1(VALU_DEP_3)
	v_cndmask_b32_e64 v11, v14, v11, s10
	v_cndmask_b32_e64 v14, 0, v15, s10
	v_cmp_ne_u32_e64 s10, 0x7f, v24
	s_delay_alu instid0(VALU_DEP_2) | instskip(SKIP_1) | instid1(VALU_DEP_1)
	v_lshlrev_b64_e32 v[14:15], v14, v[12:13]
	v_lshlrev_b32_e32 v15, 24, v12
	v_and_b32_e32 v15, 0x80000000, v15
	s_delay_alu instid0(VALU_DEP_3) | instskip(SKIP_1) | instid1(VALU_DEP_2)
	v_lshlrev_b32_e32 v14, 20, v14
	v_lshl_add_u32 v11, v11, 23, 0x3c000000
	v_and_b32_e32 v14, 0x700000, v14
	s_delay_alu instid0(VALU_DEP_1) | instskip(NEXT) | instid1(VALU_DEP_1)
	v_or3_b32 v11, v14, v15, v11
	v_cndmask_b32_e64 v11, 0x7f800001, v11, s10
.LBB6_2377:                             ;   in Loop: Header=BB6_2117 Depth=2
	s_or_b32 exec_lo, exec_lo, s12
	s_delay_alu instid0(VALU_DEP_1) | instskip(SKIP_1) | instid1(VALU_DEP_1)
	v_mul_f32_e32 v10, v10, v11
                                        ; implicit-def: $vgpr38
	s_mov_b32 s11, exec_lo
	v_and_b32_e32 v96, 0x7f800000, v10
	v_lshrrev_b32_e32 v11, 24, v10
	s_delay_alu instid0(VALU_DEP_2)
	v_cmpx_ne_u64_e32 0x7f800000, v[96:97]
	s_xor_b32 s12, exec_lo, s11
	s_cbranch_execz .LBB6_2391
; %bb.2378:                             ;   in Loop: Header=BB6_2117 Depth=2
	v_and_b32_e32 v96, 0x7fffffff, v10
	v_and_b32_e32 v24, 0x80, v11
                                        ; implicit-def: $vgpr38
	s_mov_b32 s11, exec_lo
	s_delay_alu instid0(VALU_DEP_2)
	v_cmpx_gt_u64_e32 0x43e00001, v[96:97]
	s_xor_b32 s40, exec_lo, s11
	s_cbranch_execz .LBB6_2388
; %bb.2379:                             ;   in Loop: Header=BB6_2117 Depth=2
	v_mov_b32_e32 v38, 0
	s_mov_b32 s41, exec_lo
	v_cmpx_ne_u32_e32 0, v10
	s_cbranch_execz .LBB6_2387
; %bb.2380:                             ;   in Loop: Header=BB6_2117 Depth=2
	v_bfe_u32 v25, v10, 23, 8
	v_and_b32_e32 v14, 0x7fffff, v10
	s_delay_alu instid0(VALU_DEP_2) | instskip(SKIP_1) | instid1(VALU_DEP_3)
	v_sub_nc_u32_e32 v11, 0x79, v25
	v_cmp_gt_u32_e64 s10, 0x7a, v25
	v_or_b32_e32 v15, 0x800000, v14
	s_delay_alu instid0(VALU_DEP_2) | instskip(SKIP_1) | instid1(VALU_DEP_1)
	v_cndmask_b32_e64 v11, 0, v11, s10
	v_cmp_eq_u32_e64 s10, 0, v25
	v_cndmask_b32_e64 v96, v15, v14, s10
	s_delay_alu instid0(VALU_DEP_3) | instskip(NEXT) | instid1(VALU_DEP_1)
	v_cndmask_b32_e64 v31, v11, 0x78, s10
	v_dual_add_nc_u32 v10, 20, v31 :: v_dual_add_nc_u32 v38, 19, v31
	s_delay_alu instid0(VALU_DEP_1) | instskip(NEXT) | instid1(VALU_DEP_2)
	v_lshlrev_b64_e64 v[10:11], v10, -1
	v_lshlrev_b64_e64 v[14:15], v38, 1
	s_delay_alu instid0(VALU_DEP_2) | instskip(NEXT) | instid1(VALU_DEP_3)
	v_bfi_b32 v39, v11, 0, 0
	v_bfi_b32 v38, v10, 0, v96
	v_lshrrev_b64 v[10:11], v31, v[96:97]
	s_delay_alu instid0(VALU_DEP_2) | instskip(NEXT) | instid1(VALU_DEP_2)
	v_cmp_eq_u64_e64 s11, v[38:39], v[14:15]
	v_mov_b64_e32 v[14:15], v[10:11]
	s_and_saveexec_b32 s42, s11
; %bb.2381:                             ;   in Loop: Header=BB6_2117 Depth=2
	v_bfe_u32 v96, v10, 20, 1
	s_delay_alu instid0(VALU_DEP_1) | instskip(NEXT) | instid1(VALU_DEP_1)
	v_add_nc_u64_e32 v[14:15], v[10:11], v[96:97]
	v_add_nc_u64_e32 v[14:15], -1, v[14:15]
; %bb.2382:                             ;   in Loop: Header=BB6_2117 Depth=2
	s_or_b32 exec_lo, exec_lo, s42
	v_add_nc_u32_e32 v11, 0xffffff81, v25
	v_lshrrev_b32_e32 v15, 23, v10
	s_mov_b32 s11, exec_lo
	s_delay_alu instid0(VALU_DEP_2) | instskip(NEXT) | instid1(VALU_DEP_1)
	v_cndmask_b32_e64 v11, v11, 0xffffff82, s10
	v_add3_u32 v15, v31, v11, v15
	v_and_b32_e32 v11, 0xfffff, v14
                                        ; implicit-def: $vgpr14
	s_delay_alu instid0(VALU_DEP_1) | instskip(NEXT) | instid1(VALU_DEP_1)
	v_dual_add_nc_u32 v25, 6, v15 :: v_dual_add_nc_u32 v96, v11, v10
                                        ; implicit-def: $vgpr10_vgpr11
	v_cmpx_ne_u32_e32 0, v25
	s_xor_b32 s11, exec_lo, s11
; %bb.2383:                             ;   in Loop: Header=BB6_2117 Depth=2
	s_delay_alu instid0(VALU_DEP_2) | instskip(SKIP_1) | instid1(VALU_DEP_1)
	v_cmp_lt_u64_e64 s10, 0xffffff, v[96:97]
	v_add_nc_u32_e32 v10, 7, v15
	v_cndmask_b32_e64 v14, v25, v10, s10
	v_cndmask_b32_e64 v10, 0, 1, s10
	s_delay_alu instid0(VALU_DEP_1)
	v_lshrrev_b64 v[10:11], v10, v[96:97]
; %bb.2384:                             ;   in Loop: Header=BB6_2117 Depth=2
	s_and_not1_saveexec_b32 s10, s11
; %bb.2385:                             ;   in Loop: Header=BB6_2117 Depth=2
	v_mov_b64_e32 v[10:11], v[96:97]
	v_bfe_u32 v14, v96, 23, 1
; %bb.2386:                             ;   in Loop: Header=BB6_2117 Depth=2
	s_or_b32 exec_lo, exec_lo, s10
	s_delay_alu instid0(VALU_DEP_2) | instskip(NEXT) | instid1(VALU_DEP_2)
	v_lshrrev_b64 v[10:11], 20, v[10:11]
	v_cmp_gt_i32_e64 s10, 16, v14
	v_min_i32_e32 v15, 15, v14
	v_cmp_eq_u32_e64 s11, 0, v14
	s_delay_alu instid0(VALU_DEP_3) | instskip(NEXT) | instid1(VALU_DEP_3)
	v_cndmask_b32_e64 v11, 0, v11, s10
	v_dual_lshlrev_b32 v15, 3, v15 :: v_dual_cndmask_b32 v10, 7, v10, s10
	s_delay_alu instid0(VALU_DEP_1) | instskip(NEXT) | instid1(VALU_DEP_2)
	v_and_b32_e32 v15, 0xf8, v15
	v_cmp_eq_u64_e64 s10, 0, v[10:11]
	s_delay_alu instid0(VALU_DEP_2)
	v_and_or_b32 v10, v10, 7, v15
	s_and_b32 s10, s11, s10
	s_delay_alu instid0(VALU_DEP_1) | instid1(SALU_CYCLE_1)
	v_cndmask_b32_e64 v10, v10, 0, s10
	s_delay_alu instid0(VALU_DEP_1)
	v_or_b32_e32 v38, v10, v24
.LBB6_2387:                             ;   in Loop: Header=BB6_2117 Depth=2
	s_or_b32 exec_lo, exec_lo, s41
                                        ; implicit-def: $vgpr24
.LBB6_2388:                             ;   in Loop: Header=BB6_2117 Depth=2
	s_and_not1_saveexec_b32 s10, s40
; %bb.2389:                             ;   in Loop: Header=BB6_2117 Depth=2
	v_or_b32_e32 v38, 0x7e, v24
; %bb.2390:                             ;   in Loop: Header=BB6_2117 Depth=2
	s_or_b32 exec_lo, exec_lo, s10
                                        ; implicit-def: $vgpr11
.LBB6_2391:                             ;   in Loop: Header=BB6_2117 Depth=2
	s_and_not1_saveexec_b32 s10, s12
; %bb.2392:                             ;   in Loop: Header=BB6_2117 Depth=2
	v_or_b32_e32 v38, 0x7f, v11
; %bb.2393:                             ;   in Loop: Header=BB6_2117 Depth=2
	s_or_b32 exec_lo, exec_lo, s10
	v_lshrrev_b16 v10, 8, v16
	v_mov_b32_e32 v11, 0
	s_mov_b32 s11, exec_lo
	s_delay_alu instid0(VALU_DEP_2)
	v_cmpx_ne_u16_e32 0, v10
	s_cbranch_execz .LBB6_2401
; %bb.2394:                             ;   in Loop: Header=BB6_2117 Depth=2
	v_bfrev_b32_e32 v11, 1
	s_mov_b32 s12, exec_lo
	v_cmpx_ne_u16_e32 0x80, v10
	s_cbranch_execz .LBB6_2400
; %bb.2395:                             ;   in Loop: Header=BB6_2117 Depth=2
	v_and_b32_e32 v10, 0xffff, v10
	v_mov_b32_e32 v11, 0x7f800001
	s_mov_b32 s40, exec_lo
	s_delay_alu instid0(VALU_DEP_2) | instskip(NEXT) | instid1(VALU_DEP_1)
	v_and_b32_e32 v14, 0x7f, v10
	v_cmpx_ne_u32_e32 0x7f, v14
	s_cbranch_execz .LBB6_2399
; %bb.2396:                             ;   in Loop: Header=BB6_2117 Depth=2
	v_and_b32_e32 v96, 7, v10
	v_lshrrev_b32_e32 v10, 3, v14
	s_mov_b32 s41, exec_lo
	v_cmpx_gt_u32_e32 8, v14
; %bb.2397:                             ;   in Loop: Header=BB6_2117 Depth=2
	s_delay_alu instid0(VALU_DEP_3) | instskip(NEXT) | instid1(VALU_DEP_1)
	v_clz_i32_u32_e32 v10, v96
	v_min_u32_e32 v10, 32, v10
	s_delay_alu instid0(VALU_DEP_1) | instskip(SKIP_1) | instid1(VALU_DEP_2)
	v_subrev_nc_u32_e32 v11, 28, v10
	v_sub_nc_u32_e32 v10, 29, v10
	v_lshlrev_b64_e32 v[14:15], v11, v[96:97]
	s_delay_alu instid0(VALU_DEP_1)
	v_and_b32_e32 v96, 7, v14
; %bb.2398:                             ;   in Loop: Header=BB6_2117 Depth=2
	s_or_b32 exec_lo, exec_lo, s41
	v_lshlrev_b32_e32 v11, 16, v16
	s_delay_alu instid0(VALU_DEP_2) | instskip(SKIP_1) | instid1(VALU_DEP_3)
	v_lshlrev_b32_e32 v14, 20, v96
	v_lshl_add_u32 v10, v10, 23, 0x3c000000
	v_and_b32_e32 v11, 0x80000000, v11
	s_delay_alu instid0(VALU_DEP_1)
	v_or3_b32 v11, v14, v11, v10
.LBB6_2399:                             ;   in Loop: Header=BB6_2117 Depth=2
	s_or_b32 exec_lo, exec_lo, s40
.LBB6_2400:                             ;   in Loop: Header=BB6_2117 Depth=2
	s_delay_alu instid0(SALU_CYCLE_1)
	s_or_b32 exec_lo, exec_lo, s12
.LBB6_2401:                             ;   in Loop: Header=BB6_2117 Depth=2
	s_delay_alu instid0(SALU_CYCLE_1) | instskip(SKIP_3) | instid1(VALU_DEP_1)
	s_or_b32 exec_lo, exec_lo, s11
	v_lshrrev_b16 v14, 8, v12
	s_mov_b32 s12, 0
	s_mov_b32 s11, exec_lo
	v_cmpx_lt_i16_e32 0x7f, v14
	s_xor_b32 s11, exec_lo, s11
	s_cbranch_execz .LBB6_2408
; %bb.2402:                             ;   in Loop: Header=BB6_2117 Depth=2
	s_mov_b32 s12, -1
	s_mov_b32 s40, exec_lo
	v_cmpx_eq_u16_e32 0x80, v14
; %bb.2403:                             ;   in Loop: Header=BB6_2117 Depth=2
	s_xor_b32 s12, exec_lo, -1
; %bb.2404:                             ;   in Loop: Header=BB6_2117 Depth=2
	s_or_b32 exec_lo, exec_lo, s40
	s_delay_alu instid0(SALU_CYCLE_1)
	s_and_b32 s12, s12, exec_lo
	s_or_saveexec_b32 s11, s11
	v_bfrev_b32_e32 v15, 1
	s_xor_b32 exec_lo, exec_lo, s11
	s_cbranch_execnz .LBB6_2409
.LBB6_2405:                             ;   in Loop: Header=BB6_2117 Depth=2
	s_or_b32 exec_lo, exec_lo, s11
	s_and_saveexec_b32 s11, s12
	s_cbranch_execnz .LBB6_2410
	s_branch .LBB6_2413
.LBB6_2406:                             ;   in Loop: Header=BB6_2117 Depth=2
	s_or_saveexec_b32 s12, s12
	v_bfrev_b32_e32 v11, 1
	s_xor_b32 exec_lo, exec_lo, s12
	s_cbranch_execz .LBB6_2375
.LBB6_2407:                             ;   in Loop: Header=BB6_2117 Depth=2
	v_cmp_ne_u16_e64 s10, 0, v14
	v_mov_b32_e32 v11, 0
	s_and_not1_b32 s11, s11, exec_lo
	s_and_b32 s10, s10, exec_lo
	s_delay_alu instid0(SALU_CYCLE_1)
	s_or_b32 s11, s11, s10
	s_or_b32 exec_lo, exec_lo, s12
	s_and_saveexec_b32 s12, s11
	s_cbranch_execnz .LBB6_2376
	s_branch .LBB6_2377
.LBB6_2408:                             ;   in Loop: Header=BB6_2117 Depth=2
	s_or_saveexec_b32 s11, s11
	v_bfrev_b32_e32 v15, 1
	s_xor_b32 exec_lo, exec_lo, s11
	s_cbranch_execz .LBB6_2405
.LBB6_2409:                             ;   in Loop: Header=BB6_2117 Depth=2
	v_cmp_ne_u16_e64 s10, 0, v14
	v_mov_b32_e32 v15, 0
	s_and_not1_b32 s12, s12, exec_lo
	s_and_b32 s10, s10, exec_lo
	s_delay_alu instid0(SALU_CYCLE_1)
	s_or_b32 s12, s12, s10
	s_or_b32 exec_lo, exec_lo, s11
	s_and_saveexec_b32 s11, s12
	s_cbranch_execz .LBB6_2413
.LBB6_2410:                             ;   in Loop: Header=BB6_2117 Depth=2
	v_and_b32_e32 v10, 0xffff, v14
	v_mov_b32_e32 v15, 0x7f800001
	s_mov_b32 s12, exec_lo
	s_delay_alu instid0(VALU_DEP_2) | instskip(NEXT) | instid1(VALU_DEP_1)
	v_and_b32_e32 v24, 0x7f, v10
	v_cmpx_ne_u32_e32 0x7f, v24
	s_cbranch_execz .LBB6_2412
; %bb.2411:                             ;   in Loop: Header=BB6_2117 Depth=2
	v_and_b32_e32 v15, 7, v10
	v_cmp_gt_u32_e64 s10, 8, v24
	s_delay_alu instid0(VALU_DEP_2) | instskip(NEXT) | instid1(VALU_DEP_1)
	v_clz_i32_u32_e32 v25, v15
	v_min_u32_e32 v25, 32, v25
	s_delay_alu instid0(VALU_DEP_1) | instskip(NEXT) | instid1(VALU_DEP_1)
	v_subrev_nc_u32_e32 v31, 28, v25
	v_lshlrev_b64_e32 v[48:49], v31, v[10:11]
	v_dual_lshrrev_b32 v10, 3, v24 :: v_dual_sub_nc_u32 v25, 29, v25
	s_delay_alu instid0(VALU_DEP_2) | instskip(NEXT) | instid1(VALU_DEP_1)
	v_dual_lshlrev_b32 v14, 24, v14 :: v_dual_bitop2_b32 v24, 7, v48 bitop3:0x40
	v_dual_cndmask_b32 v10, v10, v25, s10 :: v_dual_cndmask_b32 v15, v15, v24, s10
	s_delay_alu instid0(VALU_DEP_2) | instskip(NEXT) | instid1(VALU_DEP_2)
	v_and_b32_e32 v14, 0x80000000, v14
	v_lshl_add_u32 v10, v10, 23, 0x3c000000
	s_delay_alu instid0(VALU_DEP_3) | instskip(NEXT) | instid1(VALU_DEP_1)
	v_lshlrev_b32_e32 v15, 20, v15
	v_or3_b32 v15, v15, v14, v10
.LBB6_2412:                             ;   in Loop: Header=BB6_2117 Depth=2
	s_or_b32 exec_lo, exec_lo, s12
.LBB6_2413:                             ;   in Loop: Header=BB6_2117 Depth=2
	s_delay_alu instid0(SALU_CYCLE_1) | instskip(NEXT) | instid1(VALU_DEP_1)
	s_or_b32 exec_lo, exec_lo, s11
	v_mul_f32_e32 v10, v11, v15
                                        ; implicit-def: $vgpr39
	s_mov_b32 s11, exec_lo
	s_delay_alu instid0(VALU_DEP_1) | instskip(SKIP_1) | instid1(VALU_DEP_2)
	v_and_b32_e32 v96, 0x7f800000, v10
	v_lshrrev_b32_e32 v11, 24, v10
	v_cmpx_ne_u64_e32 0x7f800000, v[96:97]
	s_xor_b32 s12, exec_lo, s11
	s_cbranch_execz .LBB6_2427
; %bb.2414:                             ;   in Loop: Header=BB6_2117 Depth=2
	v_and_b32_e32 v96, 0x7fffffff, v10
	v_and_b32_e32 v24, 0x80, v11
                                        ; implicit-def: $vgpr39
	s_mov_b32 s11, exec_lo
	s_delay_alu instid0(VALU_DEP_2)
	v_cmpx_gt_u64_e32 0x43e00001, v[96:97]
	s_xor_b32 s40, exec_lo, s11
	s_cbranch_execz .LBB6_2424
; %bb.2415:                             ;   in Loop: Header=BB6_2117 Depth=2
	v_mov_b32_e32 v39, 0
	s_mov_b32 s41, exec_lo
	v_cmpx_ne_u32_e32 0, v10
	s_cbranch_execz .LBB6_2423
; %bb.2416:                             ;   in Loop: Header=BB6_2117 Depth=2
	v_bfe_u32 v25, v10, 23, 8
	v_and_b32_e32 v14, 0x7fffff, v10
	s_delay_alu instid0(VALU_DEP_2) | instskip(SKIP_1) | instid1(VALU_DEP_3)
	v_sub_nc_u32_e32 v11, 0x79, v25
	v_cmp_gt_u32_e64 s10, 0x7a, v25
	v_or_b32_e32 v15, 0x800000, v14
	s_delay_alu instid0(VALU_DEP_2) | instskip(SKIP_1) | instid1(VALU_DEP_1)
	v_cndmask_b32_e64 v11, 0, v11, s10
	v_cmp_eq_u32_e64 s10, 0, v25
	v_cndmask_b32_e64 v96, v15, v14, s10
	s_delay_alu instid0(VALU_DEP_3) | instskip(NEXT) | instid1(VALU_DEP_1)
	v_cndmask_b32_e64 v31, v11, 0x78, s10
	v_dual_add_nc_u32 v10, 20, v31 :: v_dual_add_nc_u32 v39, 19, v31
	s_delay_alu instid0(VALU_DEP_1) | instskip(NEXT) | instid1(VALU_DEP_2)
	v_lshlrev_b64_e64 v[10:11], v10, -1
	v_lshlrev_b64_e64 v[14:15], v39, 1
	s_delay_alu instid0(VALU_DEP_2) | instskip(NEXT) | instid1(VALU_DEP_3)
	v_bfi_b32 v49, v11, 0, 0
	v_bfi_b32 v48, v10, 0, v96
	v_lshrrev_b64 v[10:11], v31, v[96:97]
	s_delay_alu instid0(VALU_DEP_2) | instskip(NEXT) | instid1(VALU_DEP_2)
	v_cmp_eq_u64_e64 s11, v[48:49], v[14:15]
	v_mov_b64_e32 v[14:15], v[10:11]
	s_and_saveexec_b32 s42, s11
; %bb.2417:                             ;   in Loop: Header=BB6_2117 Depth=2
	v_bfe_u32 v96, v10, 20, 1
	s_delay_alu instid0(VALU_DEP_1) | instskip(NEXT) | instid1(VALU_DEP_1)
	v_add_nc_u64_e32 v[14:15], v[10:11], v[96:97]
	v_add_nc_u64_e32 v[14:15], -1, v[14:15]
; %bb.2418:                             ;   in Loop: Header=BB6_2117 Depth=2
	s_or_b32 exec_lo, exec_lo, s42
	v_add_nc_u32_e32 v11, 0xffffff81, v25
	v_lshrrev_b32_e32 v15, 23, v10
	s_mov_b32 s11, exec_lo
	s_delay_alu instid0(VALU_DEP_2) | instskip(NEXT) | instid1(VALU_DEP_1)
	v_cndmask_b32_e64 v11, v11, 0xffffff82, s10
	v_add3_u32 v15, v31, v11, v15
	v_and_b32_e32 v11, 0xfffff, v14
                                        ; implicit-def: $vgpr14
	s_delay_alu instid0(VALU_DEP_1) | instskip(NEXT) | instid1(VALU_DEP_1)
	v_dual_add_nc_u32 v25, 6, v15 :: v_dual_add_nc_u32 v96, v11, v10
                                        ; implicit-def: $vgpr10_vgpr11
	v_cmpx_ne_u32_e32 0, v25
	s_xor_b32 s11, exec_lo, s11
; %bb.2419:                             ;   in Loop: Header=BB6_2117 Depth=2
	s_delay_alu instid0(VALU_DEP_2) | instskip(SKIP_1) | instid1(VALU_DEP_1)
	v_cmp_lt_u64_e64 s10, 0xffffff, v[96:97]
	v_add_nc_u32_e32 v10, 7, v15
	v_cndmask_b32_e64 v14, v25, v10, s10
	v_cndmask_b32_e64 v10, 0, 1, s10
	s_delay_alu instid0(VALU_DEP_1)
	v_lshrrev_b64 v[10:11], v10, v[96:97]
; %bb.2420:                             ;   in Loop: Header=BB6_2117 Depth=2
	s_and_not1_saveexec_b32 s10, s11
; %bb.2421:                             ;   in Loop: Header=BB6_2117 Depth=2
	v_mov_b64_e32 v[10:11], v[96:97]
	v_bfe_u32 v14, v96, 23, 1
; %bb.2422:                             ;   in Loop: Header=BB6_2117 Depth=2
	s_or_b32 exec_lo, exec_lo, s10
	s_delay_alu instid0(VALU_DEP_2) | instskip(NEXT) | instid1(VALU_DEP_2)
	v_lshrrev_b64 v[10:11], 20, v[10:11]
	v_cmp_gt_i32_e64 s10, 16, v14
	v_min_i32_e32 v15, 15, v14
	v_cmp_eq_u32_e64 s11, 0, v14
	s_delay_alu instid0(VALU_DEP_3) | instskip(NEXT) | instid1(VALU_DEP_3)
	v_cndmask_b32_e64 v11, 0, v11, s10
	v_dual_lshlrev_b32 v15, 3, v15 :: v_dual_cndmask_b32 v10, 7, v10, s10
	s_delay_alu instid0(VALU_DEP_1) | instskip(NEXT) | instid1(VALU_DEP_2)
	v_and_b32_e32 v15, 0xf8, v15
	v_cmp_eq_u64_e64 s10, 0, v[10:11]
	s_delay_alu instid0(VALU_DEP_2)
	v_and_or_b32 v10, v10, 7, v15
	s_and_b32 s10, s11, s10
	s_delay_alu instid0(VALU_DEP_1) | instid1(SALU_CYCLE_1)
	v_cndmask_b32_e64 v10, v10, 0, s10
	s_delay_alu instid0(VALU_DEP_1)
	v_or_b32_e32 v39, v10, v24
.LBB6_2423:                             ;   in Loop: Header=BB6_2117 Depth=2
	s_or_b32 exec_lo, exec_lo, s41
                                        ; implicit-def: $vgpr24
.LBB6_2424:                             ;   in Loop: Header=BB6_2117 Depth=2
	s_and_not1_saveexec_b32 s10, s40
; %bb.2425:                             ;   in Loop: Header=BB6_2117 Depth=2
	v_or_b32_e32 v39, 0x7e, v24
; %bb.2426:                             ;   in Loop: Header=BB6_2117 Depth=2
	s_or_b32 exec_lo, exec_lo, s10
                                        ; implicit-def: $vgpr11
.LBB6_2427:                             ;   in Loop: Header=BB6_2117 Depth=2
	s_and_not1_saveexec_b32 s10, s12
; %bb.2428:                             ;   in Loop: Header=BB6_2117 Depth=2
	v_or_b32_e32 v39, 0x7f, v11
; %bb.2429:                             ;   in Loop: Header=BB6_2117 Depth=2
	s_or_b32 exec_lo, exec_lo, s10
	v_dual_mov_b32 v11, 0 :: v_dual_lshrrev_b32 v10, 16, v16
	s_mov_b32 s11, exec_lo
	s_delay_alu instid0(VALU_DEP_1) | instskip(NEXT) | instid1(VALU_DEP_1)
	v_and_b32_e32 v14, 0xff, v10
	v_cmpx_ne_u16_e32 0, v14
	s_cbranch_execz .LBB6_2437
; %bb.2430:                             ;   in Loop: Header=BB6_2117 Depth=2
	v_bfrev_b32_e32 v11, 1
	s_mov_b32 s12, exec_lo
	v_cmpx_ne_u16_e32 0x80, v14
	s_cbranch_execz .LBB6_2436
; %bb.2431:                             ;   in Loop: Header=BB6_2117 Depth=2
	v_bfe_u32 v14, v16, 16, 7
	v_mov_b32_e32 v11, 0x7f800001
	s_mov_b32 s40, exec_lo
	s_delay_alu instid0(VALU_DEP_2)
	v_cmpx_ne_u32_e32 0x7f, v14
	s_cbranch_execz .LBB6_2435
; %bb.2432:                             ;   in Loop: Header=BB6_2117 Depth=2
	v_and_b32_e32 v96, 7, v10
	v_lshrrev_b32_e32 v11, 3, v14
	s_mov_b32 s41, exec_lo
	v_cmpx_gt_u32_e32 8, v14
; %bb.2433:                             ;   in Loop: Header=BB6_2117 Depth=2
	s_delay_alu instid0(VALU_DEP_3) | instskip(NEXT) | instid1(VALU_DEP_1)
	v_clz_i32_u32_e32 v11, v96
	v_min_u32_e32 v11, 32, v11
	s_delay_alu instid0(VALU_DEP_1) | instskip(NEXT) | instid1(VALU_DEP_1)
	v_subrev_nc_u32_e32 v14, 28, v11
	v_lshlrev_b64_e32 v[14:15], v14, v[96:97]
	s_delay_alu instid0(VALU_DEP_1)
	v_dual_sub_nc_u32 v11, 29, v11 :: v_dual_bitop2_b32 v96, 7, v14 bitop3:0x40
; %bb.2434:                             ;   in Loop: Header=BB6_2117 Depth=2
	s_or_b32 exec_lo, exec_lo, s41
	s_delay_alu instid0(VALU_DEP_1) | instskip(NEXT) | instid1(VALU_DEP_2)
	v_dual_lshlrev_b32 v10, 24, v10 :: v_dual_lshlrev_b32 v14, 20, v96
	v_lshl_add_u32 v11, v11, 23, 0x3c000000
	s_delay_alu instid0(VALU_DEP_2) | instskip(NEXT) | instid1(VALU_DEP_1)
	v_and_b32_e32 v10, 0x80000000, v10
	v_or3_b32 v11, v14, v10, v11
.LBB6_2435:                             ;   in Loop: Header=BB6_2117 Depth=2
	s_or_b32 exec_lo, exec_lo, s40
.LBB6_2436:                             ;   in Loop: Header=BB6_2117 Depth=2
	s_delay_alu instid0(SALU_CYCLE_1)
	s_or_b32 exec_lo, exec_lo, s12
.LBB6_2437:                             ;   in Loop: Header=BB6_2117 Depth=2
	s_delay_alu instid0(SALU_CYCLE_1) | instskip(SKIP_3) | instid1(VALU_DEP_1)
	s_or_b32 exec_lo, exec_lo, s11
	v_lshrrev_b32_e32 v10, 16, v12
	s_mov_b32 s12, 0
	s_mov_b32 s11, exec_lo
	v_and_b32_e32 v15, 0xff, v10
	s_delay_alu instid0(VALU_DEP_1)
	v_cmpx_lt_i16_e32 0x7f, v15
	s_xor_b32 s11, exec_lo, s11
	s_cbranch_execz .LBB6_2442
; %bb.2438:                             ;   in Loop: Header=BB6_2117 Depth=2
	s_mov_b32 s12, -1
	s_mov_b32 s40, exec_lo
	v_cmpx_eq_u16_e32 0x80, v15
; %bb.2439:                             ;   in Loop: Header=BB6_2117 Depth=2
	s_xor_b32 s12, exec_lo, -1
; %bb.2440:                             ;   in Loop: Header=BB6_2117 Depth=2
	s_or_b32 exec_lo, exec_lo, s40
	s_delay_alu instid0(SALU_CYCLE_1)
	s_and_b32 s12, s12, exec_lo
                                        ; implicit-def: $vgpr15
	s_or_saveexec_b32 s11, s11
	v_bfrev_b32_e32 v14, 1
	s_xor_b32 exec_lo, exec_lo, s11
	s_cbranch_execnz .LBB6_2443
.LBB6_2441:                             ;   in Loop: Header=BB6_2117 Depth=2
	s_or_b32 exec_lo, exec_lo, s11
	s_and_saveexec_b32 s11, s12
	s_cbranch_execnz .LBB6_2444
	s_branch .LBB6_2447
.LBB6_2442:                             ;   in Loop: Header=BB6_2117 Depth=2
	s_or_saveexec_b32 s11, s11
	v_bfrev_b32_e32 v14, 1
	s_xor_b32 exec_lo, exec_lo, s11
	s_cbranch_execz .LBB6_2441
.LBB6_2443:                             ;   in Loop: Header=BB6_2117 Depth=2
	v_cmp_ne_u16_e64 s10, 0, v15
	v_mov_b32_e32 v14, 0
	s_and_not1_b32 s12, s12, exec_lo
	s_and_b32 s10, s10, exec_lo
	s_delay_alu instid0(SALU_CYCLE_1)
	s_or_b32 s12, s12, s10
	s_or_b32 exec_lo, exec_lo, s11
	s_and_saveexec_b32 s11, s12
	s_cbranch_execz .LBB6_2447
.LBB6_2444:                             ;   in Loop: Header=BB6_2117 Depth=2
	v_and_b32_e32 v15, 0x7f, v10
	v_mov_b32_e32 v14, 0x7f800001
	s_mov_b32 s12, exec_lo
	s_delay_alu instid0(VALU_DEP_2)
	v_cmpx_ne_u32_e32 0x7f, v15
	s_cbranch_execz .LBB6_2446
; %bb.2445:                             ;   in Loop: Header=BB6_2117 Depth=2
	v_and_b32_e32 v14, 7, v10
	v_cmp_gt_u32_e64 s10, 8, v15
	s_delay_alu instid0(VALU_DEP_2) | instskip(NEXT) | instid1(VALU_DEP_1)
	v_clz_i32_u32_e32 v24, v14
	v_min_u32_e32 v31, 32, v24
	s_delay_alu instid0(VALU_DEP_1) | instskip(NEXT) | instid1(VALU_DEP_1)
	v_subrev_nc_u32_e32 v24, 28, v31
	v_lshlrev_b64_e32 v[24:25], v24, v[10:11]
	v_lshrrev_b32_e32 v25, 3, v15
	v_dual_sub_nc_u32 v31, 29, v31 :: v_dual_lshlrev_b32 v10, 24, v10
	s_delay_alu instid0(VALU_DEP_1) | instskip(NEXT) | instid1(VALU_DEP_2)
	v_dual_cndmask_b32 v24, v25, v31, s10 :: v_dual_bitop2_b32 v15, 7, v24 bitop3:0x40
	v_and_b32_e32 v10, 0x80000000, v10
	s_delay_alu instid0(VALU_DEP_2) | instskip(NEXT) | instid1(VALU_DEP_3)
	v_cndmask_b32_e64 v14, v14, v15, s10
	v_lshl_add_u32 v15, v24, 23, 0x3c000000
	s_delay_alu instid0(VALU_DEP_2) | instskip(NEXT) | instid1(VALU_DEP_1)
	v_lshlrev_b32_e32 v14, 20, v14
	v_or3_b32 v14, v14, v10, v15
.LBB6_2446:                             ;   in Loop: Header=BB6_2117 Depth=2
	s_or_b32 exec_lo, exec_lo, s12
.LBB6_2447:                             ;   in Loop: Header=BB6_2117 Depth=2
	s_delay_alu instid0(SALU_CYCLE_1) | instskip(NEXT) | instid1(VALU_DEP_1)
	s_or_b32 exec_lo, exec_lo, s11
	v_mul_f32_e32 v10, v11, v14
                                        ; implicit-def: $vgpr48
	s_mov_b32 s11, exec_lo
	s_delay_alu instid0(VALU_DEP_1) | instskip(SKIP_1) | instid1(VALU_DEP_2)
	v_and_b32_e32 v96, 0x7f800000, v10
	v_lshrrev_b32_e32 v11, 24, v10
	v_cmpx_ne_u64_e32 0x7f800000, v[96:97]
	s_xor_b32 s12, exec_lo, s11
	s_cbranch_execz .LBB6_2461
; %bb.2448:                             ;   in Loop: Header=BB6_2117 Depth=2
	v_and_b32_e32 v96, 0x7fffffff, v10
	v_and_b32_e32 v24, 0x80, v11
                                        ; implicit-def: $vgpr48
	s_mov_b32 s11, exec_lo
	s_delay_alu instid0(VALU_DEP_2)
	v_cmpx_gt_u64_e32 0x43e00001, v[96:97]
	s_xor_b32 s40, exec_lo, s11
	s_cbranch_execz .LBB6_2458
; %bb.2449:                             ;   in Loop: Header=BB6_2117 Depth=2
	v_mov_b32_e32 v48, 0
	s_mov_b32 s41, exec_lo
	v_cmpx_ne_u32_e32 0, v10
	s_cbranch_execz .LBB6_2457
; %bb.2450:                             ;   in Loop: Header=BB6_2117 Depth=2
	v_bfe_u32 v25, v10, 23, 8
	v_and_b32_e32 v14, 0x7fffff, v10
	s_delay_alu instid0(VALU_DEP_2) | instskip(SKIP_1) | instid1(VALU_DEP_3)
	v_sub_nc_u32_e32 v11, 0x79, v25
	v_cmp_gt_u32_e64 s10, 0x7a, v25
	v_or_b32_e32 v15, 0x800000, v14
	s_delay_alu instid0(VALU_DEP_2) | instskip(SKIP_1) | instid1(VALU_DEP_1)
	v_cndmask_b32_e64 v11, 0, v11, s10
	v_cmp_eq_u32_e64 s10, 0, v25
	v_cndmask_b32_e64 v96, v15, v14, s10
	s_delay_alu instid0(VALU_DEP_3) | instskip(NEXT) | instid1(VALU_DEP_1)
	v_cndmask_b32_e64 v31, v11, 0x78, s10
	v_dual_add_nc_u32 v10, 20, v31 :: v_dual_add_nc_u32 v48, 19, v31
	s_delay_alu instid0(VALU_DEP_1) | instskip(NEXT) | instid1(VALU_DEP_2)
	v_lshlrev_b64_e64 v[10:11], v10, -1
	v_lshlrev_b64_e64 v[14:15], v48, 1
	s_delay_alu instid0(VALU_DEP_2) | instskip(NEXT) | instid1(VALU_DEP_3)
	v_bfi_b32 v49, v11, 0, 0
	v_bfi_b32 v48, v10, 0, v96
	v_lshrrev_b64 v[10:11], v31, v[96:97]
	s_delay_alu instid0(VALU_DEP_2) | instskip(NEXT) | instid1(VALU_DEP_2)
	v_cmp_eq_u64_e64 s11, v[48:49], v[14:15]
	v_mov_b64_e32 v[14:15], v[10:11]
	s_and_saveexec_b32 s42, s11
; %bb.2451:                             ;   in Loop: Header=BB6_2117 Depth=2
	v_bfe_u32 v96, v10, 20, 1
	s_delay_alu instid0(VALU_DEP_1) | instskip(NEXT) | instid1(VALU_DEP_1)
	v_add_nc_u64_e32 v[14:15], v[10:11], v[96:97]
	v_add_nc_u64_e32 v[14:15], -1, v[14:15]
; %bb.2452:                             ;   in Loop: Header=BB6_2117 Depth=2
	s_or_b32 exec_lo, exec_lo, s42
	v_add_nc_u32_e32 v11, 0xffffff81, v25
	v_lshrrev_b32_e32 v15, 23, v10
	s_mov_b32 s11, exec_lo
	s_delay_alu instid0(VALU_DEP_2) | instskip(NEXT) | instid1(VALU_DEP_1)
	v_cndmask_b32_e64 v11, v11, 0xffffff82, s10
	v_add3_u32 v15, v31, v11, v15
	v_and_b32_e32 v11, 0xfffff, v14
                                        ; implicit-def: $vgpr14
	s_delay_alu instid0(VALU_DEP_1) | instskip(NEXT) | instid1(VALU_DEP_1)
	v_dual_add_nc_u32 v25, 6, v15 :: v_dual_add_nc_u32 v96, v11, v10
                                        ; implicit-def: $vgpr10_vgpr11
	v_cmpx_ne_u32_e32 0, v25
	s_xor_b32 s11, exec_lo, s11
; %bb.2453:                             ;   in Loop: Header=BB6_2117 Depth=2
	s_delay_alu instid0(VALU_DEP_2) | instskip(SKIP_1) | instid1(VALU_DEP_1)
	v_cmp_lt_u64_e64 s10, 0xffffff, v[96:97]
	v_add_nc_u32_e32 v10, 7, v15
	v_cndmask_b32_e64 v14, v25, v10, s10
	v_cndmask_b32_e64 v10, 0, 1, s10
	s_delay_alu instid0(VALU_DEP_1)
	v_lshrrev_b64 v[10:11], v10, v[96:97]
; %bb.2454:                             ;   in Loop: Header=BB6_2117 Depth=2
	s_and_not1_saveexec_b32 s10, s11
; %bb.2455:                             ;   in Loop: Header=BB6_2117 Depth=2
	v_mov_b64_e32 v[10:11], v[96:97]
	v_bfe_u32 v14, v96, 23, 1
; %bb.2456:                             ;   in Loop: Header=BB6_2117 Depth=2
	s_or_b32 exec_lo, exec_lo, s10
	s_delay_alu instid0(VALU_DEP_2) | instskip(NEXT) | instid1(VALU_DEP_2)
	v_lshrrev_b64 v[10:11], 20, v[10:11]
	v_cmp_gt_i32_e64 s10, 16, v14
	v_min_i32_e32 v15, 15, v14
	v_cmp_eq_u32_e64 s11, 0, v14
	s_delay_alu instid0(VALU_DEP_3) | instskip(NEXT) | instid1(VALU_DEP_3)
	v_cndmask_b32_e64 v11, 0, v11, s10
	v_dual_lshlrev_b32 v15, 3, v15 :: v_dual_cndmask_b32 v10, 7, v10, s10
	s_delay_alu instid0(VALU_DEP_1) | instskip(NEXT) | instid1(VALU_DEP_2)
	v_and_b32_e32 v15, 0xf8, v15
	v_cmp_eq_u64_e64 s10, 0, v[10:11]
	s_delay_alu instid0(VALU_DEP_2)
	v_and_or_b32 v10, v10, 7, v15
	s_and_b32 s10, s11, s10
	s_delay_alu instid0(VALU_DEP_1) | instid1(SALU_CYCLE_1)
	v_cndmask_b32_e64 v10, v10, 0, s10
	s_delay_alu instid0(VALU_DEP_1)
	v_or_b32_e32 v48, v10, v24
.LBB6_2457:                             ;   in Loop: Header=BB6_2117 Depth=2
	s_or_b32 exec_lo, exec_lo, s41
                                        ; implicit-def: $vgpr24
.LBB6_2458:                             ;   in Loop: Header=BB6_2117 Depth=2
	s_and_not1_saveexec_b32 s10, s40
; %bb.2459:                             ;   in Loop: Header=BB6_2117 Depth=2
	v_or_b32_e32 v48, 0x7e, v24
; %bb.2460:                             ;   in Loop: Header=BB6_2117 Depth=2
	s_or_b32 exec_lo, exec_lo, s10
                                        ; implicit-def: $vgpr11
.LBB6_2461:                             ;   in Loop: Header=BB6_2117 Depth=2
	s_and_not1_saveexec_b32 s10, s12
; %bb.2462:                             ;   in Loop: Header=BB6_2117 Depth=2
	v_or_b32_e32 v48, 0x7f, v11
; %bb.2463:                             ;   in Loop: Header=BB6_2117 Depth=2
	s_or_b32 exec_lo, exec_lo, s10
	v_mov_b32_e32 v11, 0
	s_mov_b32 s11, exec_lo
	v_cmpx_lt_u32_e32 0xffffff, v16
	s_cbranch_execz .LBB6_2471
; %bb.2464:                             ;   in Loop: Header=BB6_2117 Depth=2
	v_lshrrev_b32_e32 v10, 24, v16
	v_bfrev_b32_e32 v11, 1
	s_mov_b32 s12, exec_lo
	s_delay_alu instid0(VALU_DEP_2)
	v_cmpx_ne_u32_e32 0x80, v10
	s_cbranch_execz .LBB6_2470
; %bb.2465:                             ;   in Loop: Header=BB6_2117 Depth=2
	v_bfe_u32 v14, v16, 24, 7
	v_mov_b32_e32 v11, 0x7f800001
	s_mov_b32 s40, exec_lo
	s_delay_alu instid0(VALU_DEP_2)
	v_cmpx_ne_u32_e32 0x7f, v14
	s_cbranch_execz .LBB6_2469
; %bb.2466:                             ;   in Loop: Header=BB6_2117 Depth=2
	v_and_b32_e32 v96, 7, v10
	v_lshrrev_b32_e32 v11, 3, v14
	s_mov_b32 s41, exec_lo
	v_cmpx_gt_u32_e32 8, v14
; %bb.2467:                             ;   in Loop: Header=BB6_2117 Depth=2
	s_delay_alu instid0(VALU_DEP_3) | instskip(NEXT) | instid1(VALU_DEP_1)
	v_clz_i32_u32_e32 v11, v96
	v_min_u32_e32 v11, 32, v11
	s_delay_alu instid0(VALU_DEP_1) | instskip(NEXT) | instid1(VALU_DEP_1)
	v_subrev_nc_u32_e32 v14, 28, v11
	v_lshlrev_b64_e32 v[14:15], v14, v[96:97]
	s_delay_alu instid0(VALU_DEP_1)
	v_dual_sub_nc_u32 v11, 29, v11 :: v_dual_bitop2_b32 v96, 7, v14 bitop3:0x40
; %bb.2468:                             ;   in Loop: Header=BB6_2117 Depth=2
	s_or_b32 exec_lo, exec_lo, s41
	s_delay_alu instid0(VALU_DEP_1) | instskip(NEXT) | instid1(VALU_DEP_2)
	v_dual_lshlrev_b32 v10, 24, v10 :: v_dual_lshlrev_b32 v14, 20, v96
	v_lshl_add_u32 v11, v11, 23, 0x3c000000
	s_delay_alu instid0(VALU_DEP_2) | instskip(NEXT) | instid1(VALU_DEP_1)
	v_and_b32_e32 v10, 0x80000000, v10
	v_or3_b32 v11, v14, v10, v11
.LBB6_2469:                             ;   in Loop: Header=BB6_2117 Depth=2
	s_or_b32 exec_lo, exec_lo, s40
.LBB6_2470:                             ;   in Loop: Header=BB6_2117 Depth=2
	s_delay_alu instid0(SALU_CYCLE_1)
	s_or_b32 exec_lo, exec_lo, s12
.LBB6_2471:                             ;   in Loop: Header=BB6_2117 Depth=2
	s_delay_alu instid0(SALU_CYCLE_1) | instskip(SKIP_3) | instid1(VALU_DEP_3)
	s_or_b32 exec_lo, exec_lo, s11
	v_lshrrev_b32_e32 v10, 24, v12
	v_bfe_u32 v14, v12, 24, 7
	v_cmp_gt_u32_e64 s12, 0x1000000, v12
	v_cmp_eq_u32_e64 s10, 0x80, v10
	s_delay_alu instid0(VALU_DEP_3) | instskip(NEXT) | instid1(VALU_DEP_2)
	v_cmp_eq_u32_e64 s11, 0x7f, v14
	v_cndmask_b32_e64 v15, 0x7f800001, v77, s10
	s_or_b32 s10, s10, s11
	s_delay_alu instid0(SALU_CYCLE_1) | instskip(NEXT) | instid1(VALU_DEP_1)
	s_nor_b32 s10, s12, s10
	v_cndmask_b32_e64 v15, v15, 0, s12
	s_and_saveexec_b32 s11, s10
	s_cbranch_execz .LBB6_2473
; %bb.2472:                             ;   in Loop: Header=BB6_2117 Depth=2
	v_and_b32_e32 v15, 7, v10
	v_cmp_gt_u32_e64 s10, 8, v14
	s_delay_alu instid0(VALU_DEP_2) | instskip(NEXT) | instid1(VALU_DEP_1)
	v_clz_i32_u32_e32 v24, v15
	v_min_u32_e32 v31, 32, v24
	s_delay_alu instid0(VALU_DEP_1) | instskip(SKIP_1) | instid1(VALU_DEP_2)
	v_subrev_nc_u32_e32 v24, 28, v31
	v_sub_nc_u32_e32 v31, 29, v31
	v_lshlrev_b64_e32 v[24:25], v24, v[10:11]
	v_lshrrev_b32_e32 v25, 3, v14
	s_delay_alu instid0(VALU_DEP_2) | instskip(NEXT) | instid1(VALU_DEP_2)
	v_dual_lshlrev_b32 v10, 24, v10 :: v_dual_bitop2_b32 v14, 7, v24 bitop3:0x40
	v_cndmask_b32_e64 v24, v25, v31, s10
	s_delay_alu instid0(VALU_DEP_2) | instskip(NEXT) | instid1(VALU_DEP_3)
	v_and_b32_e32 v10, 0x80000000, v10
	v_cndmask_b32_e64 v14, v15, v14, s10
	s_delay_alu instid0(VALU_DEP_3) | instskip(NEXT) | instid1(VALU_DEP_2)
	v_lshl_add_u32 v15, v24, 23, 0x3c000000
	v_lshlrev_b32_e32 v14, 20, v14
	s_delay_alu instid0(VALU_DEP_1)
	v_or3_b32 v15, v14, v10, v15
.LBB6_2473:                             ;   in Loop: Header=BB6_2117 Depth=2
	s_or_b32 exec_lo, exec_lo, s11
	s_delay_alu instid0(VALU_DEP_1) | instskip(SKIP_1) | instid1(VALU_DEP_1)
	v_mul_f32_e32 v10, v11, v15
                                        ; implicit-def: $vgpr49
	s_mov_b32 s11, exec_lo
	v_and_b32_e32 v96, 0x7f800000, v10
	v_lshrrev_b32_e32 v11, 24, v10
	s_delay_alu instid0(VALU_DEP_2)
	v_cmpx_ne_u64_e32 0x7f800000, v[96:97]
	s_xor_b32 s12, exec_lo, s11
	s_cbranch_execz .LBB6_2487
; %bb.2474:                             ;   in Loop: Header=BB6_2117 Depth=2
	v_and_b32_e32 v96, 0x7fffffff, v10
	v_and_b32_e32 v24, 0x80, v11
                                        ; implicit-def: $vgpr49
	s_mov_b32 s11, exec_lo
	s_delay_alu instid0(VALU_DEP_2)
	v_cmpx_gt_u64_e32 0x43e00001, v[96:97]
	s_xor_b32 s40, exec_lo, s11
	s_cbranch_execz .LBB6_2484
; %bb.2475:                             ;   in Loop: Header=BB6_2117 Depth=2
	v_mov_b32_e32 v49, 0
	s_mov_b32 s41, exec_lo
	v_cmpx_ne_u32_e32 0, v10
	s_cbranch_execz .LBB6_2483
; %bb.2476:                             ;   in Loop: Header=BB6_2117 Depth=2
	v_bfe_u32 v25, v10, 23, 8
	v_and_b32_e32 v14, 0x7fffff, v10
	s_delay_alu instid0(VALU_DEP_2) | instskip(SKIP_1) | instid1(VALU_DEP_3)
	v_sub_nc_u32_e32 v11, 0x79, v25
	v_cmp_gt_u32_e64 s10, 0x7a, v25
	v_or_b32_e32 v15, 0x800000, v14
	s_delay_alu instid0(VALU_DEP_2) | instskip(SKIP_1) | instid1(VALU_DEP_1)
	v_cndmask_b32_e64 v11, 0, v11, s10
	v_cmp_eq_u32_e64 s10, 0, v25
	v_cndmask_b32_e64 v96, v15, v14, s10
	s_delay_alu instid0(VALU_DEP_3) | instskip(NEXT) | instid1(VALU_DEP_1)
	v_cndmask_b32_e64 v31, v11, 0x78, s10
	v_dual_add_nc_u32 v10, 20, v31 :: v_dual_add_nc_u32 v49, 19, v31
	s_delay_alu instid0(VALU_DEP_1) | instskip(NEXT) | instid1(VALU_DEP_2)
	v_lshlrev_b64_e64 v[10:11], v10, -1
	v_lshlrev_b64_e64 v[14:15], v49, 1
	s_delay_alu instid0(VALU_DEP_2) | instskip(NEXT) | instid1(VALU_DEP_3)
	v_bfi_b32 v51, v11, 0, 0
	v_bfi_b32 v50, v10, 0, v96
	v_lshrrev_b64 v[10:11], v31, v[96:97]
	s_delay_alu instid0(VALU_DEP_2) | instskip(NEXT) | instid1(VALU_DEP_2)
	v_cmp_eq_u64_e64 s11, v[50:51], v[14:15]
	v_mov_b64_e32 v[14:15], v[10:11]
	s_and_saveexec_b32 s42, s11
; %bb.2477:                             ;   in Loop: Header=BB6_2117 Depth=2
	v_bfe_u32 v96, v10, 20, 1
	s_delay_alu instid0(VALU_DEP_1) | instskip(NEXT) | instid1(VALU_DEP_1)
	v_add_nc_u64_e32 v[14:15], v[10:11], v[96:97]
	v_add_nc_u64_e32 v[14:15], -1, v[14:15]
; %bb.2478:                             ;   in Loop: Header=BB6_2117 Depth=2
	s_or_b32 exec_lo, exec_lo, s42
	v_add_nc_u32_e32 v11, 0xffffff81, v25
	v_lshrrev_b32_e32 v15, 23, v10
	s_mov_b32 s11, exec_lo
	s_delay_alu instid0(VALU_DEP_2) | instskip(NEXT) | instid1(VALU_DEP_1)
	v_cndmask_b32_e64 v11, v11, 0xffffff82, s10
	v_add3_u32 v15, v31, v11, v15
	v_and_b32_e32 v11, 0xfffff, v14
                                        ; implicit-def: $vgpr14
	s_delay_alu instid0(VALU_DEP_1) | instskip(NEXT) | instid1(VALU_DEP_1)
	v_dual_add_nc_u32 v25, 6, v15 :: v_dual_add_nc_u32 v96, v11, v10
                                        ; implicit-def: $vgpr10_vgpr11
	v_cmpx_ne_u32_e32 0, v25
	s_xor_b32 s11, exec_lo, s11
; %bb.2479:                             ;   in Loop: Header=BB6_2117 Depth=2
	s_delay_alu instid0(VALU_DEP_2) | instskip(SKIP_1) | instid1(VALU_DEP_1)
	v_cmp_lt_u64_e64 s10, 0xffffff, v[96:97]
	v_add_nc_u32_e32 v10, 7, v15
	v_cndmask_b32_e64 v14, v25, v10, s10
	v_cndmask_b32_e64 v10, 0, 1, s10
	s_delay_alu instid0(VALU_DEP_1)
	v_lshrrev_b64 v[10:11], v10, v[96:97]
; %bb.2480:                             ;   in Loop: Header=BB6_2117 Depth=2
	s_and_not1_saveexec_b32 s10, s11
; %bb.2481:                             ;   in Loop: Header=BB6_2117 Depth=2
	v_mov_b64_e32 v[10:11], v[96:97]
	v_bfe_u32 v14, v96, 23, 1
; %bb.2482:                             ;   in Loop: Header=BB6_2117 Depth=2
	s_or_b32 exec_lo, exec_lo, s10
	s_delay_alu instid0(VALU_DEP_2) | instskip(NEXT) | instid1(VALU_DEP_2)
	v_lshrrev_b64 v[10:11], 20, v[10:11]
	v_cmp_gt_i32_e64 s10, 16, v14
	v_min_i32_e32 v15, 15, v14
	v_cmp_eq_u32_e64 s11, 0, v14
	s_delay_alu instid0(VALU_DEP_3) | instskip(NEXT) | instid1(VALU_DEP_3)
	v_cndmask_b32_e64 v11, 0, v11, s10
	v_dual_lshlrev_b32 v15, 3, v15 :: v_dual_cndmask_b32 v10, 7, v10, s10
	s_delay_alu instid0(VALU_DEP_1) | instskip(NEXT) | instid1(VALU_DEP_2)
	v_and_b32_e32 v15, 0xf8, v15
	v_cmp_eq_u64_e64 s10, 0, v[10:11]
	s_delay_alu instid0(VALU_DEP_2)
	v_and_or_b32 v10, v10, 7, v15
	s_and_b32 s10, s11, s10
	s_delay_alu instid0(VALU_DEP_1) | instid1(SALU_CYCLE_1)
	v_cndmask_b32_e64 v10, v10, 0, s10
	s_delay_alu instid0(VALU_DEP_1)
	v_or_b32_e32 v49, v10, v24
.LBB6_2483:                             ;   in Loop: Header=BB6_2117 Depth=2
	s_or_b32 exec_lo, exec_lo, s41
                                        ; implicit-def: $vgpr24
.LBB6_2484:                             ;   in Loop: Header=BB6_2117 Depth=2
	s_and_not1_saveexec_b32 s10, s40
; %bb.2485:                             ;   in Loop: Header=BB6_2117 Depth=2
	v_or_b32_e32 v49, 0x7e, v24
; %bb.2486:                             ;   in Loop: Header=BB6_2117 Depth=2
	s_or_b32 exec_lo, exec_lo, s10
                                        ; implicit-def: $vgpr11
.LBB6_2487:                             ;   in Loop: Header=BB6_2117 Depth=2
	s_and_not1_saveexec_b32 s10, s12
; %bb.2488:                             ;   in Loop: Header=BB6_2117 Depth=2
	v_or_b32_e32 v49, 0x7f, v11
; %bb.2489:                             ;   in Loop: Header=BB6_2117 Depth=2
	s_or_b32 exec_lo, exec_lo, s10
	v_and_b32_e32 v10, 0xff, v17
	v_dual_mov_b32 v96, v17 :: v_dual_mov_b32 v14, 0
	s_mov_b32 s11, exec_lo
	s_delay_alu instid0(VALU_DEP_2)
	v_cmpx_ne_u16_e32 0, v10
	s_cbranch_execz .LBB6_2495
; %bb.2490:                             ;   in Loop: Header=BB6_2117 Depth=2
	v_bfrev_b32_e32 v14, 1
	s_mov_b32 s12, exec_lo
	v_cmpx_ne_u16_e32 0x80, v10
	s_cbranch_execz .LBB6_2494
; %bb.2491:                             ;   in Loop: Header=BB6_2117 Depth=2
	v_and_b32_e32 v10, 0x7f, v17
	v_mov_b32_e32 v14, 0x7f800001
	s_mov_b32 s40, exec_lo
	s_delay_alu instid0(VALU_DEP_2)
	v_cmpx_ne_u32_e32 0x7f, v10
	s_cbranch_execz .LBB6_2493
; %bb.2492:                             ;   in Loop: Header=BB6_2117 Depth=2
	v_dual_lshrrev_b32 v14, 3, v10 :: v_dual_bitop2_b32 v11, 7, v17 bitop3:0x40
	v_cmp_gt_u32_e64 s10, 8, v10
	s_delay_alu instid0(VALU_DEP_2) | instskip(NEXT) | instid1(VALU_DEP_1)
	v_clz_i32_u32_e32 v11, v11
	v_min_u32_e32 v11, 32, v11
	s_delay_alu instid0(VALU_DEP_1) | instskip(SKIP_1) | instid1(VALU_DEP_2)
	v_subrev_nc_u32_e32 v15, 28, v11
	v_sub_nc_u32_e32 v11, 29, v11
	v_cndmask_b32_e64 v10, 0, v15, s10
	s_delay_alu instid0(VALU_DEP_2) | instskip(NEXT) | instid1(VALU_DEP_2)
	v_cndmask_b32_e64 v14, v14, v11, s10
	v_lshlrev_b64_e32 v[10:11], v10, v[96:97]
	v_lshlrev_b32_e32 v11, 24, v96
	s_delay_alu instid0(VALU_DEP_3) | instskip(NEXT) | instid1(VALU_DEP_2)
	v_lshl_add_u32 v14, v14, 23, 0x3c000000
	v_and_b32_e32 v11, 0x80000000, v11
	s_delay_alu instid0(VALU_DEP_4) | instskip(NEXT) | instid1(VALU_DEP_1)
	v_lshlrev_b32_e32 v10, 20, v10
	v_and_b32_e32 v10, 0x700000, v10
	s_delay_alu instid0(VALU_DEP_1)
	v_or3_b32 v14, v10, v11, v14
.LBB6_2493:                             ;   in Loop: Header=BB6_2117 Depth=2
	s_or_b32 exec_lo, exec_lo, s40
.LBB6_2494:                             ;   in Loop: Header=BB6_2117 Depth=2
	s_delay_alu instid0(SALU_CYCLE_1)
	s_or_b32 exec_lo, exec_lo, s12
.LBB6_2495:                             ;   in Loop: Header=BB6_2117 Depth=2
	s_delay_alu instid0(SALU_CYCLE_1) | instskip(SKIP_4) | instid1(VALU_DEP_2)
	s_or_b32 exec_lo, exec_lo, s11
	v_and_b32_e32 v11, 0xff, v13
	v_mov_b32_e32 v10, v13
	s_mov_b32 s11, 0
	s_mov_b32 s12, exec_lo
	v_cmpx_lt_i16_e32 0x7f, v11
	s_xor_b32 s12, exec_lo, s12
	s_cbranch_execz .LBB6_2530
; %bb.2496:                             ;   in Loop: Header=BB6_2117 Depth=2
	s_mov_b32 s11, -1
	s_mov_b32 s40, exec_lo
	v_cmpx_eq_u16_e32 0x80, v11
; %bb.2497:                             ;   in Loop: Header=BB6_2117 Depth=2
	s_xor_b32 s11, exec_lo, -1
; %bb.2498:                             ;   in Loop: Header=BB6_2117 Depth=2
	s_or_b32 exec_lo, exec_lo, s40
	s_delay_alu instid0(SALU_CYCLE_1)
	s_and_b32 s11, s11, exec_lo
                                        ; implicit-def: $vgpr11
	s_or_saveexec_b32 s12, s12
	v_bfrev_b32_e32 v15, 1
	s_xor_b32 exec_lo, exec_lo, s12
	s_cbranch_execnz .LBB6_2531
.LBB6_2499:                             ;   in Loop: Header=BB6_2117 Depth=2
	s_or_b32 exec_lo, exec_lo, s12
	v_mov_b32_e32 v11, v97
	s_and_saveexec_b32 s12, s11
	s_cbranch_execz .LBB6_2501
.LBB6_2500:                             ;   in Loop: Header=BB6_2117 Depth=2
	v_and_b32_e32 v15, 7, v13
	v_and_b32_e32 v31, 0x7f, v13
	v_bfe_u32 v24, v13, 3, 4
	s_delay_alu instid0(VALU_DEP_3) | instskip(NEXT) | instid1(VALU_DEP_3)
	v_clz_i32_u32_e32 v15, v15
	v_cmp_gt_u32_e64 s10, 8, v31
	s_delay_alu instid0(VALU_DEP_2) | instskip(NEXT) | instid1(VALU_DEP_1)
	v_min_u32_e32 v15, 32, v15
	v_subrev_nc_u32_e32 v25, 28, v15
	v_sub_nc_u32_e32 v15, 29, v15
	s_delay_alu instid0(VALU_DEP_1) | instskip(SKIP_1) | instid1(VALU_DEP_2)
	v_dual_cndmask_b32 v15, v24, v15, s10 :: v_dual_cndmask_b32 v24, 0, v25, s10
	v_cmp_ne_u32_e64 s10, 0x7f, v31
	v_lshlrev_b64_e32 v[24:25], v24, v[10:11]
	v_lshlrev_b32_e32 v11, 24, v10
	s_delay_alu instid0(VALU_DEP_1) | instskip(NEXT) | instid1(VALU_DEP_3)
	v_and_b32_e32 v11, 0x80000000, v11
	v_lshlrev_b32_e32 v24, 20, v24
	v_lshl_add_u32 v15, v15, 23, 0x3c000000
	s_delay_alu instid0(VALU_DEP_2) | instskip(NEXT) | instid1(VALU_DEP_1)
	v_and_b32_e32 v24, 0x700000, v24
	v_or3_b32 v11, v24, v11, v15
	s_delay_alu instid0(VALU_DEP_1)
	v_cndmask_b32_e64 v15, 0x7f800001, v11, s10
.LBB6_2501:                             ;   in Loop: Header=BB6_2117 Depth=2
	s_or_b32 exec_lo, exec_lo, s12
	s_delay_alu instid0(VALU_DEP_1) | instskip(NEXT) | instid1(VALU_DEP_1)
	v_dual_mul_f32 v14, v14, v15 :: v_dual_mov_b32 v25, v97
	v_and_b32_e32 v24, 0x7f800000, v14
	v_lshrrev_b32_e32 v11, 24, v14
	s_delay_alu instid0(VALU_DEP_2) | instskip(SKIP_1) | instid1(SALU_CYCLE_1)
	v_cmp_ne_u64_e64 s10, 0x7f800000, v[24:25]
                                        ; implicit-def: $vgpr24
	s_and_saveexec_b32 s11, s10
	s_xor_b32 s12, exec_lo, s11
	s_cbranch_execz .LBB6_2515
; %bb.2502:                             ;   in Loop: Header=BB6_2117 Depth=2
	v_and_b32_e32 v24, 0x7fffffff, v14
	v_mov_b32_e32 v25, v97
	v_and_b32_e32 v11, 0x80, v11
	s_delay_alu instid0(VALU_DEP_2) | instskip(SKIP_1) | instid1(SALU_CYCLE_1)
	v_cmp_gt_u64_e64 s10, 0x43e00001, v[24:25]
                                        ; implicit-def: $vgpr24
	s_and_saveexec_b32 s11, s10
	s_xor_b32 s40, exec_lo, s11
	s_cbranch_execz .LBB6_2512
; %bb.2503:                             ;   in Loop: Header=BB6_2117 Depth=2
	v_mov_b32_e32 v24, 0
	s_mov_b32 s41, exec_lo
	v_cmpx_ne_u32_e32 0, v14
	s_cbranch_execz .LBB6_2511
; %bb.2504:                             ;   in Loop: Header=BB6_2117 Depth=2
	v_bfe_u32 v31, v14, 23, 8
	v_and_b32_e32 v24, 0x7fffff, v14
	s_mov_b32 s42, exec_lo
	s_delay_alu instid0(VALU_DEP_2) | instskip(SKIP_1) | instid1(VALU_DEP_3)
	v_sub_nc_u32_e32 v15, 0x79, v31
	v_cmp_gt_u32_e64 s10, 0x7a, v31
	v_or_b32_e32 v25, 0x800000, v24
	s_delay_alu instid0(VALU_DEP_2) | instskip(SKIP_1) | instid1(VALU_DEP_1)
	v_cndmask_b32_e64 v15, 0, v15, s10
	v_cmp_eq_u32_e64 s10, 0, v31
	v_cndmask_b32_e64 v50, v15, 0x78, s10
	s_delay_alu instid0(VALU_DEP_4) | instskip(NEXT) | instid1(VALU_DEP_2)
	v_cndmask_b32_e64 v24, v25, v24, s10
	v_dual_mov_b32 v25, v97 :: v_dual_add_nc_u32 v14, 20, v50
	v_add_nc_u32_e32 v51, 19, v50
	s_delay_alu instid0(VALU_DEP_2) | instskip(NEXT) | instid1(VALU_DEP_2)
	v_lshlrev_b64_e64 v[14:15], v14, -1
	v_lshlrev_b64_e64 v[54:55], v51, 1
	s_delay_alu instid0(VALU_DEP_2) | instskip(NEXT) | instid1(VALU_DEP_3)
	v_bfi_b32 v67, v15, 0, 0
	v_bfi_b32 v66, v14, 0, v24
	v_lshrrev_b64 v[14:15], v50, v[24:25]
	s_delay_alu instid0(VALU_DEP_1) | instskip(NEXT) | instid1(VALU_DEP_3)
	v_mov_b64_e32 v[24:25], v[14:15]
	v_cmpx_eq_u64_e64 v[66:67], v[54:55]
; %bb.2505:                             ;   in Loop: Header=BB6_2117 Depth=2
	v_bfe_u32 v24, v14, 20, 1
	v_mov_b32_e32 v25, v97
	s_delay_alu instid0(VALU_DEP_1) | instskip(NEXT) | instid1(VALU_DEP_1)
	v_add_nc_u64_e32 v[24:25], v[14:15], v[24:25]
	v_add_nc_u64_e32 v[24:25], -1, v[24:25]
; %bb.2506:                             ;   in Loop: Header=BB6_2117 Depth=2
	s_or_b32 exec_lo, exec_lo, s42
	v_add_nc_u32_e32 v15, 0xffffff81, v31
	v_lshrrev_b32_e32 v25, 23, v14
	s_mov_b32 s11, exec_lo
	s_delay_alu instid0(VALU_DEP_2) | instskip(NEXT) | instid1(VALU_DEP_1)
	v_cndmask_b32_e64 v15, v15, 0xffffff82, s10
	v_add3_u32 v25, v50, v15, v25
	v_and_b32_e32 v15, 0xfffff, v24
                                        ; implicit-def: $vgpr24
	s_delay_alu instid0(VALU_DEP_1) | instskip(SKIP_1) | instid1(VALU_DEP_2)
	v_dual_add_nc_u32 v31, 6, v25 :: v_dual_add_nc_u32 v14, v15, v14
	v_mov_b32_e32 v15, v97
	v_cmpx_ne_u32_e32 0, v31
	s_xor_b32 s11, exec_lo, s11
; %bb.2507:                             ;   in Loop: Header=BB6_2117 Depth=2
	s_delay_alu instid0(VALU_DEP_2) | instskip(SKIP_1) | instid1(VALU_DEP_2)
	v_cmp_lt_u64_e64 s10, 0xffffff, v[14:15]
	v_add_nc_u32_e32 v24, 7, v25
	v_cndmask_b32_e64 v25, 0, 1, s10
	s_delay_alu instid0(VALU_DEP_2) | instskip(NEXT) | instid1(VALU_DEP_2)
	v_cndmask_b32_e64 v24, v31, v24, s10
	v_lshrrev_b64 v[14:15], v25, v[14:15]
; %bb.2508:                             ;   in Loop: Header=BB6_2117 Depth=2
	s_and_not1_saveexec_b32 s10, s11
; %bb.2509:                             ;   in Loop: Header=BB6_2117 Depth=2
	s_delay_alu instid0(VALU_DEP_1)
	v_bfe_u32 v24, v14, 23, 1
; %bb.2510:                             ;   in Loop: Header=BB6_2117 Depth=2
	s_or_b32 exec_lo, exec_lo, s10
	s_delay_alu instid0(VALU_DEP_2) | instskip(NEXT) | instid1(VALU_DEP_2)
	v_lshrrev_b64 v[14:15], 20, v[14:15]
	v_cmp_gt_i32_e64 s10, 16, v24
	v_min_i32_e32 v25, 15, v24
	v_cmp_eq_u32_e64 s11, 0, v24
	s_delay_alu instid0(VALU_DEP_2) | instskip(SKIP_1) | instid1(VALU_DEP_2)
	v_dual_cndmask_b32 v15, 0, v15, s10 :: v_dual_lshlrev_b32 v25, 3, v25
	v_cndmask_b32_e64 v14, 7, v14, s10
	v_and_b32_e32 v25, 0xf8, v25
	s_delay_alu instid0(VALU_DEP_2) | instskip(NEXT) | instid1(VALU_DEP_2)
	v_cmp_eq_u64_e64 s10, 0, v[14:15]
	v_and_or_b32 v14, v14, 7, v25
	s_and_b32 s10, s11, s10
	s_delay_alu instid0(VALU_DEP_1) | instid1(SALU_CYCLE_1)
	v_cndmask_b32_e64 v14, v14, 0, s10
	s_delay_alu instid0(VALU_DEP_1)
	v_or_b32_e32 v24, v14, v11
.LBB6_2511:                             ;   in Loop: Header=BB6_2117 Depth=2
	s_or_b32 exec_lo, exec_lo, s41
                                        ; implicit-def: $vgpr11
.LBB6_2512:                             ;   in Loop: Header=BB6_2117 Depth=2
	s_and_not1_saveexec_b32 s10, s40
; %bb.2513:                             ;   in Loop: Header=BB6_2117 Depth=2
	v_or_b32_e32 v24, 0x7e, v11
; %bb.2514:                             ;   in Loop: Header=BB6_2117 Depth=2
	s_or_b32 exec_lo, exec_lo, s10
                                        ; implicit-def: $vgpr11
.LBB6_2515:                             ;   in Loop: Header=BB6_2117 Depth=2
	s_and_not1_saveexec_b32 s10, s12
; %bb.2516:                             ;   in Loop: Header=BB6_2117 Depth=2
	v_or_b32_e32 v24, 0x7f, v11
; %bb.2517:                             ;   in Loop: Header=BB6_2117 Depth=2
	s_or_b32 exec_lo, exec_lo, s10
	v_lshrrev_b16 v14, 8, v96
	v_mov_b32_e32 v11, 0
	s_mov_b32 s11, exec_lo
	s_delay_alu instid0(VALU_DEP_2)
	v_cmpx_ne_u16_e32 0, v14
	s_cbranch_execz .LBB6_2525
; %bb.2518:                             ;   in Loop: Header=BB6_2117 Depth=2
	v_bfrev_b32_e32 v11, 1
	s_mov_b32 s12, exec_lo
	v_cmpx_ne_u16_e32 0x80, v14
	s_cbranch_execz .LBB6_2524
; %bb.2519:                             ;   in Loop: Header=BB6_2117 Depth=2
	v_and_b32_e32 v14, 0xffff, v14
	v_mov_b32_e32 v11, 0x7f800001
	s_mov_b32 s40, exec_lo
	s_delay_alu instid0(VALU_DEP_2) | instskip(NEXT) | instid1(VALU_DEP_1)
	v_and_b32_e32 v25, 0x7f, v14
	v_cmpx_ne_u32_e32 0x7f, v25
	s_cbranch_execz .LBB6_2523
; %bb.2520:                             ;   in Loop: Header=BB6_2117 Depth=2
	v_dual_mov_b32 v15, v97 :: v_dual_bitop2_b32 v14, 7, v14 bitop3:0x40
	v_lshrrev_b32_e32 v11, 3, v25
	s_mov_b32 s41, exec_lo
	v_cmpx_gt_u32_e32 8, v25
; %bb.2521:                             ;   in Loop: Header=BB6_2117 Depth=2
	s_delay_alu instid0(VALU_DEP_3) | instskip(NEXT) | instid1(VALU_DEP_1)
	v_clz_i32_u32_e32 v11, v14
	v_min_u32_e32 v11, 32, v11
	s_delay_alu instid0(VALU_DEP_1) | instskip(NEXT) | instid1(VALU_DEP_1)
	v_subrev_nc_u32_e32 v25, 28, v11
	v_lshlrev_b64_e32 v[14:15], v25, v[14:15]
	s_delay_alu instid0(VALU_DEP_1)
	v_dual_sub_nc_u32 v11, 29, v11 :: v_dual_bitop2_b32 v14, 7, v14 bitop3:0x40
; %bb.2522:                             ;   in Loop: Header=BB6_2117 Depth=2
	s_or_b32 exec_lo, exec_lo, s41
	s_delay_alu instid0(VALU_DEP_1) | instskip(NEXT) | instid1(VALU_DEP_2)
	v_dual_lshlrev_b32 v15, 16, v96 :: v_dual_lshlrev_b32 v14, 20, v14
	v_lshl_add_u32 v11, v11, 23, 0x3c000000
	s_delay_alu instid0(VALU_DEP_2) | instskip(NEXT) | instid1(VALU_DEP_1)
	v_and_b32_e32 v15, 0x80000000, v15
	v_or3_b32 v11, v14, v15, v11
.LBB6_2523:                             ;   in Loop: Header=BB6_2117 Depth=2
	s_or_b32 exec_lo, exec_lo, s40
.LBB6_2524:                             ;   in Loop: Header=BB6_2117 Depth=2
	s_delay_alu instid0(SALU_CYCLE_1)
	s_or_b32 exec_lo, exec_lo, s12
.LBB6_2525:                             ;   in Loop: Header=BB6_2117 Depth=2
	s_delay_alu instid0(SALU_CYCLE_1) | instskip(SKIP_3) | instid1(VALU_DEP_1)
	s_or_b32 exec_lo, exec_lo, s11
	v_lshrrev_b16 v14, 8, v10
	s_mov_b32 s12, 0
	s_mov_b32 s11, exec_lo
	v_cmpx_lt_i16_e32 0x7f, v14
	s_xor_b32 s11, exec_lo, s11
	s_cbranch_execz .LBB6_2532
; %bb.2526:                             ;   in Loop: Header=BB6_2117 Depth=2
	s_mov_b32 s12, -1
	s_mov_b32 s40, exec_lo
	v_cmpx_eq_u16_e32 0x80, v14
; %bb.2527:                             ;   in Loop: Header=BB6_2117 Depth=2
	s_xor_b32 s12, exec_lo, -1
; %bb.2528:                             ;   in Loop: Header=BB6_2117 Depth=2
	s_or_b32 exec_lo, exec_lo, s40
	s_delay_alu instid0(SALU_CYCLE_1)
	s_and_b32 s12, s12, exec_lo
	s_or_saveexec_b32 s11, s11
	v_bfrev_b32_e32 v15, 1
	s_xor_b32 exec_lo, exec_lo, s11
	s_cbranch_execnz .LBB6_2533
.LBB6_2529:                             ;   in Loop: Header=BB6_2117 Depth=2
	s_or_b32 exec_lo, exec_lo, s11
	s_and_saveexec_b32 s11, s12
	s_cbranch_execnz .LBB6_2534
	s_branch .LBB6_2537
.LBB6_2530:                             ;   in Loop: Header=BB6_2117 Depth=2
	s_or_saveexec_b32 s12, s12
	v_bfrev_b32_e32 v15, 1
	s_xor_b32 exec_lo, exec_lo, s12
	s_cbranch_execz .LBB6_2499
.LBB6_2531:                             ;   in Loop: Header=BB6_2117 Depth=2
	v_cmp_ne_u16_e64 s10, 0, v11
	v_mov_b32_e32 v15, 0
	s_and_not1_b32 s11, s11, exec_lo
	s_and_b32 s10, s10, exec_lo
	s_delay_alu instid0(SALU_CYCLE_1)
	s_or_b32 s11, s11, s10
	s_or_b32 exec_lo, exec_lo, s12
	v_mov_b32_e32 v11, v97
	s_and_saveexec_b32 s12, s11
	s_cbranch_execnz .LBB6_2500
	s_branch .LBB6_2501
.LBB6_2532:                             ;   in Loop: Header=BB6_2117 Depth=2
	s_or_saveexec_b32 s11, s11
	v_bfrev_b32_e32 v15, 1
	s_xor_b32 exec_lo, exec_lo, s11
	s_cbranch_execz .LBB6_2529
.LBB6_2533:                             ;   in Loop: Header=BB6_2117 Depth=2
	v_cmp_ne_u16_e64 s10, 0, v14
	v_mov_b32_e32 v15, 0
	s_and_not1_b32 s12, s12, exec_lo
	s_and_b32 s10, s10, exec_lo
	s_delay_alu instid0(SALU_CYCLE_1)
	s_or_b32 s12, s12, s10
	s_or_b32 exec_lo, exec_lo, s11
	s_and_saveexec_b32 s11, s12
	s_cbranch_execz .LBB6_2537
.LBB6_2534:                             ;   in Loop: Header=BB6_2117 Depth=2
	v_and_b32_e32 v10, 0xffff, v14
	v_mov_b32_e32 v15, 0x7f800001
	s_mov_b32 s12, exec_lo
	s_delay_alu instid0(VALU_DEP_2) | instskip(NEXT) | instid1(VALU_DEP_1)
	v_and_b32_e32 v25, 0x7f, v10
	v_cmpx_ne_u32_e32 0x7f, v25
	s_cbranch_execz .LBB6_2536
; %bb.2535:                             ;   in Loop: Header=BB6_2117 Depth=2
	v_and_b32_e32 v15, 7, v10
	v_cmp_gt_u32_e64 s10, 8, v25
	s_delay_alu instid0(VALU_DEP_2) | instskip(NEXT) | instid1(VALU_DEP_1)
	v_clz_i32_u32_e32 v31, v15
	v_min_u32_e32 v31, 32, v31
	s_delay_alu instid0(VALU_DEP_1) | instskip(NEXT) | instid1(VALU_DEP_1)
	v_subrev_nc_u32_e32 v50, 28, v31
	v_lshlrev_b64_e32 v[50:51], v50, v[10:11]
	v_dual_lshrrev_b32 v10, 3, v25 :: v_dual_sub_nc_u32 v31, 29, v31
	s_delay_alu instid0(VALU_DEP_2) | instskip(NEXT) | instid1(VALU_DEP_2)
	v_and_b32_e32 v25, 7, v50
	v_dual_lshlrev_b32 v14, 24, v14 :: v_dual_cndmask_b32 v10, v10, v31, s10
	s_delay_alu instid0(VALU_DEP_2) | instskip(NEXT) | instid1(VALU_DEP_2)
	v_cndmask_b32_e64 v15, v15, v25, s10
	v_and_b32_e32 v14, 0x80000000, v14
	s_delay_alu instid0(VALU_DEP_3) | instskip(NEXT) | instid1(VALU_DEP_3)
	v_lshl_add_u32 v10, v10, 23, 0x3c000000
	v_lshlrev_b32_e32 v15, 20, v15
	s_delay_alu instid0(VALU_DEP_1)
	v_or3_b32 v15, v15, v14, v10
.LBB6_2536:                             ;   in Loop: Header=BB6_2117 Depth=2
	s_or_b32 exec_lo, exec_lo, s12
.LBB6_2537:                             ;   in Loop: Header=BB6_2117 Depth=2
	s_delay_alu instid0(SALU_CYCLE_1) | instskip(NEXT) | instid1(VALU_DEP_1)
	s_or_b32 exec_lo, exec_lo, s11
	v_mul_f32_e32 v10, v11, v15
                                        ; implicit-def: $vgpr25
	s_mov_b32 s11, exec_lo
	s_delay_alu instid0(VALU_DEP_1) | instskip(SKIP_1) | instid1(VALU_DEP_2)
	v_and_b32_e32 v96, 0x7f800000, v10
	v_lshrrev_b32_e32 v11, 24, v10
	v_cmpx_ne_u64_e32 0x7f800000, v[96:97]
	s_xor_b32 s12, exec_lo, s11
	s_cbranch_execz .LBB6_2551
; %bb.2538:                             ;   in Loop: Header=BB6_2117 Depth=2
	v_and_b32_e32 v96, 0x7fffffff, v10
	v_and_b32_e32 v31, 0x80, v11
                                        ; implicit-def: $vgpr25
	s_mov_b32 s11, exec_lo
	s_delay_alu instid0(VALU_DEP_2)
	v_cmpx_gt_u64_e32 0x43e00001, v[96:97]
	s_xor_b32 s40, exec_lo, s11
	s_cbranch_execz .LBB6_2548
; %bb.2539:                             ;   in Loop: Header=BB6_2117 Depth=2
	v_mov_b32_e32 v25, 0
	s_mov_b32 s41, exec_lo
	v_cmpx_ne_u32_e32 0, v10
	s_cbranch_execz .LBB6_2547
; %bb.2540:                             ;   in Loop: Header=BB6_2117 Depth=2
	v_bfe_u32 v25, v10, 23, 8
	v_and_b32_e32 v14, 0x7fffff, v10
	s_delay_alu instid0(VALU_DEP_2) | instskip(SKIP_1) | instid1(VALU_DEP_3)
	v_sub_nc_u32_e32 v11, 0x79, v25
	v_cmp_gt_u32_e64 s10, 0x7a, v25
	v_or_b32_e32 v15, 0x800000, v14
	s_delay_alu instid0(VALU_DEP_2) | instskip(SKIP_1) | instid1(VALU_DEP_1)
	v_cndmask_b32_e64 v11, 0, v11, s10
	v_cmp_eq_u32_e64 s10, 0, v25
	v_cndmask_b32_e64 v50, v11, 0x78, s10
	s_delay_alu instid0(VALU_DEP_4) | instskip(NEXT) | instid1(VALU_DEP_2)
	v_cndmask_b32_e64 v96, v15, v14, s10
	v_dual_add_nc_u32 v10, 20, v50 :: v_dual_add_nc_u32 v51, 19, v50
	s_delay_alu instid0(VALU_DEP_1) | instskip(NEXT) | instid1(VALU_DEP_2)
	v_lshlrev_b64_e64 v[10:11], v10, -1
	v_lshlrev_b64_e64 v[14:15], v51, 1
	s_delay_alu instid0(VALU_DEP_2) | instskip(NEXT) | instid1(VALU_DEP_3)
	v_bfi_b32 v55, v11, 0, 0
	v_bfi_b32 v54, v10, 0, v96
	v_lshrrev_b64 v[10:11], v50, v[96:97]
	s_delay_alu instid0(VALU_DEP_2) | instskip(NEXT) | instid1(VALU_DEP_2)
	v_cmp_eq_u64_e64 s11, v[54:55], v[14:15]
	v_mov_b64_e32 v[14:15], v[10:11]
	s_and_saveexec_b32 s42, s11
; %bb.2541:                             ;   in Loop: Header=BB6_2117 Depth=2
	v_bfe_u32 v96, v10, 20, 1
	s_delay_alu instid0(VALU_DEP_1) | instskip(NEXT) | instid1(VALU_DEP_1)
	v_add_nc_u64_e32 v[14:15], v[10:11], v[96:97]
	v_add_nc_u64_e32 v[14:15], -1, v[14:15]
; %bb.2542:                             ;   in Loop: Header=BB6_2117 Depth=2
	s_or_b32 exec_lo, exec_lo, s42
	v_add_nc_u32_e32 v11, 0xffffff81, v25
	v_lshrrev_b32_e32 v15, 23, v10
	s_mov_b32 s11, exec_lo
	s_delay_alu instid0(VALU_DEP_2) | instskip(NEXT) | instid1(VALU_DEP_1)
	v_cndmask_b32_e64 v11, v11, 0xffffff82, s10
	v_add3_u32 v15, v50, v11, v15
	v_and_b32_e32 v11, 0xfffff, v14
                                        ; implicit-def: $vgpr14
	s_delay_alu instid0(VALU_DEP_1) | instskip(NEXT) | instid1(VALU_DEP_1)
	v_dual_add_nc_u32 v25, 6, v15 :: v_dual_add_nc_u32 v96, v11, v10
                                        ; implicit-def: $vgpr10_vgpr11
	v_cmpx_ne_u32_e32 0, v25
	s_xor_b32 s11, exec_lo, s11
; %bb.2543:                             ;   in Loop: Header=BB6_2117 Depth=2
	s_delay_alu instid0(VALU_DEP_2) | instskip(SKIP_1) | instid1(VALU_DEP_1)
	v_cmp_lt_u64_e64 s10, 0xffffff, v[96:97]
	v_add_nc_u32_e32 v10, 7, v15
	v_cndmask_b32_e64 v14, v25, v10, s10
	v_cndmask_b32_e64 v10, 0, 1, s10
	s_delay_alu instid0(VALU_DEP_1)
	v_lshrrev_b64 v[10:11], v10, v[96:97]
; %bb.2544:                             ;   in Loop: Header=BB6_2117 Depth=2
	s_and_not1_saveexec_b32 s10, s11
; %bb.2545:                             ;   in Loop: Header=BB6_2117 Depth=2
	v_mov_b64_e32 v[10:11], v[96:97]
	v_bfe_u32 v14, v96, 23, 1
; %bb.2546:                             ;   in Loop: Header=BB6_2117 Depth=2
	s_or_b32 exec_lo, exec_lo, s10
	s_delay_alu instid0(VALU_DEP_2) | instskip(NEXT) | instid1(VALU_DEP_2)
	v_lshrrev_b64 v[10:11], 20, v[10:11]
	v_cmp_gt_i32_e64 s10, 16, v14
	v_min_i32_e32 v15, 15, v14
	v_cmp_eq_u32_e64 s11, 0, v14
	s_delay_alu instid0(VALU_DEP_3) | instskip(NEXT) | instid1(VALU_DEP_3)
	v_cndmask_b32_e64 v11, 0, v11, s10
	v_dual_lshlrev_b32 v15, 3, v15 :: v_dual_cndmask_b32 v10, 7, v10, s10
	s_delay_alu instid0(VALU_DEP_1) | instskip(NEXT) | instid1(VALU_DEP_2)
	v_and_b32_e32 v15, 0xf8, v15
	v_cmp_eq_u64_e64 s10, 0, v[10:11]
	s_delay_alu instid0(VALU_DEP_2)
	v_and_or_b32 v10, v10, 7, v15
	s_and_b32 s10, s11, s10
	s_delay_alu instid0(VALU_DEP_1) | instid1(SALU_CYCLE_1)
	v_cndmask_b32_e64 v10, v10, 0, s10
	s_delay_alu instid0(VALU_DEP_1)
	v_or_b32_e32 v25, v10, v31
.LBB6_2547:                             ;   in Loop: Header=BB6_2117 Depth=2
	s_or_b32 exec_lo, exec_lo, s41
                                        ; implicit-def: $vgpr31
.LBB6_2548:                             ;   in Loop: Header=BB6_2117 Depth=2
	s_and_not1_saveexec_b32 s10, s40
; %bb.2549:                             ;   in Loop: Header=BB6_2117 Depth=2
	v_or_b32_e32 v25, 0x7e, v31
; %bb.2550:                             ;   in Loop: Header=BB6_2117 Depth=2
	s_or_b32 exec_lo, exec_lo, s10
                                        ; implicit-def: $vgpr11
.LBB6_2551:                             ;   in Loop: Header=BB6_2117 Depth=2
	s_and_not1_saveexec_b32 s10, s12
; %bb.2552:                             ;   in Loop: Header=BB6_2117 Depth=2
	v_or_b32_e32 v25, 0x7f, v11
; %bb.2553:                             ;   in Loop: Header=BB6_2117 Depth=2
	s_or_b32 exec_lo, exec_lo, s10
	v_dual_mov_b32 v11, 0 :: v_dual_lshrrev_b32 v10, 16, v17
	s_mov_b32 s11, exec_lo
	s_delay_alu instid0(VALU_DEP_1) | instskip(NEXT) | instid1(VALU_DEP_1)
	v_and_b32_e32 v14, 0xff, v10
	v_cmpx_ne_u16_e32 0, v14
	s_cbranch_execz .LBB6_2561
; %bb.2554:                             ;   in Loop: Header=BB6_2117 Depth=2
	v_bfrev_b32_e32 v11, 1
	s_mov_b32 s12, exec_lo
	v_cmpx_ne_u16_e32 0x80, v14
	s_cbranch_execz .LBB6_2560
; %bb.2555:                             ;   in Loop: Header=BB6_2117 Depth=2
	v_bfe_u32 v14, v17, 16, 7
	v_mov_b32_e32 v11, 0x7f800001
	s_mov_b32 s40, exec_lo
	s_delay_alu instid0(VALU_DEP_2)
	v_cmpx_ne_u32_e32 0x7f, v14
	s_cbranch_execz .LBB6_2559
; %bb.2556:                             ;   in Loop: Header=BB6_2117 Depth=2
	v_and_b32_e32 v96, 7, v10
	v_lshrrev_b32_e32 v11, 3, v14
	s_mov_b32 s41, exec_lo
	v_cmpx_gt_u32_e32 8, v14
; %bb.2557:                             ;   in Loop: Header=BB6_2117 Depth=2
	s_delay_alu instid0(VALU_DEP_3) | instskip(NEXT) | instid1(VALU_DEP_1)
	v_clz_i32_u32_e32 v11, v96
	v_min_u32_e32 v11, 32, v11
	s_delay_alu instid0(VALU_DEP_1) | instskip(NEXT) | instid1(VALU_DEP_1)
	v_subrev_nc_u32_e32 v14, 28, v11
	v_lshlrev_b64_e32 v[14:15], v14, v[96:97]
	s_delay_alu instid0(VALU_DEP_1)
	v_dual_sub_nc_u32 v11, 29, v11 :: v_dual_bitop2_b32 v96, 7, v14 bitop3:0x40
; %bb.2558:                             ;   in Loop: Header=BB6_2117 Depth=2
	s_or_b32 exec_lo, exec_lo, s41
	s_delay_alu instid0(VALU_DEP_1) | instskip(NEXT) | instid1(VALU_DEP_2)
	v_dual_lshlrev_b32 v10, 24, v10 :: v_dual_lshlrev_b32 v14, 20, v96
	v_lshl_add_u32 v11, v11, 23, 0x3c000000
	s_delay_alu instid0(VALU_DEP_2) | instskip(NEXT) | instid1(VALU_DEP_1)
	v_and_b32_e32 v10, 0x80000000, v10
	v_or3_b32 v11, v14, v10, v11
.LBB6_2559:                             ;   in Loop: Header=BB6_2117 Depth=2
	s_or_b32 exec_lo, exec_lo, s40
.LBB6_2560:                             ;   in Loop: Header=BB6_2117 Depth=2
	s_delay_alu instid0(SALU_CYCLE_1)
	s_or_b32 exec_lo, exec_lo, s12
.LBB6_2561:                             ;   in Loop: Header=BB6_2117 Depth=2
	s_delay_alu instid0(SALU_CYCLE_1) | instskip(SKIP_3) | instid1(VALU_DEP_1)
	s_or_b32 exec_lo, exec_lo, s11
	v_lshrrev_b32_e32 v10, 16, v13
	s_mov_b32 s12, 0
	s_mov_b32 s11, exec_lo
	v_and_b32_e32 v15, 0xff, v10
	s_delay_alu instid0(VALU_DEP_1)
	v_cmpx_lt_i16_e32 0x7f, v15
	s_xor_b32 s11, exec_lo, s11
	s_cbranch_execz .LBB6_2566
; %bb.2562:                             ;   in Loop: Header=BB6_2117 Depth=2
	s_mov_b32 s12, -1
	s_mov_b32 s40, exec_lo
	v_cmpx_eq_u16_e32 0x80, v15
; %bb.2563:                             ;   in Loop: Header=BB6_2117 Depth=2
	s_xor_b32 s12, exec_lo, -1
; %bb.2564:                             ;   in Loop: Header=BB6_2117 Depth=2
	s_or_b32 exec_lo, exec_lo, s40
	s_delay_alu instid0(SALU_CYCLE_1)
	s_and_b32 s12, s12, exec_lo
                                        ; implicit-def: $vgpr15
	s_or_saveexec_b32 s11, s11
	v_bfrev_b32_e32 v14, 1
	s_xor_b32 exec_lo, exec_lo, s11
	s_cbranch_execnz .LBB6_2567
.LBB6_2565:                             ;   in Loop: Header=BB6_2117 Depth=2
	s_or_b32 exec_lo, exec_lo, s11
	s_and_saveexec_b32 s11, s12
	s_cbranch_execnz .LBB6_2568
	s_branch .LBB6_2571
.LBB6_2566:                             ;   in Loop: Header=BB6_2117 Depth=2
	s_or_saveexec_b32 s11, s11
	v_bfrev_b32_e32 v14, 1
	s_xor_b32 exec_lo, exec_lo, s11
	s_cbranch_execz .LBB6_2565
.LBB6_2567:                             ;   in Loop: Header=BB6_2117 Depth=2
	v_cmp_ne_u16_e64 s10, 0, v15
	v_mov_b32_e32 v14, 0
	s_and_not1_b32 s12, s12, exec_lo
	s_and_b32 s10, s10, exec_lo
	s_delay_alu instid0(SALU_CYCLE_1)
	s_or_b32 s12, s12, s10
	s_or_b32 exec_lo, exec_lo, s11
	s_and_saveexec_b32 s11, s12
	s_cbranch_execz .LBB6_2571
.LBB6_2568:                             ;   in Loop: Header=BB6_2117 Depth=2
	v_and_b32_e32 v15, 0x7f, v10
	v_mov_b32_e32 v14, 0x7f800001
	s_mov_b32 s12, exec_lo
	s_delay_alu instid0(VALU_DEP_2)
	v_cmpx_ne_u32_e32 0x7f, v15
	s_cbranch_execz .LBB6_2570
; %bb.2569:                             ;   in Loop: Header=BB6_2117 Depth=2
	v_and_b32_e32 v14, 7, v10
	v_cmp_gt_u32_e64 s10, 8, v15
	s_delay_alu instid0(VALU_DEP_2) | instskip(NEXT) | instid1(VALU_DEP_1)
	v_clz_i32_u32_e32 v31, v14
	v_min_u32_e32 v31, 32, v31
	s_delay_alu instid0(VALU_DEP_1) | instskip(NEXT) | instid1(VALU_DEP_1)
	v_subrev_nc_u32_e32 v50, 28, v31
	v_lshlrev_b64_e32 v[50:51], v50, v[10:11]
	v_lshrrev_b32_e32 v51, 3, v15
	s_delay_alu instid0(VALU_DEP_2) | instskip(NEXT) | instid1(VALU_DEP_1)
	v_dual_sub_nc_u32 v31, 29, v31 :: v_dual_bitop2_b32 v15, 7, v50 bitop3:0x40
	v_dual_lshlrev_b32 v10, 24, v10 :: v_dual_cndmask_b32 v31, v51, v31, s10
	s_delay_alu instid0(VALU_DEP_2) | instskip(NEXT) | instid1(VALU_DEP_2)
	v_cndmask_b32_e64 v14, v14, v15, s10
	v_and_b32_e32 v10, 0x80000000, v10
	s_delay_alu instid0(VALU_DEP_3) | instskip(NEXT) | instid1(VALU_DEP_3)
	v_lshl_add_u32 v15, v31, 23, 0x3c000000
	v_lshlrev_b32_e32 v14, 20, v14
	s_delay_alu instid0(VALU_DEP_1)
	v_or3_b32 v14, v14, v10, v15
.LBB6_2570:                             ;   in Loop: Header=BB6_2117 Depth=2
	s_or_b32 exec_lo, exec_lo, s12
.LBB6_2571:                             ;   in Loop: Header=BB6_2117 Depth=2
	s_delay_alu instid0(SALU_CYCLE_1) | instskip(NEXT) | instid1(VALU_DEP_1)
	s_or_b32 exec_lo, exec_lo, s11
	v_mul_f32_e32 v10, v11, v14
                                        ; implicit-def: $vgpr14
	s_mov_b32 s11, exec_lo
	s_delay_alu instid0(VALU_DEP_1) | instskip(SKIP_1) | instid1(VALU_DEP_2)
	v_and_b32_e32 v96, 0x7f800000, v10
	v_lshrrev_b32_e32 v11, 24, v10
	v_cmpx_ne_u64_e32 0x7f800000, v[96:97]
	s_xor_b32 s12, exec_lo, s11
	s_cbranch_execz .LBB6_2585
; %bb.2572:                             ;   in Loop: Header=BB6_2117 Depth=2
	v_and_b32_e32 v96, 0x7fffffff, v10
	v_and_b32_e32 v31, 0x80, v11
                                        ; implicit-def: $vgpr14
	s_mov_b32 s11, exec_lo
	s_delay_alu instid0(VALU_DEP_2)
	v_cmpx_gt_u64_e32 0x43e00001, v[96:97]
	s_xor_b32 s40, exec_lo, s11
	s_cbranch_execz .LBB6_2582
; %bb.2573:                             ;   in Loop: Header=BB6_2117 Depth=2
	v_mov_b32_e32 v14, 0
	s_mov_b32 s41, exec_lo
	v_cmpx_ne_u32_e32 0, v10
	s_cbranch_execz .LBB6_2581
; %bb.2574:                             ;   in Loop: Header=BB6_2117 Depth=2
	v_bfe_u32 v50, v10, 23, 8
	v_and_b32_e32 v14, 0x7fffff, v10
	s_delay_alu instid0(VALU_DEP_2) | instskip(SKIP_1) | instid1(VALU_DEP_3)
	v_sub_nc_u32_e32 v11, 0x79, v50
	v_cmp_gt_u32_e64 s10, 0x7a, v50
	v_or_b32_e32 v15, 0x800000, v14
	s_delay_alu instid0(VALU_DEP_2) | instskip(SKIP_1) | instid1(VALU_DEP_1)
	v_cndmask_b32_e64 v11, 0, v11, s10
	v_cmp_eq_u32_e64 s10, 0, v50
	v_cndmask_b32_e64 v96, v15, v14, s10
	s_delay_alu instid0(VALU_DEP_3) | instskip(NEXT) | instid1(VALU_DEP_1)
	v_cndmask_b32_e64 v51, v11, 0x78, s10
	v_dual_add_nc_u32 v10, 20, v51 :: v_dual_add_nc_u32 v54, 19, v51
	s_delay_alu instid0(VALU_DEP_1) | instskip(NEXT) | instid1(VALU_DEP_2)
	v_lshlrev_b64_e64 v[10:11], v10, -1
	v_lshlrev_b64_e64 v[14:15], v54, 1
	s_delay_alu instid0(VALU_DEP_2) | instskip(NEXT) | instid1(VALU_DEP_3)
	v_bfi_b32 v55, v11, 0, 0
	v_bfi_b32 v54, v10, 0, v96
	v_lshrrev_b64 v[10:11], v51, v[96:97]
	s_delay_alu instid0(VALU_DEP_2) | instskip(NEXT) | instid1(VALU_DEP_2)
	v_cmp_eq_u64_e64 s11, v[54:55], v[14:15]
	v_mov_b64_e32 v[14:15], v[10:11]
	s_and_saveexec_b32 s42, s11
; %bb.2575:                             ;   in Loop: Header=BB6_2117 Depth=2
	v_bfe_u32 v96, v10, 20, 1
	s_delay_alu instid0(VALU_DEP_1) | instskip(NEXT) | instid1(VALU_DEP_1)
	v_add_nc_u64_e32 v[14:15], v[10:11], v[96:97]
	v_add_nc_u64_e32 v[14:15], -1, v[14:15]
; %bb.2576:                             ;   in Loop: Header=BB6_2117 Depth=2
	s_or_b32 exec_lo, exec_lo, s42
	v_add_nc_u32_e32 v11, 0xffffff81, v50
	v_lshrrev_b32_e32 v15, 23, v10
	s_mov_b32 s11, exec_lo
	s_delay_alu instid0(VALU_DEP_2) | instskip(NEXT) | instid1(VALU_DEP_1)
	v_cndmask_b32_e64 v11, v11, 0xffffff82, s10
	v_add3_u32 v15, v51, v11, v15
	v_and_b32_e32 v11, 0xfffff, v14
                                        ; implicit-def: $vgpr14
	s_delay_alu instid0(VALU_DEP_1) | instskip(NEXT) | instid1(VALU_DEP_1)
	v_dual_add_nc_u32 v50, 6, v15 :: v_dual_add_nc_u32 v96, v11, v10
                                        ; implicit-def: $vgpr10_vgpr11
	v_cmpx_ne_u32_e32 0, v50
	s_xor_b32 s11, exec_lo, s11
; %bb.2577:                             ;   in Loop: Header=BB6_2117 Depth=2
	s_delay_alu instid0(VALU_DEP_2) | instskip(SKIP_1) | instid1(VALU_DEP_1)
	v_cmp_lt_u64_e64 s10, 0xffffff, v[96:97]
	v_add_nc_u32_e32 v10, 7, v15
	v_cndmask_b32_e64 v14, v50, v10, s10
	v_cndmask_b32_e64 v10, 0, 1, s10
	s_delay_alu instid0(VALU_DEP_1)
	v_lshrrev_b64 v[10:11], v10, v[96:97]
; %bb.2578:                             ;   in Loop: Header=BB6_2117 Depth=2
	s_and_not1_saveexec_b32 s10, s11
; %bb.2579:                             ;   in Loop: Header=BB6_2117 Depth=2
	v_mov_b64_e32 v[10:11], v[96:97]
	v_bfe_u32 v14, v96, 23, 1
; %bb.2580:                             ;   in Loop: Header=BB6_2117 Depth=2
	s_or_b32 exec_lo, exec_lo, s10
	s_delay_alu instid0(VALU_DEP_2) | instskip(NEXT) | instid1(VALU_DEP_2)
	v_lshrrev_b64 v[10:11], 20, v[10:11]
	v_cmp_gt_i32_e64 s10, 16, v14
	v_min_i32_e32 v15, 15, v14
	v_cmp_eq_u32_e64 s11, 0, v14
	s_delay_alu instid0(VALU_DEP_3) | instskip(NEXT) | instid1(VALU_DEP_3)
	v_cndmask_b32_e64 v11, 0, v11, s10
	v_dual_lshlrev_b32 v15, 3, v15 :: v_dual_cndmask_b32 v10, 7, v10, s10
	s_delay_alu instid0(VALU_DEP_1) | instskip(NEXT) | instid1(VALU_DEP_2)
	v_and_b32_e32 v15, 0xf8, v15
	v_cmp_eq_u64_e64 s10, 0, v[10:11]
	s_delay_alu instid0(VALU_DEP_2)
	v_and_or_b32 v10, v10, 7, v15
	s_and_b32 s10, s11, s10
	s_delay_alu instid0(VALU_DEP_1) | instid1(SALU_CYCLE_1)
	v_cndmask_b32_e64 v10, v10, 0, s10
	s_delay_alu instid0(VALU_DEP_1)
	v_or_b32_e32 v14, v10, v31
.LBB6_2581:                             ;   in Loop: Header=BB6_2117 Depth=2
	s_or_b32 exec_lo, exec_lo, s41
                                        ; implicit-def: $vgpr31
.LBB6_2582:                             ;   in Loop: Header=BB6_2117 Depth=2
	s_and_not1_saveexec_b32 s10, s40
; %bb.2583:                             ;   in Loop: Header=BB6_2117 Depth=2
	v_or_b32_e32 v14, 0x7e, v31
; %bb.2584:                             ;   in Loop: Header=BB6_2117 Depth=2
	s_or_b32 exec_lo, exec_lo, s10
                                        ; implicit-def: $vgpr11
.LBB6_2585:                             ;   in Loop: Header=BB6_2117 Depth=2
	s_and_not1_saveexec_b32 s10, s12
; %bb.2586:                             ;   in Loop: Header=BB6_2117 Depth=2
	v_or_b32_e32 v14, 0x7f, v11
; %bb.2587:                             ;   in Loop: Header=BB6_2117 Depth=2
	s_or_b32 exec_lo, exec_lo, s10
	v_mov_b32_e32 v11, 0
	s_mov_b32 s11, exec_lo
	v_cmpx_lt_u64_e64 s[14:15], v[16:17]
	s_cbranch_execz .LBB6_2595
; %bb.2588:                             ;   in Loop: Header=BB6_2117 Depth=2
	v_lshrrev_b32_e32 v10, 24, v17
	v_bfrev_b32_e32 v11, 1
	s_mov_b32 s12, exec_lo
	s_delay_alu instid0(VALU_DEP_2)
	v_cmpx_ne_u32_e32 0x80, v10
	s_cbranch_execz .LBB6_2594
; %bb.2589:                             ;   in Loop: Header=BB6_2117 Depth=2
	v_bfe_u32 v15, v17, 24, 7
	v_mov_b32_e32 v11, 0x7f800001
	s_mov_b32 s40, exec_lo
	s_delay_alu instid0(VALU_DEP_2)
	v_cmpx_ne_u32_e32 0x7f, v15
	s_cbranch_execz .LBB6_2593
; %bb.2590:                             ;   in Loop: Header=BB6_2117 Depth=2
	v_dual_lshrrev_b32 v11, 3, v15 :: v_dual_bitop2_b32 v96, 7, v10 bitop3:0x40
	s_mov_b32 s41, exec_lo
	v_cmpx_gt_u32_e32 8, v15
; %bb.2591:                             ;   in Loop: Header=BB6_2117 Depth=2
	s_delay_alu instid0(VALU_DEP_2) | instskip(NEXT) | instid1(VALU_DEP_1)
	v_clz_i32_u32_e32 v11, v96
	v_min_u32_e32 v11, 32, v11
	s_delay_alu instid0(VALU_DEP_1) | instskip(NEXT) | instid1(VALU_DEP_1)
	v_subrev_nc_u32_e32 v15, 28, v11
	v_lshlrev_b64_e32 v[16:17], v15, v[96:97]
	s_delay_alu instid0(VALU_DEP_1)
	v_dual_sub_nc_u32 v11, 29, v11 :: v_dual_bitop2_b32 v96, 7, v16 bitop3:0x40
; %bb.2592:                             ;   in Loop: Header=BB6_2117 Depth=2
	s_or_b32 exec_lo, exec_lo, s41
	s_delay_alu instid0(VALU_DEP_1) | instskip(NEXT) | instid1(VALU_DEP_2)
	v_dual_lshlrev_b32 v10, 24, v10 :: v_dual_lshlrev_b32 v15, 20, v96
	v_lshl_add_u32 v11, v11, 23, 0x3c000000
	s_delay_alu instid0(VALU_DEP_2) | instskip(NEXT) | instid1(VALU_DEP_1)
	v_and_b32_e32 v10, 0x80000000, v10
	v_or3_b32 v11, v15, v10, v11
.LBB6_2593:                             ;   in Loop: Header=BB6_2117 Depth=2
	s_or_b32 exec_lo, exec_lo, s40
.LBB6_2594:                             ;   in Loop: Header=BB6_2117 Depth=2
	s_delay_alu instid0(SALU_CYCLE_1)
	s_or_b32 exec_lo, exec_lo, s12
.LBB6_2595:                             ;   in Loop: Header=BB6_2117 Depth=2
	s_delay_alu instid0(SALU_CYCLE_1) | instskip(SKIP_3) | instid1(VALU_DEP_3)
	s_or_b32 exec_lo, exec_lo, s11
	v_lshrrev_b32_e32 v10, 24, v13
	v_bfe_u32 v15, v13, 24, 7
	v_cmp_gt_u64_e64 s12, s[16:17], v[12:13]
	v_cmp_eq_u32_e64 s11, 0x80, v10
	s_delay_alu instid0(VALU_DEP_3) | instskip(NEXT) | instid1(VALU_DEP_2)
	v_cmp_eq_u32_e64 s10, 0x7f, v15
	v_cndmask_b32_e64 v16, 0x7f800001, v77, s11
	s_or_b32 s10, s11, s10
	s_delay_alu instid0(SALU_CYCLE_1) | instskip(NEXT) | instid1(VALU_DEP_1)
	s_nor_b32 s10, s12, s10
	v_cndmask_b32_e64 v12, v16, 0, s12
	s_and_saveexec_b32 s11, s10
	s_cbranch_execz .LBB6_2597
; %bb.2596:                             ;   in Loop: Header=BB6_2117 Depth=2
	v_and_b32_e32 v16, 7, v10
	v_cmp_gt_u32_e64 s10, 8, v15
	s_delay_alu instid0(VALU_DEP_2) | instskip(NEXT) | instid1(VALU_DEP_1)
	v_clz_i32_u32_e32 v12, v16
	v_min_u32_e32 v17, 32, v12
	s_delay_alu instid0(VALU_DEP_1) | instskip(NEXT) | instid1(VALU_DEP_1)
	v_subrev_nc_u32_e32 v12, 28, v17
	v_lshlrev_b64_e32 v[12:13], v12, v[10:11]
	v_dual_lshrrev_b32 v13, 3, v15 :: v_dual_sub_nc_u32 v17, 29, v17
	s_delay_alu instid0(VALU_DEP_2) | instskip(NEXT) | instid1(VALU_DEP_1)
	v_dual_lshlrev_b32 v10, 24, v10 :: v_dual_bitop2_b32 v12, 7, v12 bitop3:0x40
	v_dual_cndmask_b32 v13, v13, v17, s10 :: v_dual_cndmask_b32 v12, v16, v12, s10
	s_delay_alu instid0(VALU_DEP_2) | instskip(NEXT) | instid1(VALU_DEP_2)
	v_and_b32_e32 v10, 0x80000000, v10
	v_lshl_add_u32 v13, v13, 23, 0x3c000000
	s_delay_alu instid0(VALU_DEP_3) | instskip(NEXT) | instid1(VALU_DEP_1)
	v_lshlrev_b32_e32 v12, 20, v12
	v_or3_b32 v12, v12, v10, v13
.LBB6_2597:                             ;   in Loop: Header=BB6_2117 Depth=2
	s_or_b32 exec_lo, exec_lo, s11
	s_delay_alu instid0(VALU_DEP_1) | instskip(SKIP_1) | instid1(VALU_DEP_1)
	v_mul_f32_e32 v11, v11, v12
                                        ; implicit-def: $vgpr10
	s_mov_b32 s11, exec_lo
	v_and_b32_e32 v96, 0x7f800000, v11
	v_lshrrev_b32_e32 v12, 24, v11
	s_delay_alu instid0(VALU_DEP_2)
	v_cmpx_ne_u64_e32 0x7f800000, v[96:97]
	s_xor_b32 s12, exec_lo, s11
	s_cbranch_execz .LBB6_2611
; %bb.2598:                             ;   in Loop: Header=BB6_2117 Depth=2
	v_and_b32_e32 v96, 0x7fffffff, v11
	v_and_b32_e32 v15, 0x80, v12
                                        ; implicit-def: $vgpr10
	s_mov_b32 s11, exec_lo
	s_delay_alu instid0(VALU_DEP_2)
	v_cmpx_gt_u64_e32 0x43e00001, v[96:97]
	s_xor_b32 s40, exec_lo, s11
	s_cbranch_execz .LBB6_2608
; %bb.2599:                             ;   in Loop: Header=BB6_2117 Depth=2
	v_mov_b32_e32 v10, 0
	s_mov_b32 s41, exec_lo
	v_cmpx_ne_u32_e32 0, v11
	s_cbranch_execz .LBB6_2607
; %bb.2600:                             ;   in Loop: Header=BB6_2117 Depth=2
	v_bfe_u32 v16, v11, 23, 8
	v_and_b32_e32 v12, 0x7fffff, v11
	s_delay_alu instid0(VALU_DEP_2) | instskip(SKIP_1) | instid1(VALU_DEP_3)
	v_sub_nc_u32_e32 v10, 0x79, v16
	v_cmp_gt_u32_e64 s10, 0x7a, v16
	v_or_b32_e32 v13, 0x800000, v12
	s_delay_alu instid0(VALU_DEP_2) | instskip(SKIP_1) | instid1(VALU_DEP_1)
	v_cndmask_b32_e64 v10, 0, v10, s10
	v_cmp_eq_u32_e64 s10, 0, v16
	v_cndmask_b32_e64 v17, v10, 0x78, s10
	s_delay_alu instid0(VALU_DEP_1) | instskip(SKIP_1) | instid1(VALU_DEP_2)
	v_dual_cndmask_b32 v96, v13, v12, s10 :: v_dual_add_nc_u32 v10, 20, v17
	v_add_nc_u32_e32 v31, 19, v17
	v_lshlrev_b64_e64 v[10:11], v10, -1
	s_delay_alu instid0(VALU_DEP_2) | instskip(NEXT) | instid1(VALU_DEP_2)
	v_lshlrev_b64_e64 v[12:13], v31, 1
	v_bfi_b32 v51, v11, 0, 0
	s_delay_alu instid0(VALU_DEP_3) | instskip(SKIP_1) | instid1(VALU_DEP_2)
	v_bfi_b32 v50, v10, 0, v96
	v_lshrrev_b64 v[10:11], v17, v[96:97]
	v_cmp_eq_u64_e64 s11, v[50:51], v[12:13]
	s_delay_alu instid0(VALU_DEP_2)
	v_mov_b64_e32 v[12:13], v[10:11]
	s_and_saveexec_b32 s42, s11
; %bb.2601:                             ;   in Loop: Header=BB6_2117 Depth=2
	v_bfe_u32 v96, v10, 20, 1
	s_delay_alu instid0(VALU_DEP_1) | instskip(NEXT) | instid1(VALU_DEP_1)
	v_add_nc_u64_e32 v[12:13], v[10:11], v[96:97]
	v_add_nc_u64_e32 v[12:13], -1, v[12:13]
; %bb.2602:                             ;   in Loop: Header=BB6_2117 Depth=2
	s_or_b32 exec_lo, exec_lo, s42
	v_add_nc_u32_e32 v11, 0xffffff81, v16
	v_lshrrev_b32_e32 v13, 23, v10
	s_mov_b32 s11, exec_lo
	s_delay_alu instid0(VALU_DEP_2) | instskip(NEXT) | instid1(VALU_DEP_1)
	v_cndmask_b32_e64 v11, v11, 0xffffff82, s10
	v_add3_u32 v13, v17, v11, v13
	v_and_b32_e32 v11, 0xfffff, v12
                                        ; implicit-def: $vgpr12
	s_delay_alu instid0(VALU_DEP_1) | instskip(NEXT) | instid1(VALU_DEP_1)
	v_dual_add_nc_u32 v16, 6, v13 :: v_dual_add_nc_u32 v96, v11, v10
                                        ; implicit-def: $vgpr10_vgpr11
	v_cmpx_ne_u32_e32 0, v16
	s_xor_b32 s11, exec_lo, s11
; %bb.2603:                             ;   in Loop: Header=BB6_2117 Depth=2
	s_delay_alu instid0(VALU_DEP_2) | instskip(SKIP_1) | instid1(VALU_DEP_1)
	v_cmp_lt_u64_e64 s10, 0xffffff, v[96:97]
	v_add_nc_u32_e32 v10, 7, v13
	v_cndmask_b32_e64 v12, v16, v10, s10
	v_cndmask_b32_e64 v10, 0, 1, s10
	s_delay_alu instid0(VALU_DEP_1)
	v_lshrrev_b64 v[10:11], v10, v[96:97]
; %bb.2604:                             ;   in Loop: Header=BB6_2117 Depth=2
	s_and_not1_saveexec_b32 s10, s11
; %bb.2605:                             ;   in Loop: Header=BB6_2117 Depth=2
	v_mov_b64_e32 v[10:11], v[96:97]
	v_bfe_u32 v12, v96, 23, 1
; %bb.2606:                             ;   in Loop: Header=BB6_2117 Depth=2
	s_or_b32 exec_lo, exec_lo, s10
	s_delay_alu instid0(VALU_DEP_2) | instskip(NEXT) | instid1(VALU_DEP_2)
	v_lshrrev_b64 v[10:11], 20, v[10:11]
	v_cmp_gt_i32_e64 s10, 16, v12
	v_min_i32_e32 v13, 15, v12
	v_cmp_eq_u32_e64 s11, 0, v12
	s_delay_alu instid0(VALU_DEP_2) | instskip(SKIP_1) | instid1(VALU_DEP_2)
	v_dual_cndmask_b32 v11, 0, v11, s10 :: v_dual_lshlrev_b32 v13, 3, v13
	v_cndmask_b32_e64 v10, 7, v10, s10
	v_and_b32_e32 v13, 0xf8, v13
	s_delay_alu instid0(VALU_DEP_2) | instskip(NEXT) | instid1(VALU_DEP_2)
	v_cmp_eq_u64_e64 s10, 0, v[10:11]
	v_and_or_b32 v10, v10, 7, v13
	s_and_b32 s10, s11, s10
	s_delay_alu instid0(VALU_DEP_1) | instid1(SALU_CYCLE_1)
	v_cndmask_b32_e64 v10, v10, 0, s10
	s_delay_alu instid0(VALU_DEP_1)
	v_or_b32_e32 v10, v10, v15
.LBB6_2607:                             ;   in Loop: Header=BB6_2117 Depth=2
	s_or_b32 exec_lo, exec_lo, s41
                                        ; implicit-def: $vgpr15
.LBB6_2608:                             ;   in Loop: Header=BB6_2117 Depth=2
	s_and_not1_saveexec_b32 s10, s40
; %bb.2609:                             ;   in Loop: Header=BB6_2117 Depth=2
	v_or_b32_e32 v10, 0x7e, v15
; %bb.2610:                             ;   in Loop: Header=BB6_2117 Depth=2
	s_or_b32 exec_lo, exec_lo, s10
                                        ; implicit-def: $vgpr12
.LBB6_2611:                             ;   in Loop: Header=BB6_2117 Depth=2
	s_and_not1_saveexec_b32 s10, s12
	s_cbranch_execz .LBB6_2116
; %bb.2612:                             ;   in Loop: Header=BB6_2117 Depth=2
	v_or_b32_e32 v10, 0x7f, v12
	s_branch .LBB6_2116
.LBB6_2613:                             ;   in Loop: Header=BB6_49 Depth=1
	s_or_b32 exec_lo, exec_lo, s29
.LBB6_2614:                             ;   in Loop: Header=BB6_49 Depth=1
	s_delay_alu instid0(SALU_CYCLE_1) | instskip(SKIP_3) | instid1(VALU_DEP_1)
	s_or_b32 exec_lo, exec_lo, s28
	v_dual_mov_b32 v20, 0 :: v_dual_bitop2_b32 v10, 15, v119 bitop3:0x40
	s_mov_b32 s11, 0
	s_mov_b32 s12, exec_lo
                                        ; implicit-def: $vgpr22
	v_cndmask_b32_e32 v21, v32, v10, vcc_lo
                                        ; implicit-def: $vgpr10
	s_delay_alu instid0(VALU_DEP_1)
	v_cmpx_ne_u32_e32 0, v21
	s_cbranch_execz .LBB6_2616
; %bb.2615:                             ;   in Loop: Header=BB6_49 Depth=1
	v_cmp_lt_i32_e64 s10, 0, v3
	s_mov_b32 s11, exec_lo
	v_cndmask_b32_e64 v10, 0, v86, s10
	s_delay_alu instid0(VALU_DEP_1) | instskip(NEXT) | instid1(VALU_DEP_1)
	v_sub_nc_u32_e32 v3, v10, v3
	v_lshl_add_u32 v22, v3, 5, v2
	v_and_b32_e32 v3, 0x1f0, v119
	s_delay_alu instid0(VALU_DEP_1) | instskip(NEXT) | instid1(VALU_DEP_1)
	v_dual_cndmask_b32 v3, 0, v3 :: v_dual_ashrrev_i32 v2, 31, v22
	v_lshrrev_b32_e32 v2, 27, v2
	s_delay_alu instid0(VALU_DEP_2) | instskip(NEXT) | instid1(VALU_DEP_2)
	v_and_or_b32 v20, 0x3ffffe00, v119, v3
	v_add_nc_u32_e32 v2, v22, v2
	s_delay_alu instid0(VALU_DEP_1)
	v_ashrrev_i32_e32 v10, 5, v2
.LBB6_2616:                             ;   in Loop: Header=BB6_49 Depth=1
	s_or_b32 exec_lo, exec_lo, s12
	s_delay_alu instid0(SALU_CYCLE_1)
	s_and_b32 s10, s11, exec_lo
.LBB6_2617:                             ;   in Loop: Header=BB6_49 Depth=1
	s_or_b32 exec_lo, exec_lo, s27
	s_and_saveexec_b32 s11, s10
	s_cbranch_execz .LBB6_3814
.LBB6_2618:                             ;   in Loop: Header=BB6_49 Depth=1
	v_lshrrev_b32_e32 v2, 10, v21
	s_mov_b32 s12, exec_lo
	s_delay_alu instid0(VALU_DEP_1) | instskip(SKIP_1) | instid1(VALU_DEP_1)
	v_sub_nc_u32_e32 v23, v2, v10
	v_ashrrev_i32_e32 v2, 31, v22
	v_lshrrev_b32_e32 v24, 27, v2
	s_delay_alu instid0(VALU_DEP_3)
	v_cmpx_lt_i32_e32 0, v23
	s_cbranch_execz .LBB6_3774
; %bb.2619:                             ;   in Loop: Header=BB6_49 Depth=1
	s_delay_alu instid0(VALU_DEP_2) | instskip(SKIP_3) | instid1(VALU_DEP_2)
	v_dual_add_nc_u32 v2, v22, v24 :: v_dual_lshlrev_b32 v10, 10, v10
	s_trap 2
	v_add_nc_u64_e32 v[16:17], 0x3e0, v[44:45]
	s_mov_b32 s27, 0
	v_and_b32_e32 v11, 0xffffffe0, v2
	ds_load_b64 v[2:3], v0
	v_sub_nc_u32_e32 v11, v22, v11
	s_delay_alu instid0(VALU_DEP_1) | instskip(NEXT) | instid1(VALU_DEP_1)
	v_add3_u32 v14, v20, v11, v10
	v_ashrrev_i32_e32 v15, 31, v14
	s_delay_alu instid0(VALU_DEP_1)
	v_add_nc_u64_e32 v[10:11], v[14:15], v[42:43]
	s_wait_dscnt 0x0
	v_add_nc_u64_e32 v[12:13], v[2:3], v[14:15]
	v_add_nc_u64_e32 v[14:15], v[16:17], v[14:15]
	s_branch .LBB6_2621
.LBB6_2620:                             ;   in Loop: Header=BB6_2621 Depth=2
	s_or_b32 exec_lo, exec_lo, s10
	v_sub_nc_u32_e32 v23, v23, v86
	s_clause 0x1f
	flat_store_b8 v[14:15], v27 offset:-992 th:TH_STORE_NT
	flat_store_b8 v[14:15], v32 offset:-960 th:TH_STORE_NT
	;; [unrolled: 1-line block ×31, first 2 shown]
	flat_store_b8 v[14:15], v17 th:TH_STORE_NT
	v_add_nc_u64_e32 v[10:11], v[10:11], v[114:115]
	v_add_nc_u64_e32 v[12:13], v[12:13], v[114:115]
	v_cmp_gt_i32_e32 vcc_lo, 1, v23
	s_wait_xcnt 0x0
	v_add_nc_u64_e32 v[14:15], v[14:15], v[114:115]
	s_or_b32 s27, vcc_lo, s27
	s_delay_alu instid0(SALU_CYCLE_1)
	s_and_not1_b32 exec_lo, exec_lo, s27
	s_cbranch_execz .LBB6_3773
.LBB6_2621:                             ;   Parent Loop BB6_49 Depth=1
                                        ; =>  This Inner Loop Header: Depth=2
	s_clause 0x1f
	flat_load_u8 v17, v[10:11] th:TH_LOAD_NT
	flat_load_u8 v73, v[10:11] offset:32 th:TH_LOAD_NT
	flat_load_u8 v75, v[10:11] offset:64 th:TH_LOAD_NT
	;; [unrolled: 1-line block ×31, first 2 shown]
	s_clause 0x9
	flat_load_u8 v16, v[12:13] th:TH_LOAD_NT
	flat_load_u8 v32, v[12:13] offset:32 th:TH_LOAD_NT
	flat_load_u8 v35, v[12:13] offset:64 th:TH_LOAD_NT
	;; [unrolled: 1-line block ×9, first 2 shown]
	s_wait_loadcnt 0x2a
	s_clause 0x15
	flat_load_u8 v112, v[12:13] offset:320 th:TH_LOAD_NT
	flat_load_u8 v2, v[12:13] offset:352 th:TH_LOAD_NT
	;; [unrolled: 1-line block ×22, first 2 shown]
	v_dual_mov_b32 v18, 0 :: v_dual_mov_b32 v19, 0
	s_mov_b32 s10, exec_lo
	s_wait_loadcnt_dscnt 0x3e3e
	s_wait_xcnt 0x0
	v_cmpx_ne_u16_e32 0, v17
	s_cbranch_execz .LBB6_2629
; %bb.2622:                             ;   in Loop: Header=BB6_2621 Depth=2
	v_bfrev_b32_e32 v19, 1
	s_mov_b32 s28, exec_lo
	v_cmpx_ne_u16_e32 0x80, v17
	s_cbranch_execz .LBB6_2628
; %bb.2623:                             ;   in Loop: Header=BB6_2621 Depth=2
	v_and_b32_e32 v31, 0xffff, v17
	v_mov_b32_e32 v19, 0x7f800001
	s_mov_b32 s29, exec_lo
	s_delay_alu instid0(VALU_DEP_2) | instskip(NEXT) | instid1(VALU_DEP_1)
	v_and_b32_e32 v27, 0x7f, v31
	v_cmpx_ne_u32_e32 0x7f, v27
	s_cbranch_execz .LBB6_2627
; %bb.2624:                             ;   in Loop: Header=BB6_2621 Depth=2
	v_and_b32_e32 v96, 7, v31
	v_lshrrev_b32_e32 v19, 3, v27
	s_mov_b32 s40, exec_lo
	v_cmpx_gt_u32_e32 8, v27
; %bb.2625:                             ;   in Loop: Header=BB6_2621 Depth=2
	s_delay_alu instid0(VALU_DEP_3) | instskip(NEXT) | instid1(VALU_DEP_1)
	v_clz_i32_u32_e32 v19, v96
	v_min_u32_e32 v19, 32, v19
	s_delay_alu instid0(VALU_DEP_1) | instskip(NEXT) | instid1(VALU_DEP_1)
	v_subrev_nc_u32_e32 v27, 28, v19
	v_lshlrev_b64_e32 v[54:55], v27, v[96:97]
	s_delay_alu instid0(VALU_DEP_1)
	v_dual_sub_nc_u32 v19, 29, v19 :: v_dual_bitop2_b32 v96, 7, v54 bitop3:0x40
; %bb.2626:                             ;   in Loop: Header=BB6_2621 Depth=2
	s_or_b32 exec_lo, exec_lo, s40
	s_delay_alu instid0(VALU_DEP_1) | instskip(NEXT) | instid1(VALU_DEP_2)
	v_dual_lshlrev_b32 v17, 24, v17 :: v_dual_lshlrev_b32 v27, 20, v96
	v_lshl_add_u32 v19, v19, 23, 0x3c000000
	s_delay_alu instid0(VALU_DEP_2) | instskip(NEXT) | instid1(VALU_DEP_1)
	v_and_b32_e32 v17, 0x80000000, v17
	v_or3_b32 v19, v27, v17, v19
.LBB6_2627:                             ;   in Loop: Header=BB6_2621 Depth=2
	s_or_b32 exec_lo, exec_lo, s29
.LBB6_2628:                             ;   in Loop: Header=BB6_2621 Depth=2
	s_delay_alu instid0(SALU_CYCLE_1)
	s_or_b32 exec_lo, exec_lo, s28
.LBB6_2629:                             ;   in Loop: Header=BB6_2621 Depth=2
	s_delay_alu instid0(SALU_CYCLE_1) | instskip(SKIP_3) | instid1(VALU_DEP_1)
	s_or_b32 exec_lo, exec_lo, s10
	s_wait_loadcnt_dscnt 0x1f1f
	v_and_b32_e32 v17, 0xff, v16
	s_mov_b32 s10, exec_lo
	v_cmpx_ne_u16_e32 0, v17
	s_cbranch_execz .LBB6_2637
; %bb.2630:                             ;   in Loop: Header=BB6_2621 Depth=2
	v_bfrev_b32_e32 v18, 1
	s_mov_b32 s28, exec_lo
	v_cmpx_ne_u16_e32 0x80, v17
	s_cbranch_execz .LBB6_2636
; %bb.2631:                             ;   in Loop: Header=BB6_2621 Depth=2
	v_and_b32_e32 v27, 0x7f, v16
	v_mov_b32_e32 v18, 0x7f800001
	s_mov_b32 s29, exec_lo
	s_delay_alu instid0(VALU_DEP_2)
	v_cmpx_ne_u32_e32 0x7f, v27
	s_cbranch_execz .LBB6_2635
; %bb.2632:                             ;   in Loop: Header=BB6_2621 Depth=2
	v_dual_lshrrev_b32 v17, 3, v27 :: v_dual_bitop2_b32 v96, 7, v17 bitop3:0x40
	s_mov_b32 s40, exec_lo
	v_cmpx_gt_u32_e32 8, v27
; %bb.2633:                             ;   in Loop: Header=BB6_2621 Depth=2
	s_delay_alu instid0(VALU_DEP_2) | instskip(NEXT) | instid1(VALU_DEP_1)
	v_clz_i32_u32_e32 v17, v96
	v_min_u32_e32 v17, 32, v17
	s_delay_alu instid0(VALU_DEP_1) | instskip(NEXT) | instid1(VALU_DEP_1)
	v_subrev_nc_u32_e32 v18, 28, v17
	v_lshlrev_b64_e32 v[54:55], v18, v[96:97]
	s_delay_alu instid0(VALU_DEP_1)
	v_dual_sub_nc_u32 v17, 29, v17 :: v_dual_bitop2_b32 v96, 7, v54 bitop3:0x40
; %bb.2634:                             ;   in Loop: Header=BB6_2621 Depth=2
	s_or_b32 exec_lo, exec_lo, s40
	v_lshlrev_b32_e32 v16, 24, v16
	s_delay_alu instid0(VALU_DEP_2) | instskip(NEXT) | instid1(VALU_DEP_3)
	v_lshlrev_b32_e32 v18, 20, v96
	v_lshl_add_u32 v17, v17, 23, 0x3c000000
	s_delay_alu instid0(VALU_DEP_3) | instskip(NEXT) | instid1(VALU_DEP_1)
	v_and_b32_e32 v16, 0x80000000, v16
	v_or3_b32 v18, v18, v16, v17
.LBB6_2635:                             ;   in Loop: Header=BB6_2621 Depth=2
	s_or_b32 exec_lo, exec_lo, s29
.LBB6_2636:                             ;   in Loop: Header=BB6_2621 Depth=2
	s_delay_alu instid0(SALU_CYCLE_1)
	s_or_b32 exec_lo, exec_lo, s28
.LBB6_2637:                             ;   in Loop: Header=BB6_2621 Depth=2
	s_delay_alu instid0(SALU_CYCLE_1) | instskip(NEXT) | instid1(VALU_DEP_1)
	s_or_b32 exec_lo, exec_lo, s10
	v_mul_f32_e32 v16, v19, v18
                                        ; implicit-def: $vgpr27
	s_mov_b32 s10, exec_lo
	s_delay_alu instid0(VALU_DEP_1) | instskip(SKIP_1) | instid1(VALU_DEP_2)
	v_and_b32_e32 v96, 0x7f800000, v16
	v_lshrrev_b32_e32 v17, 24, v16
	v_cmpx_ne_u64_e32 0x7f800000, v[96:97]
	s_xor_b32 s28, exec_lo, s10
	s_cbranch_execz .LBB6_2655
; %bb.2638:                             ;   in Loop: Header=BB6_2621 Depth=2
	v_and_b32_e32 v96, 0x7fffffff, v16
	v_and_b32_e32 v124, 0x80, v17
                                        ; implicit-def: $vgpr27
	s_mov_b32 s10, exec_lo
	s_delay_alu instid0(VALU_DEP_2)
	v_cmpx_gt_u64_e32 0x43e00001, v[96:97]
	s_xor_b32 s29, exec_lo, s10
	s_cbranch_execz .LBB6_2652
; %bb.2639:                             ;   in Loop: Header=BB6_2621 Depth=2
	v_mov_b32_e32 v27, 0
	s_mov_b32 s40, exec_lo
	v_cmpx_ne_u32_e32 0, v16
	s_cbranch_execz .LBB6_2651
; %bb.2640:                             ;   in Loop: Header=BB6_2621 Depth=2
	v_bfe_u32 v27, v16, 23, 8
	v_and_b32_e32 v17, 0x7fffff, v16
	s_delay_alu instid0(VALU_DEP_2) | instskip(SKIP_2) | instid1(VALU_DEP_4)
	v_cmp_gt_u32_e64 s10, 0x7a, v27
	v_sub_nc_u32_e32 v16, 0x79, v27
	v_cmp_eq_u32_e32 vcc_lo, 0, v27
	v_or_b32_e32 v18, 0x800000, v17
	s_delay_alu instid0(VALU_DEP_1) | instskip(NEXT) | instid1(VALU_DEP_1)
	v_dual_cndmask_b32 v16, 0, v16, s10 :: v_dual_cndmask_b32 v96, v18, v17, vcc_lo
	v_cndmask_b32_e64 v31, v16, 0x78, vcc_lo
	s_delay_alu instid0(VALU_DEP_1) | instskip(NEXT) | instid1(VALU_DEP_1)
	v_dual_add_nc_u32 v16, 20, v31 :: v_dual_add_nc_u32 v18, 19, v31
	v_lshlrev_b64_e64 v[16:17], v16, -1
	s_delay_alu instid0(VALU_DEP_2) | instskip(NEXT) | instid1(VALU_DEP_2)
	v_lshlrev_b64_e64 v[18:19], v18, 1
	v_bfi_b32 v17, v17, 0, 0
	s_delay_alu instid0(VALU_DEP_3) | instskip(NEXT) | instid1(VALU_DEP_1)
	v_bfi_b32 v16, v16, 0, v96
	v_cmp_eq_u64_e64 s10, v[16:17], v[18:19]
	v_lshrrev_b64 v[16:17], v31, v[96:97]
	s_delay_alu instid0(VALU_DEP_1)
	v_mov_b64_e32 v[18:19], v[16:17]
	s_and_saveexec_b32 s41, s10
; %bb.2641:                             ;   in Loop: Header=BB6_2621 Depth=2
	v_bfe_u32 v96, v16, 20, 1
	s_delay_alu instid0(VALU_DEP_1) | instskip(NEXT) | instid1(VALU_DEP_1)
	v_add_nc_u64_e32 v[18:19], v[16:17], v[96:97]
	v_add_nc_u64_e32 v[18:19], -1, v[18:19]
; %bb.2642:                             ;   in Loop: Header=BB6_2621 Depth=2
	s_or_b32 exec_lo, exec_lo, s41
	v_add_nc_u32_e32 v17, 0xffffff81, v27
	v_lshrrev_b32_e32 v19, 23, v16
	s_mov_b32 s10, exec_lo
	s_delay_alu instid0(VALU_DEP_2) | instskip(NEXT) | instid1(VALU_DEP_1)
	v_cndmask_b32_e64 v17, v17, 0xffffff82, vcc_lo
	v_add3_u32 v27, v31, v17, v19
	v_and_b32_e32 v17, 0xfffff, v18
                                        ; implicit-def: $vgpr18
	s_delay_alu instid0(VALU_DEP_1) | instskip(NEXT) | instid1(VALU_DEP_1)
	v_dual_add_nc_u32 v19, 6, v27 :: v_dual_add_nc_u32 v96, v17, v16
                                        ; implicit-def: $vgpr16_vgpr17
	v_cmpx_ne_u32_e32 0, v19
	s_xor_b32 s10, exec_lo, s10
; %bb.2643:                             ;   in Loop: Header=BB6_2621 Depth=2
	s_delay_alu instid0(VALU_DEP_2) | instskip(SKIP_1) | instid1(VALU_DEP_1)
	v_cmp_lt_u64_e32 vcc_lo, 0xffffff, v[96:97]
	v_add_nc_u32_e32 v16, 7, v27
	v_cndmask_b32_e32 v18, v19, v16, vcc_lo
	v_cndmask_b32_e64 v16, 0, 1, vcc_lo
	s_delay_alu instid0(VALU_DEP_1)
	v_lshrrev_b64 v[16:17], v16, v[96:97]
; %bb.2644:                             ;   in Loop: Header=BB6_2621 Depth=2
	s_and_not1_saveexec_b32 s10, s10
; %bb.2645:                             ;   in Loop: Header=BB6_2621 Depth=2
	v_mov_b64_e32 v[16:17], v[96:97]
	v_bfe_u32 v18, v96, 23, 1
; %bb.2646:                             ;   in Loop: Header=BB6_2621 Depth=2
	s_or_b32 exec_lo, exec_lo, s10
	s_delay_alu instid0(VALU_DEP_2) | instskip(NEXT) | instid1(VALU_DEP_2)
	v_lshrrev_b64 v[16:17], 20, v[16:17]
	v_cmp_gt_i32_e32 vcc_lo, 16, v18
	v_cmp_ne_u32_e64 s10, 0, v18
                                        ; implicit-def: $vgpr27
	s_delay_alu instid0(VALU_DEP_3) | instskip(NEXT) | instid1(VALU_DEP_1)
	v_dual_cndmask_b32 v17, 0, v17 :: v_dual_cndmask_b32 v16, 7, v16
	v_cmp_ne_u64_e32 vcc_lo, 0, v[16:17]
	s_or_b32 s10, s10, vcc_lo
	s_delay_alu instid0(SALU_CYCLE_1) | instskip(NEXT) | instid1(SALU_CYCLE_1)
	s_and_saveexec_b32 s41, s10
	s_xor_b32 s10, exec_lo, s41
; %bb.2647:                             ;   in Loop: Header=BB6_2621 Depth=2
	v_min_i32_e32 v17, 15, v18
	s_delay_alu instid0(VALU_DEP_1) | instskip(NEXT) | instid1(VALU_DEP_1)
	v_lshl_or_b32 v17, v17, 3, v124
                                        ; implicit-def: $vgpr124
	v_and_or_b32 v27, v16, 7, v17
; %bb.2648:                             ;   in Loop: Header=BB6_2621 Depth=2
	s_and_not1_saveexec_b32 s10, s10
; %bb.2649:                             ;   in Loop: Header=BB6_2621 Depth=2
	v_mov_b32_e32 v27, v124
; %bb.2650:                             ;   in Loop: Header=BB6_2621 Depth=2
	s_or_b32 exec_lo, exec_lo, s10
.LBB6_2651:                             ;   in Loop: Header=BB6_2621 Depth=2
	s_delay_alu instid0(SALU_CYCLE_1)
	s_or_b32 exec_lo, exec_lo, s40
                                        ; implicit-def: $vgpr124
.LBB6_2652:                             ;   in Loop: Header=BB6_2621 Depth=2
	s_and_not1_saveexec_b32 s10, s29
; %bb.2653:                             ;   in Loop: Header=BB6_2621 Depth=2
	v_or_b32_e32 v27, 0x7e, v124
; %bb.2654:                             ;   in Loop: Header=BB6_2621 Depth=2
	s_or_b32 exec_lo, exec_lo, s10
                                        ; implicit-def: $vgpr17
.LBB6_2655:                             ;   in Loop: Header=BB6_2621 Depth=2
	s_and_not1_saveexec_b32 s10, s28
; %bb.2656:                             ;   in Loop: Header=BB6_2621 Depth=2
	v_or_b32_e32 v27, 0x7f, v17
; %bb.2657:                             ;   in Loop: Header=BB6_2621 Depth=2
	s_or_b32 exec_lo, exec_lo, s10
	v_and_b32_e32 v18, 0xff, v73
	v_dual_mov_b32 v16, 0 :: v_dual_mov_b32 v17, 0
	s_mov_b32 s10, exec_lo
	s_delay_alu instid0(VALU_DEP_2)
	v_cmpx_ne_u16_e32 0, v18
	s_cbranch_execz .LBB6_2665
; %bb.2658:                             ;   in Loop: Header=BB6_2621 Depth=2
	v_bfrev_b32_e32 v17, 1
	s_mov_b32 s28, exec_lo
	v_cmpx_ne_u16_e32 0x80, v18
	s_cbranch_execz .LBB6_2664
; %bb.2659:                             ;   in Loop: Header=BB6_2621 Depth=2
	v_and_b32_e32 v19, 0x7f, v73
	v_mov_b32_e32 v17, 0x7f800001
	s_mov_b32 s29, exec_lo
	s_delay_alu instid0(VALU_DEP_2)
	v_cmpx_ne_u32_e32 0x7f, v19
	s_cbranch_execz .LBB6_2663
; %bb.2660:                             ;   in Loop: Header=BB6_2621 Depth=2
	v_dual_lshrrev_b32 v17, 3, v19 :: v_dual_bitop2_b32 v96, 7, v18 bitop3:0x40
	s_mov_b32 s40, exec_lo
	v_cmpx_gt_u32_e32 8, v19
; %bb.2661:                             ;   in Loop: Header=BB6_2621 Depth=2
	s_delay_alu instid0(VALU_DEP_2) | instskip(NEXT) | instid1(VALU_DEP_1)
	v_clz_i32_u32_e32 v17, v96
	v_min_u32_e32 v17, 32, v17
	s_delay_alu instid0(VALU_DEP_1) | instskip(NEXT) | instid1(VALU_DEP_1)
	v_subrev_nc_u32_e32 v18, 28, v17
	v_lshlrev_b64_e32 v[18:19], v18, v[96:97]
	s_delay_alu instid0(VALU_DEP_1)
	v_dual_sub_nc_u32 v17, 29, v17 :: v_dual_bitop2_b32 v96, 7, v18 bitop3:0x40
; %bb.2662:                             ;   in Loop: Header=BB6_2621 Depth=2
	s_or_b32 exec_lo, exec_lo, s40
	s_delay_alu instid0(VALU_DEP_1) | instskip(NEXT) | instid1(VALU_DEP_2)
	v_dual_lshlrev_b32 v18, 24, v73 :: v_dual_lshlrev_b32 v19, 20, v96
	v_lshl_add_u32 v17, v17, 23, 0x3c000000
	s_delay_alu instid0(VALU_DEP_2) | instskip(NEXT) | instid1(VALU_DEP_1)
	v_and_b32_e32 v18, 0x80000000, v18
	v_or3_b32 v17, v19, v18, v17
.LBB6_2663:                             ;   in Loop: Header=BB6_2621 Depth=2
	s_or_b32 exec_lo, exec_lo, s29
.LBB6_2664:                             ;   in Loop: Header=BB6_2621 Depth=2
	s_delay_alu instid0(SALU_CYCLE_1)
	s_or_b32 exec_lo, exec_lo, s28
.LBB6_2665:                             ;   in Loop: Header=BB6_2621 Depth=2
	s_delay_alu instid0(SALU_CYCLE_1) | instskip(SKIP_3) | instid1(VALU_DEP_1)
	s_or_b32 exec_lo, exec_lo, s10
	s_wait_loadcnt_dscnt 0x1e1e
	v_and_b32_e32 v18, 0xff, v32
	s_mov_b32 s10, exec_lo
	v_cmpx_ne_u16_e32 0, v18
	s_cbranch_execz .LBB6_2673
; %bb.2666:                             ;   in Loop: Header=BB6_2621 Depth=2
	v_bfrev_b32_e32 v16, 1
	s_mov_b32 s28, exec_lo
	v_cmpx_ne_u16_e32 0x80, v18
	s_cbranch_execz .LBB6_2672
; %bb.2667:                             ;   in Loop: Header=BB6_2621 Depth=2
	v_and_b32_e32 v19, 0x7f, v32
	v_mov_b32_e32 v16, 0x7f800001
	s_mov_b32 s29, exec_lo
	s_delay_alu instid0(VALU_DEP_2)
	v_cmpx_ne_u32_e32 0x7f, v19
	s_cbranch_execz .LBB6_2671
; %bb.2668:                             ;   in Loop: Header=BB6_2621 Depth=2
	v_dual_lshrrev_b32 v16, 3, v19 :: v_dual_bitop2_b32 v96, 7, v18 bitop3:0x40
	s_mov_b32 s40, exec_lo
	v_cmpx_gt_u32_e32 8, v19
; %bb.2669:                             ;   in Loop: Header=BB6_2621 Depth=2
	s_delay_alu instid0(VALU_DEP_2) | instskip(NEXT) | instid1(VALU_DEP_1)
	v_clz_i32_u32_e32 v16, v96
	v_min_u32_e32 v16, 32, v16
	s_delay_alu instid0(VALU_DEP_1) | instskip(NEXT) | instid1(VALU_DEP_1)
	v_subrev_nc_u32_e32 v18, 28, v16
	v_lshlrev_b64_e32 v[18:19], v18, v[96:97]
	s_delay_alu instid0(VALU_DEP_1)
	v_dual_sub_nc_u32 v16, 29, v16 :: v_dual_bitop2_b32 v96, 7, v18 bitop3:0x40
; %bb.2670:                             ;   in Loop: Header=BB6_2621 Depth=2
	s_or_b32 exec_lo, exec_lo, s40
	v_lshlrev_b32_e32 v18, 24, v32
	s_delay_alu instid0(VALU_DEP_2) | instskip(NEXT) | instid1(VALU_DEP_3)
	v_lshlrev_b32_e32 v19, 20, v96
	v_lshl_add_u32 v16, v16, 23, 0x3c000000
	s_delay_alu instid0(VALU_DEP_3) | instskip(NEXT) | instid1(VALU_DEP_1)
	v_and_b32_e32 v18, 0x80000000, v18
	v_or3_b32 v16, v19, v18, v16
.LBB6_2671:                             ;   in Loop: Header=BB6_2621 Depth=2
	s_or_b32 exec_lo, exec_lo, s29
.LBB6_2672:                             ;   in Loop: Header=BB6_2621 Depth=2
	s_delay_alu instid0(SALU_CYCLE_1)
	s_or_b32 exec_lo, exec_lo, s28
.LBB6_2673:                             ;   in Loop: Header=BB6_2621 Depth=2
	s_delay_alu instid0(SALU_CYCLE_1) | instskip(NEXT) | instid1(VALU_DEP_1)
	s_or_b32 exec_lo, exec_lo, s10
	v_mul_f32_e32 v16, v17, v16
                                        ; implicit-def: $vgpr32
	s_mov_b32 s10, exec_lo
	s_delay_alu instid0(VALU_DEP_1) | instskip(SKIP_1) | instid1(VALU_DEP_2)
	v_and_b32_e32 v96, 0x7f800000, v16
	v_lshrrev_b32_e32 v17, 24, v16
	v_cmpx_ne_u64_e32 0x7f800000, v[96:97]
	s_xor_b32 s28, exec_lo, s10
	s_cbranch_execz .LBB6_2691
; %bb.2674:                             ;   in Loop: Header=BB6_2621 Depth=2
	v_and_b32_e32 v96, 0x7fffffff, v16
	v_and_b32_e32 v73, 0x80, v17
                                        ; implicit-def: $vgpr32
	s_mov_b32 s10, exec_lo
	s_delay_alu instid0(VALU_DEP_2)
	v_cmpx_gt_u64_e32 0x43e00001, v[96:97]
	s_xor_b32 s29, exec_lo, s10
	s_cbranch_execz .LBB6_2688
; %bb.2675:                             ;   in Loop: Header=BB6_2621 Depth=2
	v_mov_b32_e32 v32, 0
	s_mov_b32 s40, exec_lo
	v_cmpx_ne_u32_e32 0, v16
	s_cbranch_execz .LBB6_2687
; %bb.2676:                             ;   in Loop: Header=BB6_2621 Depth=2
	v_bfe_u32 v31, v16, 23, 8
	v_and_b32_e32 v17, 0x7fffff, v16
	s_delay_alu instid0(VALU_DEP_2) | instskip(SKIP_2) | instid1(VALU_DEP_4)
	v_cmp_gt_u32_e64 s10, 0x7a, v31
	v_sub_nc_u32_e32 v16, 0x79, v31
	v_cmp_eq_u32_e32 vcc_lo, 0, v31
	v_or_b32_e32 v18, 0x800000, v17
	s_delay_alu instid0(VALU_DEP_1) | instskip(NEXT) | instid1(VALU_DEP_1)
	v_dual_cndmask_b32 v16, 0, v16, s10 :: v_dual_cndmask_b32 v96, v18, v17, vcc_lo
	v_cndmask_b32_e64 v32, v16, 0x78, vcc_lo
	s_delay_alu instid0(VALU_DEP_1) | instskip(NEXT) | instid1(VALU_DEP_1)
	v_dual_add_nc_u32 v16, 20, v32 :: v_dual_add_nc_u32 v18, 19, v32
	v_lshlrev_b64_e64 v[16:17], v16, -1
	s_delay_alu instid0(VALU_DEP_2) | instskip(NEXT) | instid1(VALU_DEP_2)
	v_lshlrev_b64_e64 v[18:19], v18, 1
	v_bfi_b32 v17, v17, 0, 0
	s_delay_alu instid0(VALU_DEP_3) | instskip(NEXT) | instid1(VALU_DEP_1)
	v_bfi_b32 v16, v16, 0, v96
	v_cmp_eq_u64_e64 s10, v[16:17], v[18:19]
	v_lshrrev_b64 v[16:17], v32, v[96:97]
	s_delay_alu instid0(VALU_DEP_1)
	v_mov_b64_e32 v[18:19], v[16:17]
	s_and_saveexec_b32 s41, s10
; %bb.2677:                             ;   in Loop: Header=BB6_2621 Depth=2
	v_bfe_u32 v96, v16, 20, 1
	s_delay_alu instid0(VALU_DEP_1) | instskip(NEXT) | instid1(VALU_DEP_1)
	v_add_nc_u64_e32 v[18:19], v[16:17], v[96:97]
	v_add_nc_u64_e32 v[18:19], -1, v[18:19]
; %bb.2678:                             ;   in Loop: Header=BB6_2621 Depth=2
	s_or_b32 exec_lo, exec_lo, s41
	v_add_nc_u32_e32 v17, 0xffffff81, v31
	v_lshrrev_b32_e32 v19, 23, v16
	s_mov_b32 s10, exec_lo
	s_delay_alu instid0(VALU_DEP_2) | instskip(NEXT) | instid1(VALU_DEP_1)
	v_cndmask_b32_e64 v17, v17, 0xffffff82, vcc_lo
	v_add3_u32 v31, v32, v17, v19
	v_and_b32_e32 v17, 0xfffff, v18
                                        ; implicit-def: $vgpr18
	s_delay_alu instid0(VALU_DEP_1) | instskip(NEXT) | instid1(VALU_DEP_1)
	v_dual_add_nc_u32 v19, 6, v31 :: v_dual_add_nc_u32 v96, v17, v16
                                        ; implicit-def: $vgpr16_vgpr17
	v_cmpx_ne_u32_e32 0, v19
	s_xor_b32 s10, exec_lo, s10
; %bb.2679:                             ;   in Loop: Header=BB6_2621 Depth=2
	s_delay_alu instid0(VALU_DEP_2) | instskip(SKIP_1) | instid1(VALU_DEP_1)
	v_cmp_lt_u64_e32 vcc_lo, 0xffffff, v[96:97]
	v_add_nc_u32_e32 v16, 7, v31
	v_cndmask_b32_e32 v18, v19, v16, vcc_lo
	v_cndmask_b32_e64 v16, 0, 1, vcc_lo
	s_delay_alu instid0(VALU_DEP_1)
	v_lshrrev_b64 v[16:17], v16, v[96:97]
; %bb.2680:                             ;   in Loop: Header=BB6_2621 Depth=2
	s_and_not1_saveexec_b32 s10, s10
; %bb.2681:                             ;   in Loop: Header=BB6_2621 Depth=2
	v_mov_b64_e32 v[16:17], v[96:97]
	v_bfe_u32 v18, v96, 23, 1
; %bb.2682:                             ;   in Loop: Header=BB6_2621 Depth=2
	s_or_b32 exec_lo, exec_lo, s10
	s_delay_alu instid0(VALU_DEP_2) | instskip(NEXT) | instid1(VALU_DEP_2)
	v_lshrrev_b64 v[16:17], 20, v[16:17]
	v_cmp_gt_i32_e32 vcc_lo, 16, v18
	v_cmp_ne_u32_e64 s10, 0, v18
                                        ; implicit-def: $vgpr32
	s_delay_alu instid0(VALU_DEP_3) | instskip(NEXT) | instid1(VALU_DEP_1)
	v_dual_cndmask_b32 v17, 0, v17 :: v_dual_cndmask_b32 v16, 7, v16
	v_cmp_ne_u64_e32 vcc_lo, 0, v[16:17]
	s_or_b32 s10, s10, vcc_lo
	s_delay_alu instid0(SALU_CYCLE_1) | instskip(NEXT) | instid1(SALU_CYCLE_1)
	s_and_saveexec_b32 s41, s10
	s_xor_b32 s10, exec_lo, s41
; %bb.2683:                             ;   in Loop: Header=BB6_2621 Depth=2
	v_min_i32_e32 v17, 15, v18
	s_delay_alu instid0(VALU_DEP_1) | instskip(NEXT) | instid1(VALU_DEP_1)
	v_lshl_or_b32 v17, v17, 3, v73
                                        ; implicit-def: $vgpr73
	v_and_or_b32 v32, v16, 7, v17
; %bb.2684:                             ;   in Loop: Header=BB6_2621 Depth=2
	s_and_not1_saveexec_b32 s10, s10
; %bb.2685:                             ;   in Loop: Header=BB6_2621 Depth=2
	v_mov_b32_e32 v32, v73
; %bb.2686:                             ;   in Loop: Header=BB6_2621 Depth=2
	s_or_b32 exec_lo, exec_lo, s10
.LBB6_2687:                             ;   in Loop: Header=BB6_2621 Depth=2
	s_delay_alu instid0(SALU_CYCLE_1)
	s_or_b32 exec_lo, exec_lo, s40
                                        ; implicit-def: $vgpr73
.LBB6_2688:                             ;   in Loop: Header=BB6_2621 Depth=2
	s_and_not1_saveexec_b32 s10, s29
; %bb.2689:                             ;   in Loop: Header=BB6_2621 Depth=2
	v_or_b32_e32 v32, 0x7e, v73
; %bb.2690:                             ;   in Loop: Header=BB6_2621 Depth=2
	s_or_b32 exec_lo, exec_lo, s10
                                        ; implicit-def: $vgpr17
.LBB6_2691:                             ;   in Loop: Header=BB6_2621 Depth=2
	s_and_not1_saveexec_b32 s10, s28
; %bb.2692:                             ;   in Loop: Header=BB6_2621 Depth=2
	v_or_b32_e32 v32, 0x7f, v17
; %bb.2693:                             ;   in Loop: Header=BB6_2621 Depth=2
	s_or_b32 exec_lo, exec_lo, s10
	v_and_b32_e32 v18, 0xff, v75
	v_dual_mov_b32 v16, 0 :: v_dual_mov_b32 v17, 0
	s_mov_b32 s10, exec_lo
	s_delay_alu instid0(VALU_DEP_2)
	v_cmpx_ne_u16_e32 0, v18
	s_cbranch_execz .LBB6_2701
; %bb.2694:                             ;   in Loop: Header=BB6_2621 Depth=2
	v_bfrev_b32_e32 v17, 1
	s_mov_b32 s28, exec_lo
	v_cmpx_ne_u16_e32 0x80, v18
	s_cbranch_execz .LBB6_2700
; %bb.2695:                             ;   in Loop: Header=BB6_2621 Depth=2
	v_and_b32_e32 v19, 0x7f, v75
	v_mov_b32_e32 v17, 0x7f800001
	s_mov_b32 s29, exec_lo
	s_delay_alu instid0(VALU_DEP_2)
	v_cmpx_ne_u32_e32 0x7f, v19
	s_cbranch_execz .LBB6_2699
; %bb.2696:                             ;   in Loop: Header=BB6_2621 Depth=2
	v_dual_lshrrev_b32 v17, 3, v19 :: v_dual_bitop2_b32 v96, 7, v18 bitop3:0x40
	s_mov_b32 s40, exec_lo
	v_cmpx_gt_u32_e32 8, v19
; %bb.2697:                             ;   in Loop: Header=BB6_2621 Depth=2
	s_delay_alu instid0(VALU_DEP_2) | instskip(NEXT) | instid1(VALU_DEP_1)
	v_clz_i32_u32_e32 v17, v96
	v_min_u32_e32 v17, 32, v17
	s_delay_alu instid0(VALU_DEP_1) | instskip(NEXT) | instid1(VALU_DEP_1)
	v_subrev_nc_u32_e32 v18, 28, v17
	v_lshlrev_b64_e32 v[18:19], v18, v[96:97]
	s_delay_alu instid0(VALU_DEP_1)
	v_dual_sub_nc_u32 v17, 29, v17 :: v_dual_bitop2_b32 v96, 7, v18 bitop3:0x40
; %bb.2698:                             ;   in Loop: Header=BB6_2621 Depth=2
	s_or_b32 exec_lo, exec_lo, s40
	s_delay_alu instid0(VALU_DEP_1) | instskip(NEXT) | instid1(VALU_DEP_2)
	v_dual_lshlrev_b32 v18, 24, v75 :: v_dual_lshlrev_b32 v19, 20, v96
	v_lshl_add_u32 v17, v17, 23, 0x3c000000
	s_delay_alu instid0(VALU_DEP_2) | instskip(NEXT) | instid1(VALU_DEP_1)
	v_and_b32_e32 v18, 0x80000000, v18
	v_or3_b32 v17, v19, v18, v17
.LBB6_2699:                             ;   in Loop: Header=BB6_2621 Depth=2
	s_or_b32 exec_lo, exec_lo, s29
.LBB6_2700:                             ;   in Loop: Header=BB6_2621 Depth=2
	s_delay_alu instid0(SALU_CYCLE_1)
	s_or_b32 exec_lo, exec_lo, s28
.LBB6_2701:                             ;   in Loop: Header=BB6_2621 Depth=2
	s_delay_alu instid0(SALU_CYCLE_1) | instskip(SKIP_3) | instid1(VALU_DEP_1)
	s_or_b32 exec_lo, exec_lo, s10
	s_wait_loadcnt_dscnt 0x1d1d
	v_and_b32_e32 v18, 0xff, v35
	s_mov_b32 s10, exec_lo
	v_cmpx_ne_u16_e32 0, v18
	s_cbranch_execz .LBB6_2709
; %bb.2702:                             ;   in Loop: Header=BB6_2621 Depth=2
	v_bfrev_b32_e32 v16, 1
	s_mov_b32 s28, exec_lo
	v_cmpx_ne_u16_e32 0x80, v18
	s_cbranch_execz .LBB6_2708
; %bb.2703:                             ;   in Loop: Header=BB6_2621 Depth=2
	v_and_b32_e32 v19, 0x7f, v35
	v_mov_b32_e32 v16, 0x7f800001
	s_mov_b32 s29, exec_lo
	s_delay_alu instid0(VALU_DEP_2)
	v_cmpx_ne_u32_e32 0x7f, v19
	s_cbranch_execz .LBB6_2707
; %bb.2704:                             ;   in Loop: Header=BB6_2621 Depth=2
	v_dual_lshrrev_b32 v16, 3, v19 :: v_dual_bitop2_b32 v96, 7, v18 bitop3:0x40
	s_mov_b32 s40, exec_lo
	v_cmpx_gt_u32_e32 8, v19
; %bb.2705:                             ;   in Loop: Header=BB6_2621 Depth=2
	s_delay_alu instid0(VALU_DEP_2) | instskip(NEXT) | instid1(VALU_DEP_1)
	v_clz_i32_u32_e32 v16, v96
	v_min_u32_e32 v16, 32, v16
	s_delay_alu instid0(VALU_DEP_1) | instskip(NEXT) | instid1(VALU_DEP_1)
	v_subrev_nc_u32_e32 v18, 28, v16
	v_lshlrev_b64_e32 v[18:19], v18, v[96:97]
	s_delay_alu instid0(VALU_DEP_1)
	v_dual_sub_nc_u32 v16, 29, v16 :: v_dual_bitop2_b32 v96, 7, v18 bitop3:0x40
; %bb.2706:                             ;   in Loop: Header=BB6_2621 Depth=2
	s_or_b32 exec_lo, exec_lo, s40
	s_delay_alu instid0(VALU_DEP_1) | instskip(NEXT) | instid1(VALU_DEP_2)
	v_dual_lshlrev_b32 v18, 24, v35 :: v_dual_lshlrev_b32 v19, 20, v96
	v_lshl_add_u32 v16, v16, 23, 0x3c000000
	s_delay_alu instid0(VALU_DEP_2) | instskip(NEXT) | instid1(VALU_DEP_1)
	v_and_b32_e32 v18, 0x80000000, v18
	v_or3_b32 v16, v19, v18, v16
.LBB6_2707:                             ;   in Loop: Header=BB6_2621 Depth=2
	s_or_b32 exec_lo, exec_lo, s29
.LBB6_2708:                             ;   in Loop: Header=BB6_2621 Depth=2
	s_delay_alu instid0(SALU_CYCLE_1)
	s_or_b32 exec_lo, exec_lo, s28
.LBB6_2709:                             ;   in Loop: Header=BB6_2621 Depth=2
	s_delay_alu instid0(SALU_CYCLE_1) | instskip(NEXT) | instid1(VALU_DEP_1)
	s_or_b32 exec_lo, exec_lo, s10
	v_mul_f32_e32 v16, v17, v16
                                        ; implicit-def: $vgpr35
	s_mov_b32 s10, exec_lo
	s_delay_alu instid0(VALU_DEP_1) | instskip(SKIP_1) | instid1(VALU_DEP_2)
	v_and_b32_e32 v96, 0x7f800000, v16
	v_lshrrev_b32_e32 v17, 24, v16
	v_cmpx_ne_u64_e32 0x7f800000, v[96:97]
	s_xor_b32 s28, exec_lo, s10
	s_cbranch_execz .LBB6_2727
; %bb.2710:                             ;   in Loop: Header=BB6_2621 Depth=2
	v_and_b32_e32 v96, 0x7fffffff, v16
	v_and_b32_e32 v73, 0x80, v17
                                        ; implicit-def: $vgpr35
	s_mov_b32 s10, exec_lo
	s_delay_alu instid0(VALU_DEP_2)
	v_cmpx_gt_u64_e32 0x43e00001, v[96:97]
	s_xor_b32 s29, exec_lo, s10
	s_cbranch_execz .LBB6_2724
; %bb.2711:                             ;   in Loop: Header=BB6_2621 Depth=2
	v_mov_b32_e32 v35, 0
	s_mov_b32 s40, exec_lo
	v_cmpx_ne_u32_e32 0, v16
	s_cbranch_execz .LBB6_2723
; %bb.2712:                             ;   in Loop: Header=BB6_2621 Depth=2
	v_bfe_u32 v31, v16, 23, 8
	v_and_b32_e32 v17, 0x7fffff, v16
	s_delay_alu instid0(VALU_DEP_2) | instskip(SKIP_2) | instid1(VALU_DEP_4)
	v_cmp_gt_u32_e64 s10, 0x7a, v31
	v_sub_nc_u32_e32 v16, 0x79, v31
	v_cmp_eq_u32_e32 vcc_lo, 0, v31
	v_or_b32_e32 v18, 0x800000, v17
	s_delay_alu instid0(VALU_DEP_1) | instskip(NEXT) | instid1(VALU_DEP_1)
	v_dual_cndmask_b32 v16, 0, v16, s10 :: v_dual_cndmask_b32 v96, v18, v17, vcc_lo
	v_cndmask_b32_e64 v35, v16, 0x78, vcc_lo
	s_delay_alu instid0(VALU_DEP_1) | instskip(NEXT) | instid1(VALU_DEP_1)
	v_dual_add_nc_u32 v16, 20, v35 :: v_dual_add_nc_u32 v18, 19, v35
	v_lshlrev_b64_e64 v[16:17], v16, -1
	s_delay_alu instid0(VALU_DEP_2) | instskip(NEXT) | instid1(VALU_DEP_2)
	v_lshlrev_b64_e64 v[18:19], v18, 1
	v_bfi_b32 v17, v17, 0, 0
	s_delay_alu instid0(VALU_DEP_3) | instskip(NEXT) | instid1(VALU_DEP_1)
	v_bfi_b32 v16, v16, 0, v96
	v_cmp_eq_u64_e64 s10, v[16:17], v[18:19]
	v_lshrrev_b64 v[16:17], v35, v[96:97]
	s_delay_alu instid0(VALU_DEP_1)
	v_mov_b64_e32 v[18:19], v[16:17]
	s_and_saveexec_b32 s41, s10
; %bb.2713:                             ;   in Loop: Header=BB6_2621 Depth=2
	v_bfe_u32 v96, v16, 20, 1
	s_delay_alu instid0(VALU_DEP_1) | instskip(NEXT) | instid1(VALU_DEP_1)
	v_add_nc_u64_e32 v[18:19], v[16:17], v[96:97]
	v_add_nc_u64_e32 v[18:19], -1, v[18:19]
; %bb.2714:                             ;   in Loop: Header=BB6_2621 Depth=2
	s_or_b32 exec_lo, exec_lo, s41
	v_add_nc_u32_e32 v17, 0xffffff81, v31
	v_lshrrev_b32_e32 v19, 23, v16
	s_mov_b32 s10, exec_lo
	s_delay_alu instid0(VALU_DEP_2) | instskip(NEXT) | instid1(VALU_DEP_1)
	v_cndmask_b32_e64 v17, v17, 0xffffff82, vcc_lo
	v_add3_u32 v31, v35, v17, v19
	v_and_b32_e32 v17, 0xfffff, v18
                                        ; implicit-def: $vgpr18
	s_delay_alu instid0(VALU_DEP_1) | instskip(NEXT) | instid1(VALU_DEP_1)
	v_dual_add_nc_u32 v19, 6, v31 :: v_dual_add_nc_u32 v96, v17, v16
                                        ; implicit-def: $vgpr16_vgpr17
	v_cmpx_ne_u32_e32 0, v19
	s_xor_b32 s10, exec_lo, s10
; %bb.2715:                             ;   in Loop: Header=BB6_2621 Depth=2
	s_delay_alu instid0(VALU_DEP_2) | instskip(SKIP_1) | instid1(VALU_DEP_1)
	v_cmp_lt_u64_e32 vcc_lo, 0xffffff, v[96:97]
	v_add_nc_u32_e32 v16, 7, v31
	v_cndmask_b32_e32 v18, v19, v16, vcc_lo
	v_cndmask_b32_e64 v16, 0, 1, vcc_lo
	s_delay_alu instid0(VALU_DEP_1)
	v_lshrrev_b64 v[16:17], v16, v[96:97]
; %bb.2716:                             ;   in Loop: Header=BB6_2621 Depth=2
	s_and_not1_saveexec_b32 s10, s10
; %bb.2717:                             ;   in Loop: Header=BB6_2621 Depth=2
	v_mov_b64_e32 v[16:17], v[96:97]
	v_bfe_u32 v18, v96, 23, 1
; %bb.2718:                             ;   in Loop: Header=BB6_2621 Depth=2
	s_or_b32 exec_lo, exec_lo, s10
	s_delay_alu instid0(VALU_DEP_2) | instskip(NEXT) | instid1(VALU_DEP_2)
	v_lshrrev_b64 v[16:17], 20, v[16:17]
	v_cmp_gt_i32_e32 vcc_lo, 16, v18
	v_cmp_ne_u32_e64 s10, 0, v18
                                        ; implicit-def: $vgpr35
	s_delay_alu instid0(VALU_DEP_3) | instskip(NEXT) | instid1(VALU_DEP_1)
	v_dual_cndmask_b32 v17, 0, v17 :: v_dual_cndmask_b32 v16, 7, v16
	v_cmp_ne_u64_e32 vcc_lo, 0, v[16:17]
	s_or_b32 s10, s10, vcc_lo
	s_delay_alu instid0(SALU_CYCLE_1) | instskip(NEXT) | instid1(SALU_CYCLE_1)
	s_and_saveexec_b32 s41, s10
	s_xor_b32 s10, exec_lo, s41
; %bb.2719:                             ;   in Loop: Header=BB6_2621 Depth=2
	v_min_i32_e32 v17, 15, v18
	s_delay_alu instid0(VALU_DEP_1) | instskip(NEXT) | instid1(VALU_DEP_1)
	v_lshl_or_b32 v17, v17, 3, v73
                                        ; implicit-def: $vgpr73
	v_and_or_b32 v35, v16, 7, v17
; %bb.2720:                             ;   in Loop: Header=BB6_2621 Depth=2
	s_and_not1_saveexec_b32 s10, s10
; %bb.2721:                             ;   in Loop: Header=BB6_2621 Depth=2
	v_mov_b32_e32 v35, v73
; %bb.2722:                             ;   in Loop: Header=BB6_2621 Depth=2
	s_or_b32 exec_lo, exec_lo, s10
.LBB6_2723:                             ;   in Loop: Header=BB6_2621 Depth=2
	s_delay_alu instid0(SALU_CYCLE_1)
	s_or_b32 exec_lo, exec_lo, s40
                                        ; implicit-def: $vgpr73
.LBB6_2724:                             ;   in Loop: Header=BB6_2621 Depth=2
	s_and_not1_saveexec_b32 s10, s29
; %bb.2725:                             ;   in Loop: Header=BB6_2621 Depth=2
	v_or_b32_e32 v35, 0x7e, v73
; %bb.2726:                             ;   in Loop: Header=BB6_2621 Depth=2
	s_or_b32 exec_lo, exec_lo, s10
                                        ; implicit-def: $vgpr17
.LBB6_2727:                             ;   in Loop: Header=BB6_2621 Depth=2
	s_and_not1_saveexec_b32 s10, s28
; %bb.2728:                             ;   in Loop: Header=BB6_2621 Depth=2
	v_or_b32_e32 v35, 0x7f, v17
; %bb.2729:                             ;   in Loop: Header=BB6_2621 Depth=2
	s_or_b32 exec_lo, exec_lo, s10
	v_and_b32_e32 v18, 0xff, v76
	v_dual_mov_b32 v16, 0 :: v_dual_mov_b32 v17, 0
	s_mov_b32 s10, exec_lo
	s_delay_alu instid0(VALU_DEP_2)
	v_cmpx_ne_u16_e32 0, v18
	s_cbranch_execz .LBB6_2737
; %bb.2730:                             ;   in Loop: Header=BB6_2621 Depth=2
	v_bfrev_b32_e32 v17, 1
	s_mov_b32 s28, exec_lo
	v_cmpx_ne_u16_e32 0x80, v18
	s_cbranch_execz .LBB6_2736
; %bb.2731:                             ;   in Loop: Header=BB6_2621 Depth=2
	v_and_b32_e32 v19, 0x7f, v76
	v_mov_b32_e32 v17, 0x7f800001
	s_mov_b32 s29, exec_lo
	s_delay_alu instid0(VALU_DEP_2)
	v_cmpx_ne_u32_e32 0x7f, v19
	s_cbranch_execz .LBB6_2735
; %bb.2732:                             ;   in Loop: Header=BB6_2621 Depth=2
	v_dual_lshrrev_b32 v17, 3, v19 :: v_dual_bitop2_b32 v96, 7, v18 bitop3:0x40
	s_mov_b32 s40, exec_lo
	v_cmpx_gt_u32_e32 8, v19
; %bb.2733:                             ;   in Loop: Header=BB6_2621 Depth=2
	s_delay_alu instid0(VALU_DEP_2) | instskip(NEXT) | instid1(VALU_DEP_1)
	v_clz_i32_u32_e32 v17, v96
	v_min_u32_e32 v17, 32, v17
	s_delay_alu instid0(VALU_DEP_1) | instskip(NEXT) | instid1(VALU_DEP_1)
	v_subrev_nc_u32_e32 v18, 28, v17
	v_lshlrev_b64_e32 v[18:19], v18, v[96:97]
	s_delay_alu instid0(VALU_DEP_1)
	v_dual_sub_nc_u32 v17, 29, v17 :: v_dual_bitop2_b32 v96, 7, v18 bitop3:0x40
; %bb.2734:                             ;   in Loop: Header=BB6_2621 Depth=2
	s_or_b32 exec_lo, exec_lo, s40
	v_lshlrev_b32_e32 v18, 24, v76
	s_delay_alu instid0(VALU_DEP_2) | instskip(NEXT) | instid1(VALU_DEP_3)
	v_lshlrev_b32_e32 v19, 20, v96
	v_lshl_add_u32 v17, v17, 23, 0x3c000000
	s_delay_alu instid0(VALU_DEP_3) | instskip(NEXT) | instid1(VALU_DEP_1)
	v_and_b32_e32 v18, 0x80000000, v18
	v_or3_b32 v17, v19, v18, v17
.LBB6_2735:                             ;   in Loop: Header=BB6_2621 Depth=2
	s_or_b32 exec_lo, exec_lo, s29
.LBB6_2736:                             ;   in Loop: Header=BB6_2621 Depth=2
	s_delay_alu instid0(SALU_CYCLE_1)
	s_or_b32 exec_lo, exec_lo, s28
.LBB6_2737:                             ;   in Loop: Header=BB6_2621 Depth=2
	s_delay_alu instid0(SALU_CYCLE_1) | instskip(SKIP_3) | instid1(VALU_DEP_1)
	s_or_b32 exec_lo, exec_lo, s10
	s_wait_loadcnt_dscnt 0x1c1c
	v_and_b32_e32 v18, 0xff, v38
	s_mov_b32 s10, exec_lo
	v_cmpx_ne_u16_e32 0, v18
	s_cbranch_execz .LBB6_2745
; %bb.2738:                             ;   in Loop: Header=BB6_2621 Depth=2
	v_bfrev_b32_e32 v16, 1
	s_mov_b32 s28, exec_lo
	v_cmpx_ne_u16_e32 0x80, v18
	s_cbranch_execz .LBB6_2744
; %bb.2739:                             ;   in Loop: Header=BB6_2621 Depth=2
	v_and_b32_e32 v19, 0x7f, v38
	v_mov_b32_e32 v16, 0x7f800001
	s_mov_b32 s29, exec_lo
	s_delay_alu instid0(VALU_DEP_2)
	v_cmpx_ne_u32_e32 0x7f, v19
	s_cbranch_execz .LBB6_2743
; %bb.2740:                             ;   in Loop: Header=BB6_2621 Depth=2
	v_dual_lshrrev_b32 v16, 3, v19 :: v_dual_bitop2_b32 v96, 7, v18 bitop3:0x40
	s_mov_b32 s40, exec_lo
	v_cmpx_gt_u32_e32 8, v19
; %bb.2741:                             ;   in Loop: Header=BB6_2621 Depth=2
	s_delay_alu instid0(VALU_DEP_2) | instskip(NEXT) | instid1(VALU_DEP_1)
	v_clz_i32_u32_e32 v16, v96
	v_min_u32_e32 v16, 32, v16
	s_delay_alu instid0(VALU_DEP_1) | instskip(NEXT) | instid1(VALU_DEP_1)
	v_subrev_nc_u32_e32 v18, 28, v16
	v_lshlrev_b64_e32 v[18:19], v18, v[96:97]
	s_delay_alu instid0(VALU_DEP_1)
	v_dual_sub_nc_u32 v16, 29, v16 :: v_dual_bitop2_b32 v96, 7, v18 bitop3:0x40
; %bb.2742:                             ;   in Loop: Header=BB6_2621 Depth=2
	s_or_b32 exec_lo, exec_lo, s40
	s_delay_alu instid0(VALU_DEP_1) | instskip(NEXT) | instid1(VALU_DEP_2)
	v_dual_lshlrev_b32 v18, 24, v38 :: v_dual_lshlrev_b32 v19, 20, v96
	v_lshl_add_u32 v16, v16, 23, 0x3c000000
	s_delay_alu instid0(VALU_DEP_2) | instskip(NEXT) | instid1(VALU_DEP_1)
	v_and_b32_e32 v18, 0x80000000, v18
	v_or3_b32 v16, v19, v18, v16
.LBB6_2743:                             ;   in Loop: Header=BB6_2621 Depth=2
	s_or_b32 exec_lo, exec_lo, s29
.LBB6_2744:                             ;   in Loop: Header=BB6_2621 Depth=2
	s_delay_alu instid0(SALU_CYCLE_1)
	s_or_b32 exec_lo, exec_lo, s28
.LBB6_2745:                             ;   in Loop: Header=BB6_2621 Depth=2
	s_delay_alu instid0(SALU_CYCLE_1) | instskip(NEXT) | instid1(VALU_DEP_1)
	s_or_b32 exec_lo, exec_lo, s10
	v_mul_f32_e32 v16, v17, v16
                                        ; implicit-def: $vgpr38
	s_mov_b32 s10, exec_lo
	s_delay_alu instid0(VALU_DEP_1) | instskip(SKIP_1) | instid1(VALU_DEP_2)
	v_and_b32_e32 v96, 0x7f800000, v16
	v_lshrrev_b32_e32 v17, 24, v16
	v_cmpx_ne_u64_e32 0x7f800000, v[96:97]
	s_xor_b32 s28, exec_lo, s10
	s_cbranch_execz .LBB6_2763
; %bb.2746:                             ;   in Loop: Header=BB6_2621 Depth=2
	v_and_b32_e32 v96, 0x7fffffff, v16
	v_and_b32_e32 v73, 0x80, v17
                                        ; implicit-def: $vgpr38
	s_mov_b32 s10, exec_lo
	s_delay_alu instid0(VALU_DEP_2)
	v_cmpx_gt_u64_e32 0x43e00001, v[96:97]
	s_xor_b32 s29, exec_lo, s10
	s_cbranch_execz .LBB6_2760
; %bb.2747:                             ;   in Loop: Header=BB6_2621 Depth=2
	v_mov_b32_e32 v38, 0
	s_mov_b32 s40, exec_lo
	v_cmpx_ne_u32_e32 0, v16
	s_cbranch_execz .LBB6_2759
; %bb.2748:                             ;   in Loop: Header=BB6_2621 Depth=2
	v_bfe_u32 v31, v16, 23, 8
	v_and_b32_e32 v17, 0x7fffff, v16
	s_delay_alu instid0(VALU_DEP_2) | instskip(SKIP_2) | instid1(VALU_DEP_4)
	v_cmp_gt_u32_e64 s10, 0x7a, v31
	v_sub_nc_u32_e32 v16, 0x79, v31
	v_cmp_eq_u32_e32 vcc_lo, 0, v31
	v_or_b32_e32 v18, 0x800000, v17
	s_delay_alu instid0(VALU_DEP_1) | instskip(NEXT) | instid1(VALU_DEP_1)
	v_dual_cndmask_b32 v16, 0, v16, s10 :: v_dual_cndmask_b32 v96, v18, v17, vcc_lo
	v_cndmask_b32_e64 v38, v16, 0x78, vcc_lo
	s_delay_alu instid0(VALU_DEP_1) | instskip(NEXT) | instid1(VALU_DEP_1)
	v_dual_add_nc_u32 v16, 20, v38 :: v_dual_add_nc_u32 v18, 19, v38
	v_lshlrev_b64_e64 v[16:17], v16, -1
	s_delay_alu instid0(VALU_DEP_2) | instskip(NEXT) | instid1(VALU_DEP_2)
	v_lshlrev_b64_e64 v[18:19], v18, 1
	v_bfi_b32 v17, v17, 0, 0
	s_delay_alu instid0(VALU_DEP_3) | instskip(NEXT) | instid1(VALU_DEP_1)
	v_bfi_b32 v16, v16, 0, v96
	v_cmp_eq_u64_e64 s10, v[16:17], v[18:19]
	v_lshrrev_b64 v[16:17], v38, v[96:97]
	s_delay_alu instid0(VALU_DEP_1)
	v_mov_b64_e32 v[18:19], v[16:17]
	s_and_saveexec_b32 s41, s10
; %bb.2749:                             ;   in Loop: Header=BB6_2621 Depth=2
	v_bfe_u32 v96, v16, 20, 1
	s_delay_alu instid0(VALU_DEP_1) | instskip(NEXT) | instid1(VALU_DEP_1)
	v_add_nc_u64_e32 v[18:19], v[16:17], v[96:97]
	v_add_nc_u64_e32 v[18:19], -1, v[18:19]
; %bb.2750:                             ;   in Loop: Header=BB6_2621 Depth=2
	s_or_b32 exec_lo, exec_lo, s41
	v_add_nc_u32_e32 v17, 0xffffff81, v31
	v_lshrrev_b32_e32 v19, 23, v16
	s_mov_b32 s10, exec_lo
	s_delay_alu instid0(VALU_DEP_2) | instskip(NEXT) | instid1(VALU_DEP_1)
	v_cndmask_b32_e64 v17, v17, 0xffffff82, vcc_lo
	v_add3_u32 v31, v38, v17, v19
	v_and_b32_e32 v17, 0xfffff, v18
                                        ; implicit-def: $vgpr18
	s_delay_alu instid0(VALU_DEP_1) | instskip(NEXT) | instid1(VALU_DEP_1)
	v_dual_add_nc_u32 v19, 6, v31 :: v_dual_add_nc_u32 v96, v17, v16
                                        ; implicit-def: $vgpr16_vgpr17
	v_cmpx_ne_u32_e32 0, v19
	s_xor_b32 s10, exec_lo, s10
; %bb.2751:                             ;   in Loop: Header=BB6_2621 Depth=2
	s_delay_alu instid0(VALU_DEP_2) | instskip(SKIP_1) | instid1(VALU_DEP_1)
	v_cmp_lt_u64_e32 vcc_lo, 0xffffff, v[96:97]
	v_add_nc_u32_e32 v16, 7, v31
	v_cndmask_b32_e32 v18, v19, v16, vcc_lo
	v_cndmask_b32_e64 v16, 0, 1, vcc_lo
	s_delay_alu instid0(VALU_DEP_1)
	v_lshrrev_b64 v[16:17], v16, v[96:97]
; %bb.2752:                             ;   in Loop: Header=BB6_2621 Depth=2
	s_and_not1_saveexec_b32 s10, s10
; %bb.2753:                             ;   in Loop: Header=BB6_2621 Depth=2
	v_mov_b64_e32 v[16:17], v[96:97]
	v_bfe_u32 v18, v96, 23, 1
; %bb.2754:                             ;   in Loop: Header=BB6_2621 Depth=2
	s_or_b32 exec_lo, exec_lo, s10
	s_delay_alu instid0(VALU_DEP_2) | instskip(NEXT) | instid1(VALU_DEP_2)
	v_lshrrev_b64 v[16:17], 20, v[16:17]
	v_cmp_gt_i32_e32 vcc_lo, 16, v18
	v_cmp_ne_u32_e64 s10, 0, v18
                                        ; implicit-def: $vgpr38
	s_delay_alu instid0(VALU_DEP_3) | instskip(NEXT) | instid1(VALU_DEP_1)
	v_dual_cndmask_b32 v17, 0, v17 :: v_dual_cndmask_b32 v16, 7, v16
	v_cmp_ne_u64_e32 vcc_lo, 0, v[16:17]
	s_or_b32 s10, s10, vcc_lo
	s_delay_alu instid0(SALU_CYCLE_1) | instskip(NEXT) | instid1(SALU_CYCLE_1)
	s_and_saveexec_b32 s41, s10
	s_xor_b32 s10, exec_lo, s41
; %bb.2755:                             ;   in Loop: Header=BB6_2621 Depth=2
	v_min_i32_e32 v17, 15, v18
	s_delay_alu instid0(VALU_DEP_1) | instskip(NEXT) | instid1(VALU_DEP_1)
	v_lshl_or_b32 v17, v17, 3, v73
                                        ; implicit-def: $vgpr73
	v_and_or_b32 v38, v16, 7, v17
; %bb.2756:                             ;   in Loop: Header=BB6_2621 Depth=2
	s_and_not1_saveexec_b32 s10, s10
; %bb.2757:                             ;   in Loop: Header=BB6_2621 Depth=2
	v_mov_b32_e32 v38, v73
; %bb.2758:                             ;   in Loop: Header=BB6_2621 Depth=2
	s_or_b32 exec_lo, exec_lo, s10
.LBB6_2759:                             ;   in Loop: Header=BB6_2621 Depth=2
	s_delay_alu instid0(SALU_CYCLE_1)
	s_or_b32 exec_lo, exec_lo, s40
                                        ; implicit-def: $vgpr73
.LBB6_2760:                             ;   in Loop: Header=BB6_2621 Depth=2
	s_and_not1_saveexec_b32 s10, s29
; %bb.2761:                             ;   in Loop: Header=BB6_2621 Depth=2
	v_or_b32_e32 v38, 0x7e, v73
; %bb.2762:                             ;   in Loop: Header=BB6_2621 Depth=2
	s_or_b32 exec_lo, exec_lo, s10
                                        ; implicit-def: $vgpr17
.LBB6_2763:                             ;   in Loop: Header=BB6_2621 Depth=2
	s_and_not1_saveexec_b32 s10, s28
; %bb.2764:                             ;   in Loop: Header=BB6_2621 Depth=2
	v_or_b32_e32 v38, 0x7f, v17
; %bb.2765:                             ;   in Loop: Header=BB6_2621 Depth=2
	s_or_b32 exec_lo, exec_lo, s10
	v_and_b32_e32 v18, 0xff, v72
	v_dual_mov_b32 v16, 0 :: v_dual_mov_b32 v17, 0
	s_mov_b32 s10, exec_lo
	s_delay_alu instid0(VALU_DEP_2)
	v_cmpx_ne_u16_e32 0, v18
	s_cbranch_execz .LBB6_2773
; %bb.2766:                             ;   in Loop: Header=BB6_2621 Depth=2
	v_bfrev_b32_e32 v17, 1
	s_mov_b32 s28, exec_lo
	v_cmpx_ne_u16_e32 0x80, v18
	s_cbranch_execz .LBB6_2772
; %bb.2767:                             ;   in Loop: Header=BB6_2621 Depth=2
	v_and_b32_e32 v19, 0x7f, v72
	v_mov_b32_e32 v17, 0x7f800001
	s_mov_b32 s29, exec_lo
	s_delay_alu instid0(VALU_DEP_2)
	v_cmpx_ne_u32_e32 0x7f, v19
	s_cbranch_execz .LBB6_2771
; %bb.2768:                             ;   in Loop: Header=BB6_2621 Depth=2
	v_dual_lshrrev_b32 v17, 3, v19 :: v_dual_bitop2_b32 v96, 7, v18 bitop3:0x40
	s_mov_b32 s40, exec_lo
	v_cmpx_gt_u32_e32 8, v19
; %bb.2769:                             ;   in Loop: Header=BB6_2621 Depth=2
	s_delay_alu instid0(VALU_DEP_2) | instskip(NEXT) | instid1(VALU_DEP_1)
	v_clz_i32_u32_e32 v17, v96
	v_min_u32_e32 v17, 32, v17
	s_delay_alu instid0(VALU_DEP_1) | instskip(NEXT) | instid1(VALU_DEP_1)
	v_subrev_nc_u32_e32 v18, 28, v17
	v_lshlrev_b64_e32 v[18:19], v18, v[96:97]
	s_delay_alu instid0(VALU_DEP_1)
	v_dual_sub_nc_u32 v17, 29, v17 :: v_dual_bitop2_b32 v96, 7, v18 bitop3:0x40
; %bb.2770:                             ;   in Loop: Header=BB6_2621 Depth=2
	s_or_b32 exec_lo, exec_lo, s40
	v_lshlrev_b32_e32 v18, 24, v72
	s_delay_alu instid0(VALU_DEP_2) | instskip(NEXT) | instid1(VALU_DEP_3)
	v_lshlrev_b32_e32 v19, 20, v96
	v_lshl_add_u32 v17, v17, 23, 0x3c000000
	s_delay_alu instid0(VALU_DEP_3) | instskip(NEXT) | instid1(VALU_DEP_1)
	v_and_b32_e32 v18, 0x80000000, v18
	v_or3_b32 v17, v19, v18, v17
.LBB6_2771:                             ;   in Loop: Header=BB6_2621 Depth=2
	s_or_b32 exec_lo, exec_lo, s29
.LBB6_2772:                             ;   in Loop: Header=BB6_2621 Depth=2
	s_delay_alu instid0(SALU_CYCLE_1)
	s_or_b32 exec_lo, exec_lo, s28
.LBB6_2773:                             ;   in Loop: Header=BB6_2621 Depth=2
	s_delay_alu instid0(SALU_CYCLE_1) | instskip(SKIP_3) | instid1(VALU_DEP_1)
	s_or_b32 exec_lo, exec_lo, s10
	s_wait_loadcnt_dscnt 0x1b1b
	v_and_b32_e32 v18, 0xff, v49
	s_mov_b32 s10, exec_lo
	v_cmpx_ne_u16_e32 0, v18
	s_cbranch_execz .LBB6_2781
; %bb.2774:                             ;   in Loop: Header=BB6_2621 Depth=2
	v_bfrev_b32_e32 v16, 1
	s_mov_b32 s28, exec_lo
	v_cmpx_ne_u16_e32 0x80, v18
	s_cbranch_execz .LBB6_2780
; %bb.2775:                             ;   in Loop: Header=BB6_2621 Depth=2
	v_and_b32_e32 v19, 0x7f, v49
	v_mov_b32_e32 v16, 0x7f800001
	s_mov_b32 s29, exec_lo
	s_delay_alu instid0(VALU_DEP_2)
	v_cmpx_ne_u32_e32 0x7f, v19
	s_cbranch_execz .LBB6_2779
; %bb.2776:                             ;   in Loop: Header=BB6_2621 Depth=2
	v_dual_lshrrev_b32 v16, 3, v19 :: v_dual_bitop2_b32 v96, 7, v18 bitop3:0x40
	s_mov_b32 s40, exec_lo
	v_cmpx_gt_u32_e32 8, v19
; %bb.2777:                             ;   in Loop: Header=BB6_2621 Depth=2
	s_delay_alu instid0(VALU_DEP_2) | instskip(NEXT) | instid1(VALU_DEP_1)
	v_clz_i32_u32_e32 v16, v96
	v_min_u32_e32 v16, 32, v16
	s_delay_alu instid0(VALU_DEP_1) | instskip(NEXT) | instid1(VALU_DEP_1)
	v_subrev_nc_u32_e32 v18, 28, v16
	v_lshlrev_b64_e32 v[18:19], v18, v[96:97]
	s_delay_alu instid0(VALU_DEP_1)
	v_dual_sub_nc_u32 v16, 29, v16 :: v_dual_bitop2_b32 v96, 7, v18 bitop3:0x40
; %bb.2778:                             ;   in Loop: Header=BB6_2621 Depth=2
	s_or_b32 exec_lo, exec_lo, s40
	s_delay_alu instid0(VALU_DEP_1) | instskip(NEXT) | instid1(VALU_DEP_2)
	v_dual_lshlrev_b32 v18, 24, v49 :: v_dual_lshlrev_b32 v19, 20, v96
	v_lshl_add_u32 v16, v16, 23, 0x3c000000
	s_delay_alu instid0(VALU_DEP_2) | instskip(NEXT) | instid1(VALU_DEP_1)
	v_and_b32_e32 v18, 0x80000000, v18
	v_or3_b32 v16, v19, v18, v16
.LBB6_2779:                             ;   in Loop: Header=BB6_2621 Depth=2
	s_or_b32 exec_lo, exec_lo, s29
.LBB6_2780:                             ;   in Loop: Header=BB6_2621 Depth=2
	s_delay_alu instid0(SALU_CYCLE_1)
	s_or_b32 exec_lo, exec_lo, s28
.LBB6_2781:                             ;   in Loop: Header=BB6_2621 Depth=2
	s_delay_alu instid0(SALU_CYCLE_1) | instskip(NEXT) | instid1(VALU_DEP_1)
	s_or_b32 exec_lo, exec_lo, s10
	v_mul_f32_e32 v16, v17, v16
                                        ; implicit-def: $vgpr49
	s_mov_b32 s10, exec_lo
	s_delay_alu instid0(VALU_DEP_1) | instskip(SKIP_1) | instid1(VALU_DEP_2)
	v_and_b32_e32 v96, 0x7f800000, v16
	v_lshrrev_b32_e32 v17, 24, v16
	v_cmpx_ne_u64_e32 0x7f800000, v[96:97]
	s_xor_b32 s28, exec_lo, s10
	s_cbranch_execz .LBB6_2799
; %bb.2782:                             ;   in Loop: Header=BB6_2621 Depth=2
	v_and_b32_e32 v96, 0x7fffffff, v16
	v_and_b32_e32 v72, 0x80, v17
                                        ; implicit-def: $vgpr49
	s_mov_b32 s10, exec_lo
	s_delay_alu instid0(VALU_DEP_2)
	v_cmpx_gt_u64_e32 0x43e00001, v[96:97]
	s_xor_b32 s29, exec_lo, s10
	s_cbranch_execz .LBB6_2796
; %bb.2783:                             ;   in Loop: Header=BB6_2621 Depth=2
	v_mov_b32_e32 v49, 0
	s_mov_b32 s40, exec_lo
	v_cmpx_ne_u32_e32 0, v16
	s_cbranch_execz .LBB6_2795
; %bb.2784:                             ;   in Loop: Header=BB6_2621 Depth=2
	v_bfe_u32 v31, v16, 23, 8
	v_and_b32_e32 v17, 0x7fffff, v16
	s_delay_alu instid0(VALU_DEP_2) | instskip(SKIP_2) | instid1(VALU_DEP_4)
	v_cmp_gt_u32_e64 s10, 0x7a, v31
	v_sub_nc_u32_e32 v16, 0x79, v31
	v_cmp_eq_u32_e32 vcc_lo, 0, v31
	v_or_b32_e32 v18, 0x800000, v17
	s_delay_alu instid0(VALU_DEP_1) | instskip(NEXT) | instid1(VALU_DEP_1)
	v_dual_cndmask_b32 v16, 0, v16, s10 :: v_dual_cndmask_b32 v96, v18, v17, vcc_lo
	v_cndmask_b32_e64 v49, v16, 0x78, vcc_lo
	s_delay_alu instid0(VALU_DEP_1) | instskip(NEXT) | instid1(VALU_DEP_1)
	v_dual_add_nc_u32 v16, 20, v49 :: v_dual_add_nc_u32 v18, 19, v49
	v_lshlrev_b64_e64 v[16:17], v16, -1
	s_delay_alu instid0(VALU_DEP_2) | instskip(NEXT) | instid1(VALU_DEP_2)
	v_lshlrev_b64_e64 v[18:19], v18, 1
	v_bfi_b32 v17, v17, 0, 0
	s_delay_alu instid0(VALU_DEP_3) | instskip(NEXT) | instid1(VALU_DEP_1)
	v_bfi_b32 v16, v16, 0, v96
	v_cmp_eq_u64_e64 s10, v[16:17], v[18:19]
	v_lshrrev_b64 v[16:17], v49, v[96:97]
	s_delay_alu instid0(VALU_DEP_1)
	v_mov_b64_e32 v[18:19], v[16:17]
	s_and_saveexec_b32 s41, s10
; %bb.2785:                             ;   in Loop: Header=BB6_2621 Depth=2
	v_bfe_u32 v96, v16, 20, 1
	s_delay_alu instid0(VALU_DEP_1) | instskip(NEXT) | instid1(VALU_DEP_1)
	v_add_nc_u64_e32 v[18:19], v[16:17], v[96:97]
	v_add_nc_u64_e32 v[18:19], -1, v[18:19]
; %bb.2786:                             ;   in Loop: Header=BB6_2621 Depth=2
	s_or_b32 exec_lo, exec_lo, s41
	v_add_nc_u32_e32 v17, 0xffffff81, v31
	v_lshrrev_b32_e32 v19, 23, v16
	s_mov_b32 s10, exec_lo
	s_delay_alu instid0(VALU_DEP_2) | instskip(NEXT) | instid1(VALU_DEP_1)
	v_cndmask_b32_e64 v17, v17, 0xffffff82, vcc_lo
	v_add3_u32 v31, v49, v17, v19
	v_and_b32_e32 v17, 0xfffff, v18
                                        ; implicit-def: $vgpr18
	s_delay_alu instid0(VALU_DEP_1) | instskip(NEXT) | instid1(VALU_DEP_1)
	v_dual_add_nc_u32 v19, 6, v31 :: v_dual_add_nc_u32 v96, v17, v16
                                        ; implicit-def: $vgpr16_vgpr17
	v_cmpx_ne_u32_e32 0, v19
	s_xor_b32 s10, exec_lo, s10
; %bb.2787:                             ;   in Loop: Header=BB6_2621 Depth=2
	s_delay_alu instid0(VALU_DEP_2) | instskip(SKIP_1) | instid1(VALU_DEP_1)
	v_cmp_lt_u64_e32 vcc_lo, 0xffffff, v[96:97]
	v_add_nc_u32_e32 v16, 7, v31
	v_cndmask_b32_e32 v18, v19, v16, vcc_lo
	v_cndmask_b32_e64 v16, 0, 1, vcc_lo
	s_delay_alu instid0(VALU_DEP_1)
	v_lshrrev_b64 v[16:17], v16, v[96:97]
; %bb.2788:                             ;   in Loop: Header=BB6_2621 Depth=2
	s_and_not1_saveexec_b32 s10, s10
; %bb.2789:                             ;   in Loop: Header=BB6_2621 Depth=2
	v_mov_b64_e32 v[16:17], v[96:97]
	v_bfe_u32 v18, v96, 23, 1
; %bb.2790:                             ;   in Loop: Header=BB6_2621 Depth=2
	s_or_b32 exec_lo, exec_lo, s10
	s_delay_alu instid0(VALU_DEP_2) | instskip(NEXT) | instid1(VALU_DEP_2)
	v_lshrrev_b64 v[16:17], 20, v[16:17]
	v_cmp_gt_i32_e32 vcc_lo, 16, v18
	v_cmp_ne_u32_e64 s10, 0, v18
                                        ; implicit-def: $vgpr49
	s_delay_alu instid0(VALU_DEP_3) | instskip(NEXT) | instid1(VALU_DEP_1)
	v_dual_cndmask_b32 v17, 0, v17 :: v_dual_cndmask_b32 v16, 7, v16
	v_cmp_ne_u64_e32 vcc_lo, 0, v[16:17]
	s_or_b32 s10, s10, vcc_lo
	s_delay_alu instid0(SALU_CYCLE_1) | instskip(NEXT) | instid1(SALU_CYCLE_1)
	s_and_saveexec_b32 s41, s10
	s_xor_b32 s10, exec_lo, s41
; %bb.2791:                             ;   in Loop: Header=BB6_2621 Depth=2
	v_min_i32_e32 v17, 15, v18
	s_delay_alu instid0(VALU_DEP_1) | instskip(NEXT) | instid1(VALU_DEP_1)
	v_lshl_or_b32 v17, v17, 3, v72
                                        ; implicit-def: $vgpr72
	v_and_or_b32 v49, v16, 7, v17
; %bb.2792:                             ;   in Loop: Header=BB6_2621 Depth=2
	s_and_not1_saveexec_b32 s10, s10
; %bb.2793:                             ;   in Loop: Header=BB6_2621 Depth=2
	v_mov_b32_e32 v49, v72
; %bb.2794:                             ;   in Loop: Header=BB6_2621 Depth=2
	s_or_b32 exec_lo, exec_lo, s10
.LBB6_2795:                             ;   in Loop: Header=BB6_2621 Depth=2
	s_delay_alu instid0(SALU_CYCLE_1)
	s_or_b32 exec_lo, exec_lo, s40
                                        ; implicit-def: $vgpr72
.LBB6_2796:                             ;   in Loop: Header=BB6_2621 Depth=2
	s_and_not1_saveexec_b32 s10, s29
; %bb.2797:                             ;   in Loop: Header=BB6_2621 Depth=2
	v_or_b32_e32 v49, 0x7e, v72
; %bb.2798:                             ;   in Loop: Header=BB6_2621 Depth=2
	s_or_b32 exec_lo, exec_lo, s10
                                        ; implicit-def: $vgpr17
.LBB6_2799:                             ;   in Loop: Header=BB6_2621 Depth=2
	s_and_not1_saveexec_b32 s10, s28
; %bb.2800:                             ;   in Loop: Header=BB6_2621 Depth=2
	v_or_b32_e32 v49, 0x7f, v17
; %bb.2801:                             ;   in Loop: Header=BB6_2621 Depth=2
	s_or_b32 exec_lo, exec_lo, s10
	v_and_b32_e32 v18, 0xff, v123
	v_dual_mov_b32 v16, 0 :: v_dual_mov_b32 v17, 0
	s_mov_b32 s10, exec_lo
	s_delay_alu instid0(VALU_DEP_2)
	v_cmpx_ne_u16_e32 0, v18
	s_cbranch_execz .LBB6_2809
; %bb.2802:                             ;   in Loop: Header=BB6_2621 Depth=2
	v_bfrev_b32_e32 v17, 1
	s_mov_b32 s28, exec_lo
	v_cmpx_ne_u16_e32 0x80, v18
	s_cbranch_execz .LBB6_2808
; %bb.2803:                             ;   in Loop: Header=BB6_2621 Depth=2
	v_and_b32_e32 v19, 0x7f, v123
	v_mov_b32_e32 v17, 0x7f800001
	s_mov_b32 s29, exec_lo
	s_delay_alu instid0(VALU_DEP_2)
	v_cmpx_ne_u32_e32 0x7f, v19
	s_cbranch_execz .LBB6_2807
; %bb.2804:                             ;   in Loop: Header=BB6_2621 Depth=2
	v_dual_lshrrev_b32 v17, 3, v19 :: v_dual_bitop2_b32 v96, 7, v18 bitop3:0x40
	s_mov_b32 s40, exec_lo
	v_cmpx_gt_u32_e32 8, v19
; %bb.2805:                             ;   in Loop: Header=BB6_2621 Depth=2
	s_delay_alu instid0(VALU_DEP_2) | instskip(NEXT) | instid1(VALU_DEP_1)
	v_clz_i32_u32_e32 v17, v96
	v_min_u32_e32 v17, 32, v17
	s_delay_alu instid0(VALU_DEP_1) | instskip(NEXT) | instid1(VALU_DEP_1)
	v_subrev_nc_u32_e32 v18, 28, v17
	v_lshlrev_b64_e32 v[18:19], v18, v[96:97]
	s_delay_alu instid0(VALU_DEP_1)
	v_dual_sub_nc_u32 v17, 29, v17 :: v_dual_bitop2_b32 v96, 7, v18 bitop3:0x40
; %bb.2806:                             ;   in Loop: Header=BB6_2621 Depth=2
	s_or_b32 exec_lo, exec_lo, s40
	s_delay_alu instid0(VALU_DEP_1) | instskip(NEXT) | instid1(VALU_DEP_2)
	v_dual_lshlrev_b32 v18, 24, v123 :: v_dual_lshlrev_b32 v19, 20, v96
	v_lshl_add_u32 v17, v17, 23, 0x3c000000
	s_delay_alu instid0(VALU_DEP_2) | instskip(NEXT) | instid1(VALU_DEP_1)
	v_and_b32_e32 v18, 0x80000000, v18
	v_or3_b32 v17, v19, v18, v17
.LBB6_2807:                             ;   in Loop: Header=BB6_2621 Depth=2
	s_or_b32 exec_lo, exec_lo, s29
.LBB6_2808:                             ;   in Loop: Header=BB6_2621 Depth=2
	s_delay_alu instid0(SALU_CYCLE_1)
	s_or_b32 exec_lo, exec_lo, s28
.LBB6_2809:                             ;   in Loop: Header=BB6_2621 Depth=2
	s_delay_alu instid0(SALU_CYCLE_1) | instskip(SKIP_3) | instid1(VALU_DEP_1)
	s_or_b32 exec_lo, exec_lo, s10
	s_wait_loadcnt_dscnt 0x1a1a
	v_and_b32_e32 v18, 0xff, v42
	s_mov_b32 s10, exec_lo
	v_cmpx_ne_u16_e32 0, v18
	s_cbranch_execz .LBB6_2817
; %bb.2810:                             ;   in Loop: Header=BB6_2621 Depth=2
	v_bfrev_b32_e32 v16, 1
	s_mov_b32 s28, exec_lo
	v_cmpx_ne_u16_e32 0x80, v18
	s_cbranch_execz .LBB6_2816
; %bb.2811:                             ;   in Loop: Header=BB6_2621 Depth=2
	v_and_b32_e32 v19, 0x7f, v42
	v_mov_b32_e32 v16, 0x7f800001
	s_mov_b32 s29, exec_lo
	s_delay_alu instid0(VALU_DEP_2)
	v_cmpx_ne_u32_e32 0x7f, v19
	s_cbranch_execz .LBB6_2815
; %bb.2812:                             ;   in Loop: Header=BB6_2621 Depth=2
	v_dual_lshrrev_b32 v16, 3, v19 :: v_dual_bitop2_b32 v96, 7, v18 bitop3:0x40
	s_mov_b32 s40, exec_lo
	v_cmpx_gt_u32_e32 8, v19
; %bb.2813:                             ;   in Loop: Header=BB6_2621 Depth=2
	s_delay_alu instid0(VALU_DEP_2) | instskip(NEXT) | instid1(VALU_DEP_1)
	v_clz_i32_u32_e32 v16, v96
	v_min_u32_e32 v16, 32, v16
	s_delay_alu instid0(VALU_DEP_1) | instskip(NEXT) | instid1(VALU_DEP_1)
	v_subrev_nc_u32_e32 v18, 28, v16
	v_lshlrev_b64_e32 v[18:19], v18, v[96:97]
	s_delay_alu instid0(VALU_DEP_1)
	v_dual_sub_nc_u32 v16, 29, v16 :: v_dual_bitop2_b32 v96, 7, v18 bitop3:0x40
; %bb.2814:                             ;   in Loop: Header=BB6_2621 Depth=2
	s_or_b32 exec_lo, exec_lo, s40
	s_delay_alu instid0(VALU_DEP_1) | instskip(NEXT) | instid1(VALU_DEP_2)
	v_dual_lshlrev_b32 v18, 24, v42 :: v_dual_lshlrev_b32 v19, 20, v96
	v_lshl_add_u32 v16, v16, 23, 0x3c000000
	s_delay_alu instid0(VALU_DEP_2) | instskip(NEXT) | instid1(VALU_DEP_1)
	v_and_b32_e32 v18, 0x80000000, v18
	v_or3_b32 v16, v19, v18, v16
.LBB6_2815:                             ;   in Loop: Header=BB6_2621 Depth=2
	s_or_b32 exec_lo, exec_lo, s29
.LBB6_2816:                             ;   in Loop: Header=BB6_2621 Depth=2
	s_delay_alu instid0(SALU_CYCLE_1)
	s_or_b32 exec_lo, exec_lo, s28
.LBB6_2817:                             ;   in Loop: Header=BB6_2621 Depth=2
	s_delay_alu instid0(SALU_CYCLE_1) | instskip(NEXT) | instid1(VALU_DEP_1)
	s_or_b32 exec_lo, exec_lo, s10
	v_mul_f32_e32 v16, v17, v16
                                        ; implicit-def: $vgpr42
	s_mov_b32 s10, exec_lo
	s_delay_alu instid0(VALU_DEP_1) | instskip(SKIP_1) | instid1(VALU_DEP_2)
	v_and_b32_e32 v96, 0x7f800000, v16
	v_lshrrev_b32_e32 v17, 24, v16
	v_cmpx_ne_u64_e32 0x7f800000, v[96:97]
	s_xor_b32 s28, exec_lo, s10
	s_cbranch_execz .LBB6_2835
; %bb.2818:                             ;   in Loop: Header=BB6_2621 Depth=2
	v_and_b32_e32 v96, 0x7fffffff, v16
	v_and_b32_e32 v72, 0x80, v17
                                        ; implicit-def: $vgpr42
	s_mov_b32 s10, exec_lo
	s_delay_alu instid0(VALU_DEP_2)
	v_cmpx_gt_u64_e32 0x43e00001, v[96:97]
	s_xor_b32 s29, exec_lo, s10
	s_cbranch_execz .LBB6_2832
; %bb.2819:                             ;   in Loop: Header=BB6_2621 Depth=2
	v_mov_b32_e32 v42, 0
	s_mov_b32 s40, exec_lo
	v_cmpx_ne_u32_e32 0, v16
	s_cbranch_execz .LBB6_2831
; %bb.2820:                             ;   in Loop: Header=BB6_2621 Depth=2
	v_bfe_u32 v31, v16, 23, 8
	v_and_b32_e32 v17, 0x7fffff, v16
	s_delay_alu instid0(VALU_DEP_2) | instskip(SKIP_2) | instid1(VALU_DEP_4)
	v_cmp_gt_u32_e64 s10, 0x7a, v31
	v_sub_nc_u32_e32 v16, 0x79, v31
	v_cmp_eq_u32_e32 vcc_lo, 0, v31
	v_or_b32_e32 v18, 0x800000, v17
	s_delay_alu instid0(VALU_DEP_1) | instskip(NEXT) | instid1(VALU_DEP_1)
	v_dual_cndmask_b32 v16, 0, v16, s10 :: v_dual_cndmask_b32 v96, v18, v17, vcc_lo
	v_cndmask_b32_e64 v54, v16, 0x78, vcc_lo
	s_delay_alu instid0(VALU_DEP_1) | instskip(NEXT) | instid1(VALU_DEP_1)
	v_dual_add_nc_u32 v16, 20, v54 :: v_dual_add_nc_u32 v18, 19, v54
	v_lshlrev_b64_e64 v[16:17], v16, -1
	s_delay_alu instid0(VALU_DEP_2) | instskip(NEXT) | instid1(VALU_DEP_2)
	v_lshlrev_b64_e64 v[18:19], v18, 1
	v_bfi_b32 v17, v17, 0, 0
	s_delay_alu instid0(VALU_DEP_3) | instskip(NEXT) | instid1(VALU_DEP_1)
	v_bfi_b32 v16, v16, 0, v96
	v_cmp_eq_u64_e64 s10, v[16:17], v[18:19]
	v_lshrrev_b64 v[16:17], v54, v[96:97]
	s_delay_alu instid0(VALU_DEP_1)
	v_mov_b64_e32 v[18:19], v[16:17]
	s_and_saveexec_b32 s41, s10
; %bb.2821:                             ;   in Loop: Header=BB6_2621 Depth=2
	v_bfe_u32 v96, v16, 20, 1
	s_delay_alu instid0(VALU_DEP_1) | instskip(NEXT) | instid1(VALU_DEP_1)
	v_add_nc_u64_e32 v[18:19], v[16:17], v[96:97]
	v_add_nc_u64_e32 v[18:19], -1, v[18:19]
; %bb.2822:                             ;   in Loop: Header=BB6_2621 Depth=2
	s_or_b32 exec_lo, exec_lo, s41
	v_add_nc_u32_e32 v17, 0xffffff81, v31
	v_lshrrev_b32_e32 v19, 23, v16
	s_mov_b32 s10, exec_lo
	s_delay_alu instid0(VALU_DEP_2) | instskip(NEXT) | instid1(VALU_DEP_1)
	v_cndmask_b32_e64 v17, v17, 0xffffff82, vcc_lo
	v_add3_u32 v31, v54, v17, v19
	v_and_b32_e32 v17, 0xfffff, v18
                                        ; implicit-def: $vgpr18
	s_delay_alu instid0(VALU_DEP_1) | instskip(NEXT) | instid1(VALU_DEP_1)
	v_dual_add_nc_u32 v19, 6, v31 :: v_dual_add_nc_u32 v96, v17, v16
                                        ; implicit-def: $vgpr16_vgpr17
	v_cmpx_ne_u32_e32 0, v19
	s_xor_b32 s10, exec_lo, s10
; %bb.2823:                             ;   in Loop: Header=BB6_2621 Depth=2
	s_delay_alu instid0(VALU_DEP_2) | instskip(SKIP_1) | instid1(VALU_DEP_1)
	v_cmp_lt_u64_e32 vcc_lo, 0xffffff, v[96:97]
	v_add_nc_u32_e32 v16, 7, v31
	v_cndmask_b32_e32 v18, v19, v16, vcc_lo
	v_cndmask_b32_e64 v16, 0, 1, vcc_lo
	s_delay_alu instid0(VALU_DEP_1)
	v_lshrrev_b64 v[16:17], v16, v[96:97]
; %bb.2824:                             ;   in Loop: Header=BB6_2621 Depth=2
	s_and_not1_saveexec_b32 s10, s10
; %bb.2825:                             ;   in Loop: Header=BB6_2621 Depth=2
	v_mov_b64_e32 v[16:17], v[96:97]
	v_bfe_u32 v18, v96, 23, 1
; %bb.2826:                             ;   in Loop: Header=BB6_2621 Depth=2
	s_or_b32 exec_lo, exec_lo, s10
	s_delay_alu instid0(VALU_DEP_2) | instskip(NEXT) | instid1(VALU_DEP_2)
	v_lshrrev_b64 v[16:17], 20, v[16:17]
	v_cmp_gt_i32_e32 vcc_lo, 16, v18
	v_cmp_ne_u32_e64 s10, 0, v18
                                        ; implicit-def: $vgpr42
	s_delay_alu instid0(VALU_DEP_3) | instskip(NEXT) | instid1(VALU_DEP_1)
	v_dual_cndmask_b32 v17, 0, v17 :: v_dual_cndmask_b32 v16, 7, v16
	v_cmp_ne_u64_e32 vcc_lo, 0, v[16:17]
	s_or_b32 s10, s10, vcc_lo
	s_delay_alu instid0(SALU_CYCLE_1) | instskip(NEXT) | instid1(SALU_CYCLE_1)
	s_and_saveexec_b32 s41, s10
	s_xor_b32 s10, exec_lo, s41
; %bb.2827:                             ;   in Loop: Header=BB6_2621 Depth=2
	v_min_i32_e32 v17, 15, v18
	s_delay_alu instid0(VALU_DEP_1) | instskip(NEXT) | instid1(VALU_DEP_1)
	v_lshl_or_b32 v17, v17, 3, v72
                                        ; implicit-def: $vgpr72
	v_and_or_b32 v42, v16, 7, v17
; %bb.2828:                             ;   in Loop: Header=BB6_2621 Depth=2
	s_and_not1_saveexec_b32 s10, s10
; %bb.2829:                             ;   in Loop: Header=BB6_2621 Depth=2
	v_mov_b32_e32 v42, v72
; %bb.2830:                             ;   in Loop: Header=BB6_2621 Depth=2
	s_or_b32 exec_lo, exec_lo, s10
.LBB6_2831:                             ;   in Loop: Header=BB6_2621 Depth=2
	s_delay_alu instid0(SALU_CYCLE_1)
	s_or_b32 exec_lo, exec_lo, s40
                                        ; implicit-def: $vgpr72
.LBB6_2832:                             ;   in Loop: Header=BB6_2621 Depth=2
	s_and_not1_saveexec_b32 s10, s29
; %bb.2833:                             ;   in Loop: Header=BB6_2621 Depth=2
	v_or_b32_e32 v42, 0x7e, v72
; %bb.2834:                             ;   in Loop: Header=BB6_2621 Depth=2
	s_or_b32 exec_lo, exec_lo, s10
                                        ; implicit-def: $vgpr17
.LBB6_2835:                             ;   in Loop: Header=BB6_2621 Depth=2
	s_and_not1_saveexec_b32 s10, s28
; %bb.2836:                             ;   in Loop: Header=BB6_2621 Depth=2
	v_or_b32_e32 v42, 0x7f, v17
; %bb.2837:                             ;   in Loop: Header=BB6_2621 Depth=2
	s_or_b32 exec_lo, exec_lo, s10
	v_and_b32_e32 v18, 0xff, v122
	v_dual_mov_b32 v16, 0 :: v_dual_mov_b32 v17, 0
	s_mov_b32 s10, exec_lo
	s_delay_alu instid0(VALU_DEP_2)
	v_cmpx_ne_u16_e32 0, v18
	s_cbranch_execz .LBB6_2845
; %bb.2838:                             ;   in Loop: Header=BB6_2621 Depth=2
	v_bfrev_b32_e32 v17, 1
	s_mov_b32 s28, exec_lo
	v_cmpx_ne_u16_e32 0x80, v18
	s_cbranch_execz .LBB6_2844
; %bb.2839:                             ;   in Loop: Header=BB6_2621 Depth=2
	v_and_b32_e32 v19, 0x7f, v122
	v_mov_b32_e32 v17, 0x7f800001
	s_mov_b32 s29, exec_lo
	s_delay_alu instid0(VALU_DEP_2)
	v_cmpx_ne_u32_e32 0x7f, v19
	s_cbranch_execz .LBB6_2843
; %bb.2840:                             ;   in Loop: Header=BB6_2621 Depth=2
	v_dual_lshrrev_b32 v17, 3, v19 :: v_dual_bitop2_b32 v96, 7, v18 bitop3:0x40
	s_mov_b32 s40, exec_lo
	v_cmpx_gt_u32_e32 8, v19
; %bb.2841:                             ;   in Loop: Header=BB6_2621 Depth=2
	s_delay_alu instid0(VALU_DEP_2) | instskip(NEXT) | instid1(VALU_DEP_1)
	v_clz_i32_u32_e32 v17, v96
	v_min_u32_e32 v17, 32, v17
	s_delay_alu instid0(VALU_DEP_1) | instskip(NEXT) | instid1(VALU_DEP_1)
	v_subrev_nc_u32_e32 v18, 28, v17
	v_lshlrev_b64_e32 v[18:19], v18, v[96:97]
	s_delay_alu instid0(VALU_DEP_1)
	v_dual_sub_nc_u32 v17, 29, v17 :: v_dual_bitop2_b32 v96, 7, v18 bitop3:0x40
; %bb.2842:                             ;   in Loop: Header=BB6_2621 Depth=2
	s_or_b32 exec_lo, exec_lo, s40
	s_delay_alu instid0(VALU_DEP_1) | instskip(NEXT) | instid1(VALU_DEP_2)
	v_dual_lshlrev_b32 v18, 24, v122 :: v_dual_lshlrev_b32 v19, 20, v96
	v_lshl_add_u32 v17, v17, 23, 0x3c000000
	s_delay_alu instid0(VALU_DEP_2) | instskip(NEXT) | instid1(VALU_DEP_1)
	v_and_b32_e32 v18, 0x80000000, v18
	v_or3_b32 v17, v19, v18, v17
.LBB6_2843:                             ;   in Loop: Header=BB6_2621 Depth=2
	s_or_b32 exec_lo, exec_lo, s29
.LBB6_2844:                             ;   in Loop: Header=BB6_2621 Depth=2
	s_delay_alu instid0(SALU_CYCLE_1)
	s_or_b32 exec_lo, exec_lo, s28
.LBB6_2845:                             ;   in Loop: Header=BB6_2621 Depth=2
	s_delay_alu instid0(SALU_CYCLE_1) | instskip(SKIP_3) | instid1(VALU_DEP_1)
	s_or_b32 exec_lo, exec_lo, s10
	s_wait_loadcnt_dscnt 0x1919
	v_and_b32_e32 v18, 0xff, v46
	s_mov_b32 s10, exec_lo
	v_cmpx_ne_u16_e32 0, v18
	s_cbranch_execz .LBB6_2853
; %bb.2846:                             ;   in Loop: Header=BB6_2621 Depth=2
	v_bfrev_b32_e32 v16, 1
	s_mov_b32 s28, exec_lo
	v_cmpx_ne_u16_e32 0x80, v18
	s_cbranch_execz .LBB6_2852
; %bb.2847:                             ;   in Loop: Header=BB6_2621 Depth=2
	v_and_b32_e32 v19, 0x7f, v46
	v_mov_b32_e32 v16, 0x7f800001
	s_mov_b32 s29, exec_lo
	s_delay_alu instid0(VALU_DEP_2)
	v_cmpx_ne_u32_e32 0x7f, v19
	s_cbranch_execz .LBB6_2851
; %bb.2848:                             ;   in Loop: Header=BB6_2621 Depth=2
	v_dual_lshrrev_b32 v16, 3, v19 :: v_dual_bitop2_b32 v96, 7, v18 bitop3:0x40
	s_mov_b32 s40, exec_lo
	v_cmpx_gt_u32_e32 8, v19
; %bb.2849:                             ;   in Loop: Header=BB6_2621 Depth=2
	s_delay_alu instid0(VALU_DEP_2) | instskip(NEXT) | instid1(VALU_DEP_1)
	v_clz_i32_u32_e32 v16, v96
	v_min_u32_e32 v16, 32, v16
	s_delay_alu instid0(VALU_DEP_1) | instskip(NEXT) | instid1(VALU_DEP_1)
	v_subrev_nc_u32_e32 v18, 28, v16
	v_lshlrev_b64_e32 v[18:19], v18, v[96:97]
	s_delay_alu instid0(VALU_DEP_1)
	v_dual_sub_nc_u32 v16, 29, v16 :: v_dual_bitop2_b32 v96, 7, v18 bitop3:0x40
; %bb.2850:                             ;   in Loop: Header=BB6_2621 Depth=2
	s_or_b32 exec_lo, exec_lo, s40
	s_delay_alu instid0(VALU_DEP_1) | instskip(NEXT) | instid1(VALU_DEP_2)
	v_dual_lshlrev_b32 v18, 24, v46 :: v_dual_lshlrev_b32 v19, 20, v96
	v_lshl_add_u32 v16, v16, 23, 0x3c000000
	s_delay_alu instid0(VALU_DEP_2) | instskip(NEXT) | instid1(VALU_DEP_1)
	v_and_b32_e32 v18, 0x80000000, v18
	v_or3_b32 v16, v19, v18, v16
.LBB6_2851:                             ;   in Loop: Header=BB6_2621 Depth=2
	s_or_b32 exec_lo, exec_lo, s29
.LBB6_2852:                             ;   in Loop: Header=BB6_2621 Depth=2
	s_delay_alu instid0(SALU_CYCLE_1)
	s_or_b32 exec_lo, exec_lo, s28
.LBB6_2853:                             ;   in Loop: Header=BB6_2621 Depth=2
	s_delay_alu instid0(SALU_CYCLE_1) | instskip(NEXT) | instid1(VALU_DEP_1)
	s_or_b32 exec_lo, exec_lo, s10
	v_mul_f32_e32 v16, v17, v16
                                        ; implicit-def: $vgpr46
	s_mov_b32 s10, exec_lo
	s_delay_alu instid0(VALU_DEP_1) | instskip(SKIP_1) | instid1(VALU_DEP_2)
	v_and_b32_e32 v96, 0x7f800000, v16
	v_lshrrev_b32_e32 v17, 24, v16
	v_cmpx_ne_u64_e32 0x7f800000, v[96:97]
	s_xor_b32 s28, exec_lo, s10
	s_cbranch_execz .LBB6_2871
; %bb.2854:                             ;   in Loop: Header=BB6_2621 Depth=2
	v_and_b32_e32 v96, 0x7fffffff, v16
	v_and_b32_e32 v72, 0x80, v17
                                        ; implicit-def: $vgpr46
	s_mov_b32 s10, exec_lo
	s_delay_alu instid0(VALU_DEP_2)
	v_cmpx_gt_u64_e32 0x43e00001, v[96:97]
	s_xor_b32 s29, exec_lo, s10
	s_cbranch_execz .LBB6_2868
; %bb.2855:                             ;   in Loop: Header=BB6_2621 Depth=2
	v_mov_b32_e32 v46, 0
	s_mov_b32 s40, exec_lo
	v_cmpx_ne_u32_e32 0, v16
	s_cbranch_execz .LBB6_2867
; %bb.2856:                             ;   in Loop: Header=BB6_2621 Depth=2
	v_bfe_u32 v31, v16, 23, 8
	v_and_b32_e32 v17, 0x7fffff, v16
	s_delay_alu instid0(VALU_DEP_2) | instskip(SKIP_2) | instid1(VALU_DEP_4)
	v_cmp_gt_u32_e64 s10, 0x7a, v31
	v_sub_nc_u32_e32 v16, 0x79, v31
	v_cmp_eq_u32_e32 vcc_lo, 0, v31
	v_or_b32_e32 v18, 0x800000, v17
	s_delay_alu instid0(VALU_DEP_1) | instskip(NEXT) | instid1(VALU_DEP_1)
	v_dual_cndmask_b32 v16, 0, v16, s10 :: v_dual_cndmask_b32 v96, v18, v17, vcc_lo
	v_cndmask_b32_e64 v54, v16, 0x78, vcc_lo
	s_delay_alu instid0(VALU_DEP_1) | instskip(NEXT) | instid1(VALU_DEP_1)
	v_dual_add_nc_u32 v16, 20, v54 :: v_dual_add_nc_u32 v18, 19, v54
	v_lshlrev_b64_e64 v[16:17], v16, -1
	s_delay_alu instid0(VALU_DEP_2) | instskip(NEXT) | instid1(VALU_DEP_2)
	v_lshlrev_b64_e64 v[18:19], v18, 1
	v_bfi_b32 v17, v17, 0, 0
	s_delay_alu instid0(VALU_DEP_3) | instskip(NEXT) | instid1(VALU_DEP_1)
	v_bfi_b32 v16, v16, 0, v96
	v_cmp_eq_u64_e64 s10, v[16:17], v[18:19]
	v_lshrrev_b64 v[16:17], v54, v[96:97]
	s_delay_alu instid0(VALU_DEP_1)
	v_mov_b64_e32 v[18:19], v[16:17]
	s_and_saveexec_b32 s41, s10
; %bb.2857:                             ;   in Loop: Header=BB6_2621 Depth=2
	v_bfe_u32 v96, v16, 20, 1
	s_delay_alu instid0(VALU_DEP_1) | instskip(NEXT) | instid1(VALU_DEP_1)
	v_add_nc_u64_e32 v[18:19], v[16:17], v[96:97]
	v_add_nc_u64_e32 v[18:19], -1, v[18:19]
; %bb.2858:                             ;   in Loop: Header=BB6_2621 Depth=2
	s_or_b32 exec_lo, exec_lo, s41
	v_add_nc_u32_e32 v17, 0xffffff81, v31
	v_lshrrev_b32_e32 v19, 23, v16
	s_mov_b32 s10, exec_lo
	s_delay_alu instid0(VALU_DEP_2) | instskip(NEXT) | instid1(VALU_DEP_1)
	v_cndmask_b32_e64 v17, v17, 0xffffff82, vcc_lo
	v_add3_u32 v31, v54, v17, v19
	v_and_b32_e32 v17, 0xfffff, v18
                                        ; implicit-def: $vgpr18
	s_delay_alu instid0(VALU_DEP_1) | instskip(NEXT) | instid1(VALU_DEP_1)
	v_dual_add_nc_u32 v19, 6, v31 :: v_dual_add_nc_u32 v96, v17, v16
                                        ; implicit-def: $vgpr16_vgpr17
	v_cmpx_ne_u32_e32 0, v19
	s_xor_b32 s10, exec_lo, s10
; %bb.2859:                             ;   in Loop: Header=BB6_2621 Depth=2
	s_delay_alu instid0(VALU_DEP_2) | instskip(SKIP_1) | instid1(VALU_DEP_1)
	v_cmp_lt_u64_e32 vcc_lo, 0xffffff, v[96:97]
	v_add_nc_u32_e32 v16, 7, v31
	v_cndmask_b32_e32 v18, v19, v16, vcc_lo
	v_cndmask_b32_e64 v16, 0, 1, vcc_lo
	s_delay_alu instid0(VALU_DEP_1)
	v_lshrrev_b64 v[16:17], v16, v[96:97]
; %bb.2860:                             ;   in Loop: Header=BB6_2621 Depth=2
	s_and_not1_saveexec_b32 s10, s10
; %bb.2861:                             ;   in Loop: Header=BB6_2621 Depth=2
	v_mov_b64_e32 v[16:17], v[96:97]
	v_bfe_u32 v18, v96, 23, 1
; %bb.2862:                             ;   in Loop: Header=BB6_2621 Depth=2
	s_or_b32 exec_lo, exec_lo, s10
	s_delay_alu instid0(VALU_DEP_2) | instskip(NEXT) | instid1(VALU_DEP_2)
	v_lshrrev_b64 v[16:17], 20, v[16:17]
	v_cmp_gt_i32_e32 vcc_lo, 16, v18
	v_cmp_ne_u32_e64 s10, 0, v18
                                        ; implicit-def: $vgpr46
	s_delay_alu instid0(VALU_DEP_3) | instskip(NEXT) | instid1(VALU_DEP_1)
	v_dual_cndmask_b32 v17, 0, v17 :: v_dual_cndmask_b32 v16, 7, v16
	v_cmp_ne_u64_e32 vcc_lo, 0, v[16:17]
	s_or_b32 s10, s10, vcc_lo
	s_delay_alu instid0(SALU_CYCLE_1) | instskip(NEXT) | instid1(SALU_CYCLE_1)
	s_and_saveexec_b32 s41, s10
	s_xor_b32 s10, exec_lo, s41
; %bb.2863:                             ;   in Loop: Header=BB6_2621 Depth=2
	v_min_i32_e32 v17, 15, v18
	s_delay_alu instid0(VALU_DEP_1) | instskip(NEXT) | instid1(VALU_DEP_1)
	v_lshl_or_b32 v17, v17, 3, v72
                                        ; implicit-def: $vgpr72
	v_and_or_b32 v46, v16, 7, v17
; %bb.2864:                             ;   in Loop: Header=BB6_2621 Depth=2
	s_and_not1_saveexec_b32 s10, s10
; %bb.2865:                             ;   in Loop: Header=BB6_2621 Depth=2
	v_mov_b32_e32 v46, v72
; %bb.2866:                             ;   in Loop: Header=BB6_2621 Depth=2
	s_or_b32 exec_lo, exec_lo, s10
.LBB6_2867:                             ;   in Loop: Header=BB6_2621 Depth=2
	s_delay_alu instid0(SALU_CYCLE_1)
	s_or_b32 exec_lo, exec_lo, s40
                                        ; implicit-def: $vgpr72
.LBB6_2868:                             ;   in Loop: Header=BB6_2621 Depth=2
	s_and_not1_saveexec_b32 s10, s29
; %bb.2869:                             ;   in Loop: Header=BB6_2621 Depth=2
	v_or_b32_e32 v46, 0x7e, v72
; %bb.2870:                             ;   in Loop: Header=BB6_2621 Depth=2
	s_or_b32 exec_lo, exec_lo, s10
                                        ; implicit-def: $vgpr17
.LBB6_2871:                             ;   in Loop: Header=BB6_2621 Depth=2
	s_and_not1_saveexec_b32 s10, s28
; %bb.2872:                             ;   in Loop: Header=BB6_2621 Depth=2
	v_or_b32_e32 v46, 0x7f, v17
; %bb.2873:                             ;   in Loop: Header=BB6_2621 Depth=2
	s_or_b32 exec_lo, exec_lo, s10
	v_and_b32_e32 v18, 0xff, v121
	v_dual_mov_b32 v16, 0 :: v_dual_mov_b32 v17, 0
	s_mov_b32 s10, exec_lo
	s_delay_alu instid0(VALU_DEP_2)
	v_cmpx_ne_u16_e32 0, v18
	s_cbranch_execz .LBB6_2881
; %bb.2874:                             ;   in Loop: Header=BB6_2621 Depth=2
	v_bfrev_b32_e32 v17, 1
	s_mov_b32 s28, exec_lo
	v_cmpx_ne_u16_e32 0x80, v18
	s_cbranch_execz .LBB6_2880
; %bb.2875:                             ;   in Loop: Header=BB6_2621 Depth=2
	v_and_b32_e32 v19, 0x7f, v121
	v_mov_b32_e32 v17, 0x7f800001
	s_mov_b32 s29, exec_lo
	s_delay_alu instid0(VALU_DEP_2)
	v_cmpx_ne_u32_e32 0x7f, v19
	s_cbranch_execz .LBB6_2879
; %bb.2876:                             ;   in Loop: Header=BB6_2621 Depth=2
	v_dual_lshrrev_b32 v17, 3, v19 :: v_dual_bitop2_b32 v96, 7, v18 bitop3:0x40
	s_mov_b32 s40, exec_lo
	v_cmpx_gt_u32_e32 8, v19
; %bb.2877:                             ;   in Loop: Header=BB6_2621 Depth=2
	s_delay_alu instid0(VALU_DEP_2) | instskip(NEXT) | instid1(VALU_DEP_1)
	v_clz_i32_u32_e32 v17, v96
	v_min_u32_e32 v17, 32, v17
	s_delay_alu instid0(VALU_DEP_1) | instskip(NEXT) | instid1(VALU_DEP_1)
	v_subrev_nc_u32_e32 v18, 28, v17
	v_lshlrev_b64_e32 v[18:19], v18, v[96:97]
	s_delay_alu instid0(VALU_DEP_1)
	v_dual_sub_nc_u32 v17, 29, v17 :: v_dual_bitop2_b32 v96, 7, v18 bitop3:0x40
; %bb.2878:                             ;   in Loop: Header=BB6_2621 Depth=2
	s_or_b32 exec_lo, exec_lo, s40
	s_delay_alu instid0(VALU_DEP_1) | instskip(NEXT) | instid1(VALU_DEP_2)
	v_dual_lshlrev_b32 v18, 24, v121 :: v_dual_lshlrev_b32 v19, 20, v96
	v_lshl_add_u32 v17, v17, 23, 0x3c000000
	s_delay_alu instid0(VALU_DEP_2) | instskip(NEXT) | instid1(VALU_DEP_1)
	v_and_b32_e32 v18, 0x80000000, v18
	v_or3_b32 v17, v19, v18, v17
.LBB6_2879:                             ;   in Loop: Header=BB6_2621 Depth=2
	s_or_b32 exec_lo, exec_lo, s29
.LBB6_2880:                             ;   in Loop: Header=BB6_2621 Depth=2
	s_delay_alu instid0(SALU_CYCLE_1)
	s_or_b32 exec_lo, exec_lo, s28
.LBB6_2881:                             ;   in Loop: Header=BB6_2621 Depth=2
	s_delay_alu instid0(SALU_CYCLE_1) | instskip(SKIP_3) | instid1(VALU_DEP_1)
	s_or_b32 exec_lo, exec_lo, s10
	s_wait_loadcnt_dscnt 0x1818
	v_and_b32_e32 v18, 0xff, v57
	s_mov_b32 s10, exec_lo
	v_cmpx_ne_u16_e32 0, v18
	s_cbranch_execz .LBB6_2889
; %bb.2882:                             ;   in Loop: Header=BB6_2621 Depth=2
	v_bfrev_b32_e32 v16, 1
	s_mov_b32 s28, exec_lo
	v_cmpx_ne_u16_e32 0x80, v18
	s_cbranch_execz .LBB6_2888
; %bb.2883:                             ;   in Loop: Header=BB6_2621 Depth=2
	v_and_b32_e32 v19, 0x7f, v57
	v_mov_b32_e32 v16, 0x7f800001
	s_mov_b32 s29, exec_lo
	s_delay_alu instid0(VALU_DEP_2)
	v_cmpx_ne_u32_e32 0x7f, v19
	s_cbranch_execz .LBB6_2887
; %bb.2884:                             ;   in Loop: Header=BB6_2621 Depth=2
	v_dual_lshrrev_b32 v16, 3, v19 :: v_dual_bitop2_b32 v96, 7, v18 bitop3:0x40
	s_mov_b32 s40, exec_lo
	v_cmpx_gt_u32_e32 8, v19
; %bb.2885:                             ;   in Loop: Header=BB6_2621 Depth=2
	s_delay_alu instid0(VALU_DEP_2) | instskip(NEXT) | instid1(VALU_DEP_1)
	v_clz_i32_u32_e32 v16, v96
	v_min_u32_e32 v16, 32, v16
	s_delay_alu instid0(VALU_DEP_1) | instskip(NEXT) | instid1(VALU_DEP_1)
	v_subrev_nc_u32_e32 v18, 28, v16
	v_lshlrev_b64_e32 v[18:19], v18, v[96:97]
	s_delay_alu instid0(VALU_DEP_1)
	v_dual_sub_nc_u32 v16, 29, v16 :: v_dual_bitop2_b32 v96, 7, v18 bitop3:0x40
; %bb.2886:                             ;   in Loop: Header=BB6_2621 Depth=2
	s_or_b32 exec_lo, exec_lo, s40
	s_delay_alu instid0(VALU_DEP_1) | instskip(NEXT) | instid1(VALU_DEP_2)
	v_dual_lshlrev_b32 v18, 24, v57 :: v_dual_lshlrev_b32 v19, 20, v96
	v_lshl_add_u32 v16, v16, 23, 0x3c000000
	s_delay_alu instid0(VALU_DEP_2) | instskip(NEXT) | instid1(VALU_DEP_1)
	v_and_b32_e32 v18, 0x80000000, v18
	v_or3_b32 v16, v19, v18, v16
.LBB6_2887:                             ;   in Loop: Header=BB6_2621 Depth=2
	s_or_b32 exec_lo, exec_lo, s29
.LBB6_2888:                             ;   in Loop: Header=BB6_2621 Depth=2
	s_delay_alu instid0(SALU_CYCLE_1)
	s_or_b32 exec_lo, exec_lo, s28
.LBB6_2889:                             ;   in Loop: Header=BB6_2621 Depth=2
	s_delay_alu instid0(SALU_CYCLE_1) | instskip(NEXT) | instid1(VALU_DEP_1)
	s_or_b32 exec_lo, exec_lo, s10
	v_mul_f32_e32 v16, v17, v16
                                        ; implicit-def: $vgpr57
	s_mov_b32 s10, exec_lo
	s_delay_alu instid0(VALU_DEP_1) | instskip(SKIP_1) | instid1(VALU_DEP_2)
	v_and_b32_e32 v96, 0x7f800000, v16
	v_lshrrev_b32_e32 v17, 24, v16
	v_cmpx_ne_u64_e32 0x7f800000, v[96:97]
	s_xor_b32 s28, exec_lo, s10
	s_cbranch_execz .LBB6_2907
; %bb.2890:                             ;   in Loop: Header=BB6_2621 Depth=2
	v_and_b32_e32 v96, 0x7fffffff, v16
	v_and_b32_e32 v72, 0x80, v17
                                        ; implicit-def: $vgpr57
	s_mov_b32 s10, exec_lo
	s_delay_alu instid0(VALU_DEP_2)
	v_cmpx_gt_u64_e32 0x43e00001, v[96:97]
	s_xor_b32 s29, exec_lo, s10
	s_cbranch_execz .LBB6_2904
; %bb.2891:                             ;   in Loop: Header=BB6_2621 Depth=2
	v_mov_b32_e32 v57, 0
	s_mov_b32 s40, exec_lo
	v_cmpx_ne_u32_e32 0, v16
	s_cbranch_execz .LBB6_2903
; %bb.2892:                             ;   in Loop: Header=BB6_2621 Depth=2
	v_bfe_u32 v31, v16, 23, 8
	v_and_b32_e32 v17, 0x7fffff, v16
	s_delay_alu instid0(VALU_DEP_2) | instskip(SKIP_2) | instid1(VALU_DEP_4)
	v_cmp_gt_u32_e64 s10, 0x7a, v31
	v_sub_nc_u32_e32 v16, 0x79, v31
	v_cmp_eq_u32_e32 vcc_lo, 0, v31
	v_or_b32_e32 v18, 0x800000, v17
	s_delay_alu instid0(VALU_DEP_1) | instskip(NEXT) | instid1(VALU_DEP_1)
	v_dual_cndmask_b32 v16, 0, v16, s10 :: v_dual_cndmask_b32 v96, v18, v17, vcc_lo
	v_cndmask_b32_e64 v54, v16, 0x78, vcc_lo
	s_delay_alu instid0(VALU_DEP_1) | instskip(NEXT) | instid1(VALU_DEP_1)
	v_dual_add_nc_u32 v16, 20, v54 :: v_dual_add_nc_u32 v18, 19, v54
	v_lshlrev_b64_e64 v[16:17], v16, -1
	s_delay_alu instid0(VALU_DEP_2) | instskip(NEXT) | instid1(VALU_DEP_2)
	v_lshlrev_b64_e64 v[18:19], v18, 1
	v_bfi_b32 v17, v17, 0, 0
	s_delay_alu instid0(VALU_DEP_3) | instskip(NEXT) | instid1(VALU_DEP_1)
	v_bfi_b32 v16, v16, 0, v96
	v_cmp_eq_u64_e64 s10, v[16:17], v[18:19]
	v_lshrrev_b64 v[16:17], v54, v[96:97]
	s_delay_alu instid0(VALU_DEP_1)
	v_mov_b64_e32 v[18:19], v[16:17]
	s_and_saveexec_b32 s41, s10
; %bb.2893:                             ;   in Loop: Header=BB6_2621 Depth=2
	v_bfe_u32 v96, v16, 20, 1
	s_delay_alu instid0(VALU_DEP_1) | instskip(NEXT) | instid1(VALU_DEP_1)
	v_add_nc_u64_e32 v[18:19], v[16:17], v[96:97]
	v_add_nc_u64_e32 v[18:19], -1, v[18:19]
; %bb.2894:                             ;   in Loop: Header=BB6_2621 Depth=2
	s_or_b32 exec_lo, exec_lo, s41
	v_add_nc_u32_e32 v17, 0xffffff81, v31
	v_lshrrev_b32_e32 v19, 23, v16
	s_mov_b32 s10, exec_lo
	s_delay_alu instid0(VALU_DEP_2) | instskip(NEXT) | instid1(VALU_DEP_1)
	v_cndmask_b32_e64 v17, v17, 0xffffff82, vcc_lo
	v_add3_u32 v19, v54, v17, v19
	v_and_b32_e32 v17, 0xfffff, v18
                                        ; implicit-def: $vgpr18
	s_delay_alu instid0(VALU_DEP_1) | instskip(NEXT) | instid1(VALU_DEP_1)
	v_dual_add_nc_u32 v31, 6, v19 :: v_dual_add_nc_u32 v96, v17, v16
                                        ; implicit-def: $vgpr16_vgpr17
	v_cmpx_ne_u32_e32 0, v31
	s_xor_b32 s10, exec_lo, s10
; %bb.2895:                             ;   in Loop: Header=BB6_2621 Depth=2
	s_delay_alu instid0(VALU_DEP_2) | instskip(SKIP_1) | instid1(VALU_DEP_1)
	v_cmp_lt_u64_e32 vcc_lo, 0xffffff, v[96:97]
	v_add_nc_u32_e32 v16, 7, v19
	v_cndmask_b32_e32 v18, v31, v16, vcc_lo
	v_cndmask_b32_e64 v16, 0, 1, vcc_lo
	s_delay_alu instid0(VALU_DEP_1)
	v_lshrrev_b64 v[16:17], v16, v[96:97]
; %bb.2896:                             ;   in Loop: Header=BB6_2621 Depth=2
	s_and_not1_saveexec_b32 s10, s10
; %bb.2897:                             ;   in Loop: Header=BB6_2621 Depth=2
	v_mov_b64_e32 v[16:17], v[96:97]
	v_bfe_u32 v18, v96, 23, 1
; %bb.2898:                             ;   in Loop: Header=BB6_2621 Depth=2
	s_or_b32 exec_lo, exec_lo, s10
	s_delay_alu instid0(VALU_DEP_2) | instskip(NEXT) | instid1(VALU_DEP_2)
	v_lshrrev_b64 v[16:17], 20, v[16:17]
	v_cmp_gt_i32_e32 vcc_lo, 16, v18
	v_cmp_ne_u32_e64 s10, 0, v18
                                        ; implicit-def: $vgpr57
	s_delay_alu instid0(VALU_DEP_3) | instskip(NEXT) | instid1(VALU_DEP_1)
	v_dual_cndmask_b32 v17, 0, v17 :: v_dual_cndmask_b32 v16, 7, v16
	v_cmp_ne_u64_e32 vcc_lo, 0, v[16:17]
	s_or_b32 s10, s10, vcc_lo
	s_delay_alu instid0(SALU_CYCLE_1) | instskip(NEXT) | instid1(SALU_CYCLE_1)
	s_and_saveexec_b32 s41, s10
	s_xor_b32 s10, exec_lo, s41
; %bb.2899:                             ;   in Loop: Header=BB6_2621 Depth=2
	v_min_i32_e32 v17, 15, v18
	s_delay_alu instid0(VALU_DEP_1) | instskip(NEXT) | instid1(VALU_DEP_1)
	v_lshl_or_b32 v17, v17, 3, v72
                                        ; implicit-def: $vgpr72
	v_and_or_b32 v57, v16, 7, v17
; %bb.2900:                             ;   in Loop: Header=BB6_2621 Depth=2
	s_and_not1_saveexec_b32 s10, s10
; %bb.2901:                             ;   in Loop: Header=BB6_2621 Depth=2
	v_mov_b32_e32 v57, v72
; %bb.2902:                             ;   in Loop: Header=BB6_2621 Depth=2
	s_or_b32 exec_lo, exec_lo, s10
.LBB6_2903:                             ;   in Loop: Header=BB6_2621 Depth=2
	s_delay_alu instid0(SALU_CYCLE_1)
	s_or_b32 exec_lo, exec_lo, s40
                                        ; implicit-def: $vgpr72
.LBB6_2904:                             ;   in Loop: Header=BB6_2621 Depth=2
	s_and_not1_saveexec_b32 s10, s29
; %bb.2905:                             ;   in Loop: Header=BB6_2621 Depth=2
	v_or_b32_e32 v57, 0x7e, v72
; %bb.2906:                             ;   in Loop: Header=BB6_2621 Depth=2
	s_or_b32 exec_lo, exec_lo, s10
                                        ; implicit-def: $vgpr17
.LBB6_2907:                             ;   in Loop: Header=BB6_2621 Depth=2
	s_and_not1_saveexec_b32 s10, s28
; %bb.2908:                             ;   in Loop: Header=BB6_2621 Depth=2
	v_or_b32_e32 v57, 0x7f, v17
; %bb.2909:                             ;   in Loop: Header=BB6_2621 Depth=2
	s_or_b32 exec_lo, exec_lo, s10
	v_and_b32_e32 v18, 0xff, v120
	v_dual_mov_b32 v16, 0 :: v_dual_mov_b32 v17, 0
	s_mov_b32 s10, exec_lo
	s_delay_alu instid0(VALU_DEP_2)
	v_cmpx_ne_u16_e32 0, v18
	s_cbranch_execz .LBB6_2917
; %bb.2910:                             ;   in Loop: Header=BB6_2621 Depth=2
	v_bfrev_b32_e32 v17, 1
	s_mov_b32 s28, exec_lo
	v_cmpx_ne_u16_e32 0x80, v18
	s_cbranch_execz .LBB6_2916
; %bb.2911:                             ;   in Loop: Header=BB6_2621 Depth=2
	v_and_b32_e32 v19, 0x7f, v120
	v_mov_b32_e32 v17, 0x7f800001
	s_mov_b32 s29, exec_lo
	s_delay_alu instid0(VALU_DEP_2)
	v_cmpx_ne_u32_e32 0x7f, v19
	s_cbranch_execz .LBB6_2915
; %bb.2912:                             ;   in Loop: Header=BB6_2621 Depth=2
	v_dual_lshrrev_b32 v17, 3, v19 :: v_dual_bitop2_b32 v96, 7, v18 bitop3:0x40
	s_mov_b32 s40, exec_lo
	v_cmpx_gt_u32_e32 8, v19
; %bb.2913:                             ;   in Loop: Header=BB6_2621 Depth=2
	s_delay_alu instid0(VALU_DEP_2) | instskip(NEXT) | instid1(VALU_DEP_1)
	v_clz_i32_u32_e32 v17, v96
	v_min_u32_e32 v17, 32, v17
	s_delay_alu instid0(VALU_DEP_1) | instskip(NEXT) | instid1(VALU_DEP_1)
	v_subrev_nc_u32_e32 v18, 28, v17
	v_lshlrev_b64_e32 v[18:19], v18, v[96:97]
	s_delay_alu instid0(VALU_DEP_1)
	v_dual_sub_nc_u32 v17, 29, v17 :: v_dual_bitop2_b32 v96, 7, v18 bitop3:0x40
; %bb.2914:                             ;   in Loop: Header=BB6_2621 Depth=2
	s_or_b32 exec_lo, exec_lo, s40
	v_lshlrev_b32_e32 v18, 24, v120
	s_delay_alu instid0(VALU_DEP_2) | instskip(NEXT) | instid1(VALU_DEP_3)
	v_lshlrev_b32_e32 v19, 20, v96
	v_lshl_add_u32 v17, v17, 23, 0x3c000000
	s_delay_alu instid0(VALU_DEP_3) | instskip(NEXT) | instid1(VALU_DEP_1)
	v_and_b32_e32 v18, 0x80000000, v18
	v_or3_b32 v17, v19, v18, v17
.LBB6_2915:                             ;   in Loop: Header=BB6_2621 Depth=2
	s_or_b32 exec_lo, exec_lo, s29
.LBB6_2916:                             ;   in Loop: Header=BB6_2621 Depth=2
	s_delay_alu instid0(SALU_CYCLE_1)
	s_or_b32 exec_lo, exec_lo, s28
.LBB6_2917:                             ;   in Loop: Header=BB6_2621 Depth=2
	s_delay_alu instid0(SALU_CYCLE_1) | instskip(SKIP_3) | instid1(VALU_DEP_1)
	s_or_b32 exec_lo, exec_lo, s10
	s_wait_loadcnt_dscnt 0x1717
	v_and_b32_e32 v18, 0xff, v60
	s_mov_b32 s10, exec_lo
	v_cmpx_ne_u16_e32 0, v18
	s_cbranch_execz .LBB6_2925
; %bb.2918:                             ;   in Loop: Header=BB6_2621 Depth=2
	v_bfrev_b32_e32 v16, 1
	s_mov_b32 s28, exec_lo
	v_cmpx_ne_u16_e32 0x80, v18
	s_cbranch_execz .LBB6_2924
; %bb.2919:                             ;   in Loop: Header=BB6_2621 Depth=2
	v_and_b32_e32 v19, 0x7f, v60
	v_mov_b32_e32 v16, 0x7f800001
	s_mov_b32 s29, exec_lo
	s_delay_alu instid0(VALU_DEP_2)
	v_cmpx_ne_u32_e32 0x7f, v19
	s_cbranch_execz .LBB6_2923
; %bb.2920:                             ;   in Loop: Header=BB6_2621 Depth=2
	v_dual_lshrrev_b32 v16, 3, v19 :: v_dual_bitop2_b32 v96, 7, v18 bitop3:0x40
	s_mov_b32 s40, exec_lo
	v_cmpx_gt_u32_e32 8, v19
; %bb.2921:                             ;   in Loop: Header=BB6_2621 Depth=2
	s_delay_alu instid0(VALU_DEP_2) | instskip(NEXT) | instid1(VALU_DEP_1)
	v_clz_i32_u32_e32 v16, v96
	v_min_u32_e32 v16, 32, v16
	s_delay_alu instid0(VALU_DEP_1) | instskip(NEXT) | instid1(VALU_DEP_1)
	v_subrev_nc_u32_e32 v18, 28, v16
	v_lshlrev_b64_e32 v[18:19], v18, v[96:97]
	s_delay_alu instid0(VALU_DEP_1)
	v_dual_sub_nc_u32 v16, 29, v16 :: v_dual_bitop2_b32 v96, 7, v18 bitop3:0x40
; %bb.2922:                             ;   in Loop: Header=BB6_2621 Depth=2
	s_or_b32 exec_lo, exec_lo, s40
	v_lshlrev_b32_e32 v18, 24, v60
	s_delay_alu instid0(VALU_DEP_2) | instskip(NEXT) | instid1(VALU_DEP_3)
	v_lshlrev_b32_e32 v19, 20, v96
	v_lshl_add_u32 v16, v16, 23, 0x3c000000
	s_delay_alu instid0(VALU_DEP_3) | instskip(NEXT) | instid1(VALU_DEP_1)
	v_and_b32_e32 v18, 0x80000000, v18
	v_or3_b32 v16, v19, v18, v16
.LBB6_2923:                             ;   in Loop: Header=BB6_2621 Depth=2
	s_or_b32 exec_lo, exec_lo, s29
.LBB6_2924:                             ;   in Loop: Header=BB6_2621 Depth=2
	s_delay_alu instid0(SALU_CYCLE_1)
	s_or_b32 exec_lo, exec_lo, s28
.LBB6_2925:                             ;   in Loop: Header=BB6_2621 Depth=2
	s_delay_alu instid0(SALU_CYCLE_1) | instskip(NEXT) | instid1(VALU_DEP_1)
	s_or_b32 exec_lo, exec_lo, s10
	v_mul_f32_e32 v16, v17, v16
                                        ; implicit-def: $vgpr60
	s_mov_b32 s10, exec_lo
	s_delay_alu instid0(VALU_DEP_1) | instskip(SKIP_1) | instid1(VALU_DEP_2)
	v_and_b32_e32 v96, 0x7f800000, v16
	v_lshrrev_b32_e32 v17, 24, v16
	v_cmpx_ne_u64_e32 0x7f800000, v[96:97]
	s_xor_b32 s28, exec_lo, s10
	s_cbranch_execz .LBB6_2943
; %bb.2926:                             ;   in Loop: Header=BB6_2621 Depth=2
	v_and_b32_e32 v96, 0x7fffffff, v16
	v_and_b32_e32 v72, 0x80, v17
                                        ; implicit-def: $vgpr60
	s_mov_b32 s10, exec_lo
	s_delay_alu instid0(VALU_DEP_2)
	v_cmpx_gt_u64_e32 0x43e00001, v[96:97]
	s_xor_b32 s29, exec_lo, s10
	s_cbranch_execz .LBB6_2940
; %bb.2927:                             ;   in Loop: Header=BB6_2621 Depth=2
	v_mov_b32_e32 v60, 0
	s_mov_b32 s40, exec_lo
	v_cmpx_ne_u32_e32 0, v16
	s_cbranch_execz .LBB6_2939
; %bb.2928:                             ;   in Loop: Header=BB6_2621 Depth=2
	v_bfe_u32 v31, v16, 23, 8
	v_and_b32_e32 v17, 0x7fffff, v16
	s_delay_alu instid0(VALU_DEP_2) | instskip(SKIP_2) | instid1(VALU_DEP_4)
	v_cmp_gt_u32_e64 s10, 0x7a, v31
	v_sub_nc_u32_e32 v16, 0x79, v31
	v_cmp_eq_u32_e32 vcc_lo, 0, v31
	v_or_b32_e32 v18, 0x800000, v17
	s_delay_alu instid0(VALU_DEP_1) | instskip(NEXT) | instid1(VALU_DEP_1)
	v_dual_cndmask_b32 v16, 0, v16, s10 :: v_dual_cndmask_b32 v96, v18, v17, vcc_lo
	v_cndmask_b32_e64 v54, v16, 0x78, vcc_lo
	s_delay_alu instid0(VALU_DEP_1) | instskip(NEXT) | instid1(VALU_DEP_1)
	v_dual_add_nc_u32 v16, 20, v54 :: v_dual_add_nc_u32 v18, 19, v54
	v_lshlrev_b64_e64 v[16:17], v16, -1
	s_delay_alu instid0(VALU_DEP_2) | instskip(NEXT) | instid1(VALU_DEP_2)
	v_lshlrev_b64_e64 v[18:19], v18, 1
	v_bfi_b32 v17, v17, 0, 0
	s_delay_alu instid0(VALU_DEP_3) | instskip(NEXT) | instid1(VALU_DEP_1)
	v_bfi_b32 v16, v16, 0, v96
	v_cmp_eq_u64_e64 s10, v[16:17], v[18:19]
	v_lshrrev_b64 v[16:17], v54, v[96:97]
	s_delay_alu instid0(VALU_DEP_1)
	v_mov_b64_e32 v[18:19], v[16:17]
	s_and_saveexec_b32 s41, s10
; %bb.2929:                             ;   in Loop: Header=BB6_2621 Depth=2
	v_bfe_u32 v96, v16, 20, 1
	s_delay_alu instid0(VALU_DEP_1) | instskip(NEXT) | instid1(VALU_DEP_1)
	v_add_nc_u64_e32 v[18:19], v[16:17], v[96:97]
	v_add_nc_u64_e32 v[18:19], -1, v[18:19]
; %bb.2930:                             ;   in Loop: Header=BB6_2621 Depth=2
	s_or_b32 exec_lo, exec_lo, s41
	v_add_nc_u32_e32 v17, 0xffffff81, v31
	v_lshrrev_b32_e32 v19, 23, v16
	s_mov_b32 s10, exec_lo
	s_delay_alu instid0(VALU_DEP_2) | instskip(NEXT) | instid1(VALU_DEP_1)
	v_cndmask_b32_e64 v17, v17, 0xffffff82, vcc_lo
	v_add3_u32 v19, v54, v17, v19
	v_and_b32_e32 v17, 0xfffff, v18
                                        ; implicit-def: $vgpr18
	s_delay_alu instid0(VALU_DEP_1) | instskip(NEXT) | instid1(VALU_DEP_1)
	v_dual_add_nc_u32 v31, 6, v19 :: v_dual_add_nc_u32 v96, v17, v16
                                        ; implicit-def: $vgpr16_vgpr17
	v_cmpx_ne_u32_e32 0, v31
	s_xor_b32 s10, exec_lo, s10
; %bb.2931:                             ;   in Loop: Header=BB6_2621 Depth=2
	s_delay_alu instid0(VALU_DEP_2) | instskip(SKIP_1) | instid1(VALU_DEP_1)
	v_cmp_lt_u64_e32 vcc_lo, 0xffffff, v[96:97]
	v_add_nc_u32_e32 v16, 7, v19
	v_cndmask_b32_e32 v18, v31, v16, vcc_lo
	v_cndmask_b32_e64 v16, 0, 1, vcc_lo
	s_delay_alu instid0(VALU_DEP_1)
	v_lshrrev_b64 v[16:17], v16, v[96:97]
; %bb.2932:                             ;   in Loop: Header=BB6_2621 Depth=2
	s_and_not1_saveexec_b32 s10, s10
; %bb.2933:                             ;   in Loop: Header=BB6_2621 Depth=2
	v_mov_b64_e32 v[16:17], v[96:97]
	v_bfe_u32 v18, v96, 23, 1
; %bb.2934:                             ;   in Loop: Header=BB6_2621 Depth=2
	s_or_b32 exec_lo, exec_lo, s10
	s_delay_alu instid0(VALU_DEP_2) | instskip(NEXT) | instid1(VALU_DEP_2)
	v_lshrrev_b64 v[16:17], 20, v[16:17]
	v_cmp_gt_i32_e32 vcc_lo, 16, v18
	v_cmp_ne_u32_e64 s10, 0, v18
                                        ; implicit-def: $vgpr60
	s_delay_alu instid0(VALU_DEP_3) | instskip(NEXT) | instid1(VALU_DEP_1)
	v_dual_cndmask_b32 v17, 0, v17 :: v_dual_cndmask_b32 v16, 7, v16
	v_cmp_ne_u64_e32 vcc_lo, 0, v[16:17]
	s_or_b32 s10, s10, vcc_lo
	s_delay_alu instid0(SALU_CYCLE_1) | instskip(NEXT) | instid1(SALU_CYCLE_1)
	s_and_saveexec_b32 s41, s10
	s_xor_b32 s10, exec_lo, s41
; %bb.2935:                             ;   in Loop: Header=BB6_2621 Depth=2
	v_min_i32_e32 v17, 15, v18
	s_delay_alu instid0(VALU_DEP_1) | instskip(NEXT) | instid1(VALU_DEP_1)
	v_lshl_or_b32 v17, v17, 3, v72
                                        ; implicit-def: $vgpr72
	v_and_or_b32 v60, v16, 7, v17
; %bb.2936:                             ;   in Loop: Header=BB6_2621 Depth=2
	s_and_not1_saveexec_b32 s10, s10
; %bb.2937:                             ;   in Loop: Header=BB6_2621 Depth=2
	v_mov_b32_e32 v60, v72
; %bb.2938:                             ;   in Loop: Header=BB6_2621 Depth=2
	s_or_b32 exec_lo, exec_lo, s10
.LBB6_2939:                             ;   in Loop: Header=BB6_2621 Depth=2
	s_delay_alu instid0(SALU_CYCLE_1)
	s_or_b32 exec_lo, exec_lo, s40
                                        ; implicit-def: $vgpr72
.LBB6_2940:                             ;   in Loop: Header=BB6_2621 Depth=2
	s_and_not1_saveexec_b32 s10, s29
; %bb.2941:                             ;   in Loop: Header=BB6_2621 Depth=2
	v_or_b32_e32 v60, 0x7e, v72
; %bb.2942:                             ;   in Loop: Header=BB6_2621 Depth=2
	s_or_b32 exec_lo, exec_lo, s10
                                        ; implicit-def: $vgpr17
.LBB6_2943:                             ;   in Loop: Header=BB6_2621 Depth=2
	s_and_not1_saveexec_b32 s10, s28
; %bb.2944:                             ;   in Loop: Header=BB6_2621 Depth=2
	v_or_b32_e32 v60, 0x7f, v17
; %bb.2945:                             ;   in Loop: Header=BB6_2621 Depth=2
	s_or_b32 exec_lo, exec_lo, s10
	v_and_b32_e32 v18, 0xff, v88
	v_dual_mov_b32 v16, 0 :: v_dual_mov_b32 v17, 0
	s_mov_b32 s10, exec_lo
	s_delay_alu instid0(VALU_DEP_2)
	v_cmpx_ne_u16_e32 0, v18
	s_cbranch_execz .LBB6_2953
; %bb.2946:                             ;   in Loop: Header=BB6_2621 Depth=2
	v_bfrev_b32_e32 v17, 1
	s_mov_b32 s28, exec_lo
	v_cmpx_ne_u16_e32 0x80, v18
	s_cbranch_execz .LBB6_2952
; %bb.2947:                             ;   in Loop: Header=BB6_2621 Depth=2
	v_and_b32_e32 v19, 0x7f, v88
	v_mov_b32_e32 v17, 0x7f800001
	s_mov_b32 s29, exec_lo
	s_delay_alu instid0(VALU_DEP_2)
	v_cmpx_ne_u32_e32 0x7f, v19
	s_cbranch_execz .LBB6_2951
; %bb.2948:                             ;   in Loop: Header=BB6_2621 Depth=2
	v_dual_lshrrev_b32 v17, 3, v19 :: v_dual_bitop2_b32 v96, 7, v18 bitop3:0x40
	s_mov_b32 s40, exec_lo
	v_cmpx_gt_u32_e32 8, v19
; %bb.2949:                             ;   in Loop: Header=BB6_2621 Depth=2
	s_delay_alu instid0(VALU_DEP_2) | instskip(NEXT) | instid1(VALU_DEP_1)
	v_clz_i32_u32_e32 v17, v96
	v_min_u32_e32 v17, 32, v17
	s_delay_alu instid0(VALU_DEP_1) | instskip(NEXT) | instid1(VALU_DEP_1)
	v_subrev_nc_u32_e32 v18, 28, v17
	v_lshlrev_b64_e32 v[18:19], v18, v[96:97]
	s_delay_alu instid0(VALU_DEP_1)
	v_dual_sub_nc_u32 v17, 29, v17 :: v_dual_bitop2_b32 v96, 7, v18 bitop3:0x40
; %bb.2950:                             ;   in Loop: Header=BB6_2621 Depth=2
	s_or_b32 exec_lo, exec_lo, s40
	v_lshlrev_b32_e32 v18, 24, v88
	s_delay_alu instid0(VALU_DEP_2) | instskip(NEXT) | instid1(VALU_DEP_3)
	v_lshlrev_b32_e32 v19, 20, v96
	v_lshl_add_u32 v17, v17, 23, 0x3c000000
	s_delay_alu instid0(VALU_DEP_3) | instskip(NEXT) | instid1(VALU_DEP_1)
	v_and_b32_e32 v18, 0x80000000, v18
	v_or3_b32 v17, v19, v18, v17
.LBB6_2951:                             ;   in Loop: Header=BB6_2621 Depth=2
	s_or_b32 exec_lo, exec_lo, s29
.LBB6_2952:                             ;   in Loop: Header=BB6_2621 Depth=2
	s_delay_alu instid0(SALU_CYCLE_1)
	s_or_b32 exec_lo, exec_lo, s28
.LBB6_2953:                             ;   in Loop: Header=BB6_2621 Depth=2
	s_delay_alu instid0(SALU_CYCLE_1) | instskip(SKIP_3) | instid1(VALU_DEP_1)
	s_or_b32 exec_lo, exec_lo, s10
	s_wait_loadcnt_dscnt 0x1616
	v_and_b32_e32 v18, 0xff, v63
	s_mov_b32 s10, exec_lo
	v_cmpx_ne_u16_e32 0, v18
	s_cbranch_execz .LBB6_2961
; %bb.2954:                             ;   in Loop: Header=BB6_2621 Depth=2
	v_bfrev_b32_e32 v16, 1
	s_mov_b32 s28, exec_lo
	v_cmpx_ne_u16_e32 0x80, v18
	s_cbranch_execz .LBB6_2960
; %bb.2955:                             ;   in Loop: Header=BB6_2621 Depth=2
	v_and_b32_e32 v19, 0x7f, v63
	v_mov_b32_e32 v16, 0x7f800001
	s_mov_b32 s29, exec_lo
	s_delay_alu instid0(VALU_DEP_2)
	v_cmpx_ne_u32_e32 0x7f, v19
	s_cbranch_execz .LBB6_2959
; %bb.2956:                             ;   in Loop: Header=BB6_2621 Depth=2
	v_dual_lshrrev_b32 v16, 3, v19 :: v_dual_bitop2_b32 v96, 7, v18 bitop3:0x40
	s_mov_b32 s40, exec_lo
	v_cmpx_gt_u32_e32 8, v19
; %bb.2957:                             ;   in Loop: Header=BB6_2621 Depth=2
	s_delay_alu instid0(VALU_DEP_2) | instskip(NEXT) | instid1(VALU_DEP_1)
	v_clz_i32_u32_e32 v16, v96
	v_min_u32_e32 v16, 32, v16
	s_delay_alu instid0(VALU_DEP_1) | instskip(NEXT) | instid1(VALU_DEP_1)
	v_subrev_nc_u32_e32 v18, 28, v16
	v_lshlrev_b64_e32 v[18:19], v18, v[96:97]
	s_delay_alu instid0(VALU_DEP_1)
	v_dual_sub_nc_u32 v16, 29, v16 :: v_dual_bitop2_b32 v96, 7, v18 bitop3:0x40
; %bb.2958:                             ;   in Loop: Header=BB6_2621 Depth=2
	s_or_b32 exec_lo, exec_lo, s40
	s_delay_alu instid0(VALU_DEP_1) | instskip(NEXT) | instid1(VALU_DEP_2)
	v_dual_lshlrev_b32 v18, 24, v63 :: v_dual_lshlrev_b32 v19, 20, v96
	v_lshl_add_u32 v16, v16, 23, 0x3c000000
	s_delay_alu instid0(VALU_DEP_2) | instskip(NEXT) | instid1(VALU_DEP_1)
	v_and_b32_e32 v18, 0x80000000, v18
	v_or3_b32 v16, v19, v18, v16
.LBB6_2959:                             ;   in Loop: Header=BB6_2621 Depth=2
	s_or_b32 exec_lo, exec_lo, s29
.LBB6_2960:                             ;   in Loop: Header=BB6_2621 Depth=2
	s_delay_alu instid0(SALU_CYCLE_1)
	s_or_b32 exec_lo, exec_lo, s28
.LBB6_2961:                             ;   in Loop: Header=BB6_2621 Depth=2
	s_delay_alu instid0(SALU_CYCLE_1) | instskip(NEXT) | instid1(VALU_DEP_1)
	s_or_b32 exec_lo, exec_lo, s10
	v_mul_f32_e32 v16, v17, v16
                                        ; implicit-def: $vgpr63
	s_mov_b32 s10, exec_lo
	s_delay_alu instid0(VALU_DEP_1) | instskip(SKIP_1) | instid1(VALU_DEP_2)
	v_and_b32_e32 v96, 0x7f800000, v16
	v_lshrrev_b32_e32 v17, 24, v16
	v_cmpx_ne_u64_e32 0x7f800000, v[96:97]
	s_xor_b32 s28, exec_lo, s10
	s_cbranch_execz .LBB6_2979
; %bb.2962:                             ;   in Loop: Header=BB6_2621 Depth=2
	v_and_b32_e32 v96, 0x7fffffff, v16
	v_and_b32_e32 v72, 0x80, v17
                                        ; implicit-def: $vgpr63
	s_mov_b32 s10, exec_lo
	s_delay_alu instid0(VALU_DEP_2)
	v_cmpx_gt_u64_e32 0x43e00001, v[96:97]
	s_xor_b32 s29, exec_lo, s10
	s_cbranch_execz .LBB6_2976
; %bb.2963:                             ;   in Loop: Header=BB6_2621 Depth=2
	v_mov_b32_e32 v63, 0
	s_mov_b32 s40, exec_lo
	v_cmpx_ne_u32_e32 0, v16
	s_cbranch_execz .LBB6_2975
; %bb.2964:                             ;   in Loop: Header=BB6_2621 Depth=2
	v_bfe_u32 v31, v16, 23, 8
	v_and_b32_e32 v17, 0x7fffff, v16
	s_delay_alu instid0(VALU_DEP_2) | instskip(SKIP_2) | instid1(VALU_DEP_4)
	v_cmp_gt_u32_e64 s10, 0x7a, v31
	v_sub_nc_u32_e32 v16, 0x79, v31
	v_cmp_eq_u32_e32 vcc_lo, 0, v31
	v_or_b32_e32 v18, 0x800000, v17
	s_delay_alu instid0(VALU_DEP_1) | instskip(NEXT) | instid1(VALU_DEP_1)
	v_dual_cndmask_b32 v16, 0, v16, s10 :: v_dual_cndmask_b32 v96, v18, v17, vcc_lo
	v_cndmask_b32_e64 v54, v16, 0x78, vcc_lo
	s_delay_alu instid0(VALU_DEP_1) | instskip(NEXT) | instid1(VALU_DEP_1)
	v_dual_add_nc_u32 v16, 20, v54 :: v_dual_add_nc_u32 v18, 19, v54
	v_lshlrev_b64_e64 v[16:17], v16, -1
	s_delay_alu instid0(VALU_DEP_2) | instskip(NEXT) | instid1(VALU_DEP_2)
	v_lshlrev_b64_e64 v[18:19], v18, 1
	v_bfi_b32 v17, v17, 0, 0
	s_delay_alu instid0(VALU_DEP_3) | instskip(NEXT) | instid1(VALU_DEP_1)
	v_bfi_b32 v16, v16, 0, v96
	v_cmp_eq_u64_e64 s10, v[16:17], v[18:19]
	v_lshrrev_b64 v[16:17], v54, v[96:97]
	s_delay_alu instid0(VALU_DEP_1)
	v_mov_b64_e32 v[18:19], v[16:17]
	s_and_saveexec_b32 s41, s10
; %bb.2965:                             ;   in Loop: Header=BB6_2621 Depth=2
	v_bfe_u32 v96, v16, 20, 1
	s_delay_alu instid0(VALU_DEP_1) | instskip(NEXT) | instid1(VALU_DEP_1)
	v_add_nc_u64_e32 v[18:19], v[16:17], v[96:97]
	v_add_nc_u64_e32 v[18:19], -1, v[18:19]
; %bb.2966:                             ;   in Loop: Header=BB6_2621 Depth=2
	s_or_b32 exec_lo, exec_lo, s41
	v_add_nc_u32_e32 v17, 0xffffff81, v31
	v_lshrrev_b32_e32 v19, 23, v16
	s_mov_b32 s10, exec_lo
	s_delay_alu instid0(VALU_DEP_2) | instskip(NEXT) | instid1(VALU_DEP_1)
	v_cndmask_b32_e64 v17, v17, 0xffffff82, vcc_lo
	v_add3_u32 v19, v54, v17, v19
	v_and_b32_e32 v17, 0xfffff, v18
                                        ; implicit-def: $vgpr18
	s_delay_alu instid0(VALU_DEP_1) | instskip(NEXT) | instid1(VALU_DEP_1)
	v_dual_add_nc_u32 v31, 6, v19 :: v_dual_add_nc_u32 v96, v17, v16
                                        ; implicit-def: $vgpr16_vgpr17
	v_cmpx_ne_u32_e32 0, v31
	s_xor_b32 s10, exec_lo, s10
; %bb.2967:                             ;   in Loop: Header=BB6_2621 Depth=2
	s_delay_alu instid0(VALU_DEP_2) | instskip(SKIP_1) | instid1(VALU_DEP_1)
	v_cmp_lt_u64_e32 vcc_lo, 0xffffff, v[96:97]
	v_add_nc_u32_e32 v16, 7, v19
	v_cndmask_b32_e32 v18, v31, v16, vcc_lo
	v_cndmask_b32_e64 v16, 0, 1, vcc_lo
	s_delay_alu instid0(VALU_DEP_1)
	v_lshrrev_b64 v[16:17], v16, v[96:97]
; %bb.2968:                             ;   in Loop: Header=BB6_2621 Depth=2
	s_and_not1_saveexec_b32 s10, s10
; %bb.2969:                             ;   in Loop: Header=BB6_2621 Depth=2
	v_mov_b64_e32 v[16:17], v[96:97]
	v_bfe_u32 v18, v96, 23, 1
; %bb.2970:                             ;   in Loop: Header=BB6_2621 Depth=2
	s_or_b32 exec_lo, exec_lo, s10
	s_delay_alu instid0(VALU_DEP_2) | instskip(NEXT) | instid1(VALU_DEP_2)
	v_lshrrev_b64 v[16:17], 20, v[16:17]
	v_cmp_gt_i32_e32 vcc_lo, 16, v18
	v_cmp_ne_u32_e64 s10, 0, v18
                                        ; implicit-def: $vgpr63
	s_delay_alu instid0(VALU_DEP_3) | instskip(NEXT) | instid1(VALU_DEP_1)
	v_dual_cndmask_b32 v17, 0, v17 :: v_dual_cndmask_b32 v16, 7, v16
	v_cmp_ne_u64_e32 vcc_lo, 0, v[16:17]
	s_or_b32 s10, s10, vcc_lo
	s_delay_alu instid0(SALU_CYCLE_1) | instskip(NEXT) | instid1(SALU_CYCLE_1)
	s_and_saveexec_b32 s41, s10
	s_xor_b32 s10, exec_lo, s41
; %bb.2971:                             ;   in Loop: Header=BB6_2621 Depth=2
	v_min_i32_e32 v17, 15, v18
	s_delay_alu instid0(VALU_DEP_1) | instskip(NEXT) | instid1(VALU_DEP_1)
	v_lshl_or_b32 v17, v17, 3, v72
                                        ; implicit-def: $vgpr72
	v_and_or_b32 v63, v16, 7, v17
; %bb.2972:                             ;   in Loop: Header=BB6_2621 Depth=2
	s_and_not1_saveexec_b32 s10, s10
; %bb.2973:                             ;   in Loop: Header=BB6_2621 Depth=2
	v_mov_b32_e32 v63, v72
; %bb.2974:                             ;   in Loop: Header=BB6_2621 Depth=2
	s_or_b32 exec_lo, exec_lo, s10
.LBB6_2975:                             ;   in Loop: Header=BB6_2621 Depth=2
	s_delay_alu instid0(SALU_CYCLE_1)
	s_or_b32 exec_lo, exec_lo, s40
                                        ; implicit-def: $vgpr72
.LBB6_2976:                             ;   in Loop: Header=BB6_2621 Depth=2
	s_and_not1_saveexec_b32 s10, s29
; %bb.2977:                             ;   in Loop: Header=BB6_2621 Depth=2
	v_or_b32_e32 v63, 0x7e, v72
; %bb.2978:                             ;   in Loop: Header=BB6_2621 Depth=2
	s_or_b32 exec_lo, exec_lo, s10
                                        ; implicit-def: $vgpr17
.LBB6_2979:                             ;   in Loop: Header=BB6_2621 Depth=2
	s_and_not1_saveexec_b32 s10, s28
; %bb.2980:                             ;   in Loop: Header=BB6_2621 Depth=2
	v_or_b32_e32 v63, 0x7f, v17
; %bb.2981:                             ;   in Loop: Header=BB6_2621 Depth=2
	s_or_b32 exec_lo, exec_lo, s10
	v_and_b32_e32 v18, 0xff, v113
	v_dual_mov_b32 v16, 0 :: v_dual_mov_b32 v17, 0
	s_mov_b32 s10, exec_lo
	s_delay_alu instid0(VALU_DEP_2)
	v_cmpx_ne_u16_e32 0, v18
	s_cbranch_execz .LBB6_2989
; %bb.2982:                             ;   in Loop: Header=BB6_2621 Depth=2
	v_bfrev_b32_e32 v17, 1
	s_mov_b32 s28, exec_lo
	v_cmpx_ne_u16_e32 0x80, v18
	s_cbranch_execz .LBB6_2988
; %bb.2983:                             ;   in Loop: Header=BB6_2621 Depth=2
	v_and_b32_e32 v19, 0x7f, v113
	v_mov_b32_e32 v17, 0x7f800001
	s_mov_b32 s29, exec_lo
	s_delay_alu instid0(VALU_DEP_2)
	v_cmpx_ne_u32_e32 0x7f, v19
	s_cbranch_execz .LBB6_2987
; %bb.2984:                             ;   in Loop: Header=BB6_2621 Depth=2
	v_dual_lshrrev_b32 v17, 3, v19 :: v_dual_bitop2_b32 v96, 7, v18 bitop3:0x40
	s_mov_b32 s40, exec_lo
	v_cmpx_gt_u32_e32 8, v19
; %bb.2985:                             ;   in Loop: Header=BB6_2621 Depth=2
	s_delay_alu instid0(VALU_DEP_2) | instskip(NEXT) | instid1(VALU_DEP_1)
	v_clz_i32_u32_e32 v17, v96
	v_min_u32_e32 v17, 32, v17
	s_delay_alu instid0(VALU_DEP_1) | instskip(NEXT) | instid1(VALU_DEP_1)
	v_subrev_nc_u32_e32 v18, 28, v17
	v_lshlrev_b64_e32 v[18:19], v18, v[96:97]
	s_delay_alu instid0(VALU_DEP_1)
	v_dual_sub_nc_u32 v17, 29, v17 :: v_dual_bitop2_b32 v96, 7, v18 bitop3:0x40
; %bb.2986:                             ;   in Loop: Header=BB6_2621 Depth=2
	s_or_b32 exec_lo, exec_lo, s40
	s_delay_alu instid0(VALU_DEP_1) | instskip(NEXT) | instid1(VALU_DEP_2)
	v_dual_lshlrev_b32 v18, 24, v113 :: v_dual_lshlrev_b32 v19, 20, v96
	v_lshl_add_u32 v17, v17, 23, 0x3c000000
	s_delay_alu instid0(VALU_DEP_2) | instskip(NEXT) | instid1(VALU_DEP_1)
	v_and_b32_e32 v18, 0x80000000, v18
	v_or3_b32 v17, v19, v18, v17
.LBB6_2987:                             ;   in Loop: Header=BB6_2621 Depth=2
	s_or_b32 exec_lo, exec_lo, s29
.LBB6_2988:                             ;   in Loop: Header=BB6_2621 Depth=2
	s_delay_alu instid0(SALU_CYCLE_1)
	s_or_b32 exec_lo, exec_lo, s28
.LBB6_2989:                             ;   in Loop: Header=BB6_2621 Depth=2
	s_delay_alu instid0(SALU_CYCLE_1) | instskip(SKIP_3) | instid1(VALU_DEP_1)
	s_or_b32 exec_lo, exec_lo, s10
	s_wait_loadcnt_dscnt 0x1515
	v_and_b32_e32 v18, 0xff, v112
	s_mov_b32 s10, exec_lo
	v_cmpx_ne_u16_e32 0, v18
	s_cbranch_execz .LBB6_2997
; %bb.2990:                             ;   in Loop: Header=BB6_2621 Depth=2
	v_bfrev_b32_e32 v16, 1
	s_mov_b32 s28, exec_lo
	v_cmpx_ne_u16_e32 0x80, v18
	s_cbranch_execz .LBB6_2996
; %bb.2991:                             ;   in Loop: Header=BB6_2621 Depth=2
	v_and_b32_e32 v19, 0x7f, v112
	v_mov_b32_e32 v16, 0x7f800001
	s_mov_b32 s29, exec_lo
	s_delay_alu instid0(VALU_DEP_2)
	v_cmpx_ne_u32_e32 0x7f, v19
	s_cbranch_execz .LBB6_2995
; %bb.2992:                             ;   in Loop: Header=BB6_2621 Depth=2
	v_dual_lshrrev_b32 v16, 3, v19 :: v_dual_bitop2_b32 v96, 7, v18 bitop3:0x40
	s_mov_b32 s40, exec_lo
	v_cmpx_gt_u32_e32 8, v19
; %bb.2993:                             ;   in Loop: Header=BB6_2621 Depth=2
	s_delay_alu instid0(VALU_DEP_2) | instskip(NEXT) | instid1(VALU_DEP_1)
	v_clz_i32_u32_e32 v16, v96
	v_min_u32_e32 v16, 32, v16
	s_delay_alu instid0(VALU_DEP_1) | instskip(NEXT) | instid1(VALU_DEP_1)
	v_subrev_nc_u32_e32 v18, 28, v16
	v_lshlrev_b64_e32 v[18:19], v18, v[96:97]
	s_delay_alu instid0(VALU_DEP_1)
	v_dual_sub_nc_u32 v16, 29, v16 :: v_dual_bitop2_b32 v96, 7, v18 bitop3:0x40
; %bb.2994:                             ;   in Loop: Header=BB6_2621 Depth=2
	s_or_b32 exec_lo, exec_lo, s40
	v_lshlrev_b32_e32 v18, 24, v112
	s_delay_alu instid0(VALU_DEP_2) | instskip(NEXT) | instid1(VALU_DEP_3)
	v_lshlrev_b32_e32 v19, 20, v96
	v_lshl_add_u32 v16, v16, 23, 0x3c000000
	s_delay_alu instid0(VALU_DEP_3) | instskip(NEXT) | instid1(VALU_DEP_1)
	v_and_b32_e32 v18, 0x80000000, v18
	v_or3_b32 v16, v19, v18, v16
.LBB6_2995:                             ;   in Loop: Header=BB6_2621 Depth=2
	s_or_b32 exec_lo, exec_lo, s29
.LBB6_2996:                             ;   in Loop: Header=BB6_2621 Depth=2
	s_delay_alu instid0(SALU_CYCLE_1)
	s_or_b32 exec_lo, exec_lo, s28
.LBB6_2997:                             ;   in Loop: Header=BB6_2621 Depth=2
	s_delay_alu instid0(SALU_CYCLE_1) | instskip(NEXT) | instid1(VALU_DEP_1)
	s_or_b32 exec_lo, exec_lo, s10
	v_mul_f32_e32 v16, v17, v16
                                        ; implicit-def: $vgpr88
	s_mov_b32 s10, exec_lo
	s_delay_alu instid0(VALU_DEP_1) | instskip(SKIP_1) | instid1(VALU_DEP_2)
	v_and_b32_e32 v96, 0x7f800000, v16
	v_lshrrev_b32_e32 v17, 24, v16
	v_cmpx_ne_u64_e32 0x7f800000, v[96:97]
	s_xor_b32 s28, exec_lo, s10
	s_cbranch_execz .LBB6_3015
; %bb.2998:                             ;   in Loop: Header=BB6_2621 Depth=2
	v_and_b32_e32 v96, 0x7fffffff, v16
	v_and_b32_e32 v112, 0x80, v17
                                        ; implicit-def: $vgpr88
	s_mov_b32 s10, exec_lo
	s_delay_alu instid0(VALU_DEP_2)
	v_cmpx_gt_u64_e32 0x43e00001, v[96:97]
	s_xor_b32 s29, exec_lo, s10
	s_cbranch_execz .LBB6_3012
; %bb.2999:                             ;   in Loop: Header=BB6_2621 Depth=2
	v_mov_b32_e32 v88, 0
	s_mov_b32 s40, exec_lo
	v_cmpx_ne_u32_e32 0, v16
	s_cbranch_execz .LBB6_3011
; %bb.3000:                             ;   in Loop: Header=BB6_2621 Depth=2
	v_bfe_u32 v31, v16, 23, 8
	v_and_b32_e32 v17, 0x7fffff, v16
	s_delay_alu instid0(VALU_DEP_2) | instskip(SKIP_2) | instid1(VALU_DEP_4)
	v_cmp_gt_u32_e64 s10, 0x7a, v31
	v_sub_nc_u32_e32 v16, 0x79, v31
	v_cmp_eq_u32_e32 vcc_lo, 0, v31
	v_or_b32_e32 v18, 0x800000, v17
	s_delay_alu instid0(VALU_DEP_1) | instskip(NEXT) | instid1(VALU_DEP_1)
	v_dual_cndmask_b32 v16, 0, v16, s10 :: v_dual_cndmask_b32 v96, v18, v17, vcc_lo
	v_cndmask_b32_e64 v54, v16, 0x78, vcc_lo
	s_delay_alu instid0(VALU_DEP_1) | instskip(NEXT) | instid1(VALU_DEP_1)
	v_dual_add_nc_u32 v16, 20, v54 :: v_dual_add_nc_u32 v18, 19, v54
	v_lshlrev_b64_e64 v[16:17], v16, -1
	s_delay_alu instid0(VALU_DEP_2) | instskip(NEXT) | instid1(VALU_DEP_2)
	v_lshlrev_b64_e64 v[18:19], v18, 1
	v_bfi_b32 v17, v17, 0, 0
	s_delay_alu instid0(VALU_DEP_3) | instskip(NEXT) | instid1(VALU_DEP_1)
	v_bfi_b32 v16, v16, 0, v96
	v_cmp_eq_u64_e64 s10, v[16:17], v[18:19]
	v_lshrrev_b64 v[16:17], v54, v[96:97]
	s_delay_alu instid0(VALU_DEP_1)
	v_mov_b64_e32 v[18:19], v[16:17]
	s_and_saveexec_b32 s41, s10
; %bb.3001:                             ;   in Loop: Header=BB6_2621 Depth=2
	v_bfe_u32 v96, v16, 20, 1
	s_delay_alu instid0(VALU_DEP_1) | instskip(NEXT) | instid1(VALU_DEP_1)
	v_add_nc_u64_e32 v[18:19], v[16:17], v[96:97]
	v_add_nc_u64_e32 v[18:19], -1, v[18:19]
; %bb.3002:                             ;   in Loop: Header=BB6_2621 Depth=2
	s_or_b32 exec_lo, exec_lo, s41
	v_add_nc_u32_e32 v17, 0xffffff81, v31
	v_lshrrev_b32_e32 v19, 23, v16
	s_mov_b32 s10, exec_lo
	s_delay_alu instid0(VALU_DEP_2) | instskip(NEXT) | instid1(VALU_DEP_1)
	v_cndmask_b32_e64 v17, v17, 0xffffff82, vcc_lo
	v_add3_u32 v19, v54, v17, v19
	v_and_b32_e32 v17, 0xfffff, v18
                                        ; implicit-def: $vgpr18
	s_delay_alu instid0(VALU_DEP_1) | instskip(NEXT) | instid1(VALU_DEP_1)
	v_dual_add_nc_u32 v31, 6, v19 :: v_dual_add_nc_u32 v96, v17, v16
                                        ; implicit-def: $vgpr16_vgpr17
	v_cmpx_ne_u32_e32 0, v31
	s_xor_b32 s10, exec_lo, s10
; %bb.3003:                             ;   in Loop: Header=BB6_2621 Depth=2
	s_delay_alu instid0(VALU_DEP_2) | instskip(SKIP_1) | instid1(VALU_DEP_1)
	v_cmp_lt_u64_e32 vcc_lo, 0xffffff, v[96:97]
	v_add_nc_u32_e32 v16, 7, v19
	v_cndmask_b32_e32 v18, v31, v16, vcc_lo
	v_cndmask_b32_e64 v16, 0, 1, vcc_lo
	s_delay_alu instid0(VALU_DEP_1)
	v_lshrrev_b64 v[16:17], v16, v[96:97]
; %bb.3004:                             ;   in Loop: Header=BB6_2621 Depth=2
	s_and_not1_saveexec_b32 s10, s10
; %bb.3005:                             ;   in Loop: Header=BB6_2621 Depth=2
	v_mov_b64_e32 v[16:17], v[96:97]
	v_bfe_u32 v18, v96, 23, 1
; %bb.3006:                             ;   in Loop: Header=BB6_2621 Depth=2
	s_or_b32 exec_lo, exec_lo, s10
	s_delay_alu instid0(VALU_DEP_2) | instskip(NEXT) | instid1(VALU_DEP_2)
	v_lshrrev_b64 v[16:17], 20, v[16:17]
	v_cmp_gt_i32_e32 vcc_lo, 16, v18
	v_cmp_ne_u32_e64 s10, 0, v18
                                        ; implicit-def: $vgpr88
	s_delay_alu instid0(VALU_DEP_3) | instskip(NEXT) | instid1(VALU_DEP_1)
	v_dual_cndmask_b32 v17, 0, v17 :: v_dual_cndmask_b32 v16, 7, v16
	v_cmp_ne_u64_e32 vcc_lo, 0, v[16:17]
	s_or_b32 s10, s10, vcc_lo
	s_delay_alu instid0(SALU_CYCLE_1) | instskip(NEXT) | instid1(SALU_CYCLE_1)
	s_and_saveexec_b32 s41, s10
	s_xor_b32 s10, exec_lo, s41
; %bb.3007:                             ;   in Loop: Header=BB6_2621 Depth=2
	v_min_i32_e32 v17, 15, v18
	s_delay_alu instid0(VALU_DEP_1) | instskip(NEXT) | instid1(VALU_DEP_1)
	v_lshl_or_b32 v17, v17, 3, v112
                                        ; implicit-def: $vgpr112
	v_and_or_b32 v88, v16, 7, v17
; %bb.3008:                             ;   in Loop: Header=BB6_2621 Depth=2
	s_and_not1_saveexec_b32 s10, s10
; %bb.3009:                             ;   in Loop: Header=BB6_2621 Depth=2
	v_mov_b32_e32 v88, v112
; %bb.3010:                             ;   in Loop: Header=BB6_2621 Depth=2
	s_or_b32 exec_lo, exec_lo, s10
.LBB6_3011:                             ;   in Loop: Header=BB6_2621 Depth=2
	s_delay_alu instid0(SALU_CYCLE_1)
	s_or_b32 exec_lo, exec_lo, s40
                                        ; implicit-def: $vgpr112
.LBB6_3012:                             ;   in Loop: Header=BB6_2621 Depth=2
	s_and_not1_saveexec_b32 s10, s29
; %bb.3013:                             ;   in Loop: Header=BB6_2621 Depth=2
	v_or_b32_e32 v88, 0x7e, v112
; %bb.3014:                             ;   in Loop: Header=BB6_2621 Depth=2
	s_or_b32 exec_lo, exec_lo, s10
                                        ; implicit-def: $vgpr17
.LBB6_3015:                             ;   in Loop: Header=BB6_2621 Depth=2
	s_and_not1_saveexec_b32 s10, s28
; %bb.3016:                             ;   in Loop: Header=BB6_2621 Depth=2
	v_or_b32_e32 v88, 0x7f, v17
; %bb.3017:                             ;   in Loop: Header=BB6_2621 Depth=2
	s_or_b32 exec_lo, exec_lo, s10
	v_and_b32_e32 v18, 0xff, v74
	v_dual_mov_b32 v16, 0 :: v_dual_mov_b32 v17, 0
	s_mov_b32 s10, exec_lo
	s_delay_alu instid0(VALU_DEP_2)
	v_cmpx_ne_u16_e32 0, v18
	s_cbranch_execz .LBB6_3025
; %bb.3018:                             ;   in Loop: Header=BB6_2621 Depth=2
	v_bfrev_b32_e32 v17, 1
	s_mov_b32 s28, exec_lo
	v_cmpx_ne_u16_e32 0x80, v18
	s_cbranch_execz .LBB6_3024
; %bb.3019:                             ;   in Loop: Header=BB6_2621 Depth=2
	v_and_b32_e32 v19, 0x7f, v74
	v_mov_b32_e32 v17, 0x7f800001
	s_mov_b32 s29, exec_lo
	s_delay_alu instid0(VALU_DEP_2)
	v_cmpx_ne_u32_e32 0x7f, v19
	s_cbranch_execz .LBB6_3023
; %bb.3020:                             ;   in Loop: Header=BB6_2621 Depth=2
	v_dual_lshrrev_b32 v17, 3, v19 :: v_dual_bitop2_b32 v96, 7, v18 bitop3:0x40
	s_mov_b32 s40, exec_lo
	v_cmpx_gt_u32_e32 8, v19
; %bb.3021:                             ;   in Loop: Header=BB6_2621 Depth=2
	s_delay_alu instid0(VALU_DEP_2) | instskip(NEXT) | instid1(VALU_DEP_1)
	v_clz_i32_u32_e32 v17, v96
	v_min_u32_e32 v17, 32, v17
	s_delay_alu instid0(VALU_DEP_1) | instskip(NEXT) | instid1(VALU_DEP_1)
	v_subrev_nc_u32_e32 v18, 28, v17
	v_lshlrev_b64_e32 v[18:19], v18, v[96:97]
	s_delay_alu instid0(VALU_DEP_1)
	v_dual_sub_nc_u32 v17, 29, v17 :: v_dual_bitop2_b32 v96, 7, v18 bitop3:0x40
; %bb.3022:                             ;   in Loop: Header=BB6_2621 Depth=2
	s_or_b32 exec_lo, exec_lo, s40
	s_delay_alu instid0(VALU_DEP_1) | instskip(NEXT) | instid1(VALU_DEP_2)
	v_dual_lshlrev_b32 v18, 24, v74 :: v_dual_lshlrev_b32 v19, 20, v96
	v_lshl_add_u32 v17, v17, 23, 0x3c000000
	s_delay_alu instid0(VALU_DEP_2) | instskip(NEXT) | instid1(VALU_DEP_1)
	v_and_b32_e32 v18, 0x80000000, v18
	v_or3_b32 v17, v19, v18, v17
.LBB6_3023:                             ;   in Loop: Header=BB6_2621 Depth=2
	s_or_b32 exec_lo, exec_lo, s29
.LBB6_3024:                             ;   in Loop: Header=BB6_2621 Depth=2
	s_delay_alu instid0(SALU_CYCLE_1)
	s_or_b32 exec_lo, exec_lo, s28
.LBB6_3025:                             ;   in Loop: Header=BB6_2621 Depth=2
	s_delay_alu instid0(SALU_CYCLE_1) | instskip(SKIP_3) | instid1(VALU_DEP_1)
	s_or_b32 exec_lo, exec_lo, s10
	s_wait_loadcnt_dscnt 0x1414
	v_and_b32_e32 v18, 0xff, v2
	s_mov_b32 s10, exec_lo
	v_cmpx_ne_u16_e32 0, v18
	s_cbranch_execz .LBB6_3033
; %bb.3026:                             ;   in Loop: Header=BB6_2621 Depth=2
	v_bfrev_b32_e32 v16, 1
	s_mov_b32 s28, exec_lo
	v_cmpx_ne_u16_e32 0x80, v18
	s_cbranch_execz .LBB6_3032
; %bb.3027:                             ;   in Loop: Header=BB6_2621 Depth=2
	v_and_b32_e32 v19, 0x7f, v2
	v_mov_b32_e32 v16, 0x7f800001
	s_mov_b32 s29, exec_lo
	s_delay_alu instid0(VALU_DEP_2)
	v_cmpx_ne_u32_e32 0x7f, v19
	s_cbranch_execz .LBB6_3031
; %bb.3028:                             ;   in Loop: Header=BB6_2621 Depth=2
	v_dual_lshrrev_b32 v16, 3, v19 :: v_dual_bitop2_b32 v96, 7, v18 bitop3:0x40
	s_mov_b32 s40, exec_lo
	v_cmpx_gt_u32_e32 8, v19
; %bb.3029:                             ;   in Loop: Header=BB6_2621 Depth=2
	s_delay_alu instid0(VALU_DEP_2) | instskip(NEXT) | instid1(VALU_DEP_1)
	v_clz_i32_u32_e32 v16, v96
	v_min_u32_e32 v16, 32, v16
	s_delay_alu instid0(VALU_DEP_1) | instskip(NEXT) | instid1(VALU_DEP_1)
	v_subrev_nc_u32_e32 v18, 28, v16
	v_lshlrev_b64_e32 v[18:19], v18, v[96:97]
	s_delay_alu instid0(VALU_DEP_1)
	v_dual_sub_nc_u32 v16, 29, v16 :: v_dual_bitop2_b32 v96, 7, v18 bitop3:0x40
; %bb.3030:                             ;   in Loop: Header=BB6_2621 Depth=2
	s_or_b32 exec_lo, exec_lo, s40
	s_delay_alu instid0(VALU_DEP_1) | instskip(NEXT) | instid1(VALU_DEP_2)
	v_dual_lshlrev_b32 v2, 24, v2 :: v_dual_lshlrev_b32 v18, 20, v96
	v_lshl_add_u32 v16, v16, 23, 0x3c000000
	s_delay_alu instid0(VALU_DEP_2) | instskip(NEXT) | instid1(VALU_DEP_1)
	v_and_b32_e32 v2, 0x80000000, v2
	v_or3_b32 v16, v18, v2, v16
.LBB6_3031:                             ;   in Loop: Header=BB6_2621 Depth=2
	s_or_b32 exec_lo, exec_lo, s29
.LBB6_3032:                             ;   in Loop: Header=BB6_2621 Depth=2
	s_delay_alu instid0(SALU_CYCLE_1)
	s_or_b32 exec_lo, exec_lo, s28
.LBB6_3033:                             ;   in Loop: Header=BB6_2621 Depth=2
	s_delay_alu instid0(SALU_CYCLE_1) | instskip(NEXT) | instid1(VALU_DEP_1)
	s_or_b32 exec_lo, exec_lo, s10
	v_mul_f32_e32 v16, v17, v16
                                        ; implicit-def: $vgpr2
	s_mov_b32 s10, exec_lo
	s_delay_alu instid0(VALU_DEP_1) | instskip(SKIP_1) | instid1(VALU_DEP_2)
	v_and_b32_e32 v96, 0x7f800000, v16
	v_lshrrev_b32_e32 v17, 24, v16
	v_cmpx_ne_u64_e32 0x7f800000, v[96:97]
	s_xor_b32 s28, exec_lo, s10
	s_cbranch_execz .LBB6_3051
; %bb.3034:                             ;   in Loop: Header=BB6_2621 Depth=2
	v_and_b32_e32 v96, 0x7fffffff, v16
	v_and_b32_e32 v31, 0x80, v17
                                        ; implicit-def: $vgpr2
	s_mov_b32 s10, exec_lo
	s_delay_alu instid0(VALU_DEP_2)
	v_cmpx_gt_u64_e32 0x43e00001, v[96:97]
	s_xor_b32 s29, exec_lo, s10
	s_cbranch_execz .LBB6_3048
; %bb.3035:                             ;   in Loop: Header=BB6_2621 Depth=2
	v_mov_b32_e32 v2, 0
	s_mov_b32 s40, exec_lo
	v_cmpx_ne_u32_e32 0, v16
	s_cbranch_execz .LBB6_3047
; %bb.3036:                             ;   in Loop: Header=BB6_2621 Depth=2
	v_bfe_u32 v2, v16, 23, 8
	v_and_b32_e32 v18, 0x7fffff, v16
	s_delay_alu instid0(VALU_DEP_2) | instskip(SKIP_1) | instid1(VALU_DEP_3)
	v_sub_nc_u32_e32 v17, 0x79, v2
	v_cmp_gt_u32_e32 vcc_lo, 0x7a, v2
	v_or_b32_e32 v19, 0x800000, v18
	s_delay_alu instid0(VALU_DEP_3) | instskip(SKIP_1) | instid1(VALU_DEP_2)
	v_cndmask_b32_e32 v17, 0, v17, vcc_lo
	v_cmp_eq_u32_e32 vcc_lo, 0, v2
	v_cndmask_b32_e64 v54, v17, 0x78, vcc_lo
	s_delay_alu instid0(VALU_DEP_4) | instskip(NEXT) | instid1(VALU_DEP_2)
	v_cndmask_b32_e32 v96, v19, v18, vcc_lo
	v_dual_add_nc_u32 v16, 20, v54 :: v_dual_add_nc_u32 v55, 19, v54
	s_delay_alu instid0(VALU_DEP_1) | instskip(NEXT) | instid1(VALU_DEP_2)
	v_lshlrev_b64_e64 v[16:17], v16, -1
	v_lshlrev_b64_e64 v[18:19], v55, 1
	s_delay_alu instid0(VALU_DEP_2) | instskip(NEXT) | instid1(VALU_DEP_3)
	v_bfi_b32 v67, v17, 0, 0
	v_bfi_b32 v66, v16, 0, v96
	v_lshrrev_b64 v[16:17], v54, v[96:97]
	s_delay_alu instid0(VALU_DEP_2) | instskip(NEXT) | instid1(VALU_DEP_2)
	v_cmp_eq_u64_e64 s10, v[66:67], v[18:19]
	v_mov_b64_e32 v[18:19], v[16:17]
	s_and_saveexec_b32 s41, s10
; %bb.3037:                             ;   in Loop: Header=BB6_2621 Depth=2
	v_bfe_u32 v96, v16, 20, 1
	s_delay_alu instid0(VALU_DEP_1) | instskip(NEXT) | instid1(VALU_DEP_1)
	v_add_nc_u64_e32 v[18:19], v[16:17], v[96:97]
	v_add_nc_u64_e32 v[18:19], -1, v[18:19]
; %bb.3038:                             ;   in Loop: Header=BB6_2621 Depth=2
	s_or_b32 exec_lo, exec_lo, s41
	v_add_nc_u32_e32 v2, 0xffffff81, v2
	v_lshrrev_b32_e32 v17, 23, v16
	s_mov_b32 s10, exec_lo
	s_delay_alu instid0(VALU_DEP_2) | instskip(NEXT) | instid1(VALU_DEP_1)
	v_cndmask_b32_e64 v2, v2, 0xffffff82, vcc_lo
	v_add3_u32 v2, v54, v2, v17
	v_and_b32_e32 v17, 0xfffff, v18
                                        ; implicit-def: $vgpr18
	s_delay_alu instid0(VALU_DEP_1) | instskip(NEXT) | instid1(VALU_DEP_1)
	v_dual_add_nc_u32 v19, 6, v2 :: v_dual_add_nc_u32 v96, v17, v16
                                        ; implicit-def: $vgpr16_vgpr17
	v_cmpx_ne_u32_e32 0, v19
	s_xor_b32 s10, exec_lo, s10
; %bb.3039:                             ;   in Loop: Header=BB6_2621 Depth=2
	s_delay_alu instid0(VALU_DEP_2) | instskip(SKIP_1) | instid1(VALU_DEP_1)
	v_cmp_lt_u64_e32 vcc_lo, 0xffffff, v[96:97]
	v_add_nc_u32_e32 v2, 7, v2
	v_cndmask_b32_e32 v18, v19, v2, vcc_lo
	v_cndmask_b32_e64 v2, 0, 1, vcc_lo
	s_delay_alu instid0(VALU_DEP_1)
	v_lshrrev_b64 v[16:17], v2, v[96:97]
; %bb.3040:                             ;   in Loop: Header=BB6_2621 Depth=2
	s_and_not1_saveexec_b32 s10, s10
; %bb.3041:                             ;   in Loop: Header=BB6_2621 Depth=2
	v_mov_b64_e32 v[16:17], v[96:97]
	v_bfe_u32 v18, v96, 23, 1
; %bb.3042:                             ;   in Loop: Header=BB6_2621 Depth=2
	s_or_b32 exec_lo, exec_lo, s10
	s_delay_alu instid0(VALU_DEP_2) | instskip(NEXT) | instid1(VALU_DEP_2)
	v_lshrrev_b64 v[16:17], 20, v[16:17]
	v_cmp_gt_i32_e32 vcc_lo, 16, v18
	v_cmp_ne_u32_e64 s10, 0, v18
                                        ; implicit-def: $vgpr2
	s_delay_alu instid0(VALU_DEP_3) | instskip(NEXT) | instid1(VALU_DEP_1)
	v_dual_cndmask_b32 v17, 0, v17 :: v_dual_cndmask_b32 v16, 7, v16
	v_cmp_ne_u64_e32 vcc_lo, 0, v[16:17]
	s_or_b32 s10, s10, vcc_lo
	s_delay_alu instid0(SALU_CYCLE_1) | instskip(NEXT) | instid1(SALU_CYCLE_1)
	s_and_saveexec_b32 s41, s10
	s_xor_b32 s10, exec_lo, s41
; %bb.3043:                             ;   in Loop: Header=BB6_2621 Depth=2
	v_min_i32_e32 v2, 15, v18
	s_delay_alu instid0(VALU_DEP_1) | instskip(NEXT) | instid1(VALU_DEP_1)
	v_lshl_or_b32 v2, v2, 3, v31
                                        ; implicit-def: $vgpr31
	v_and_or_b32 v2, v16, 7, v2
; %bb.3044:                             ;   in Loop: Header=BB6_2621 Depth=2
	s_and_not1_saveexec_b32 s10, s10
; %bb.3045:                             ;   in Loop: Header=BB6_2621 Depth=2
	v_mov_b32_e32 v2, v31
; %bb.3046:                             ;   in Loop: Header=BB6_2621 Depth=2
	s_or_b32 exec_lo, exec_lo, s10
.LBB6_3047:                             ;   in Loop: Header=BB6_2621 Depth=2
	s_delay_alu instid0(SALU_CYCLE_1)
	s_or_b32 exec_lo, exec_lo, s40
                                        ; implicit-def: $vgpr31
.LBB6_3048:                             ;   in Loop: Header=BB6_2621 Depth=2
	s_and_not1_saveexec_b32 s10, s29
; %bb.3049:                             ;   in Loop: Header=BB6_2621 Depth=2
	v_or_b32_e32 v2, 0x7e, v31
; %bb.3050:                             ;   in Loop: Header=BB6_2621 Depth=2
	s_or_b32 exec_lo, exec_lo, s10
                                        ; implicit-def: $vgpr17
.LBB6_3051:                             ;   in Loop: Header=BB6_2621 Depth=2
	s_and_not1_saveexec_b32 s10, s28
; %bb.3052:                             ;   in Loop: Header=BB6_2621 Depth=2
	v_or_b32_e32 v2, 0x7f, v17
; %bb.3053:                             ;   in Loop: Header=BB6_2621 Depth=2
	s_or_b32 exec_lo, exec_lo, s10
	v_and_b32_e32 v18, 0xff, v111
	v_dual_mov_b32 v16, 0 :: v_dual_mov_b32 v17, 0
	s_mov_b32 s10, exec_lo
	s_delay_alu instid0(VALU_DEP_2)
	v_cmpx_ne_u16_e32 0, v18
	s_cbranch_execz .LBB6_3061
; %bb.3054:                             ;   in Loop: Header=BB6_2621 Depth=2
	v_bfrev_b32_e32 v17, 1
	s_mov_b32 s28, exec_lo
	v_cmpx_ne_u16_e32 0x80, v18
	s_cbranch_execz .LBB6_3060
; %bb.3055:                             ;   in Loop: Header=BB6_2621 Depth=2
	v_and_b32_e32 v19, 0x7f, v111
	v_mov_b32_e32 v17, 0x7f800001
	s_mov_b32 s29, exec_lo
	s_delay_alu instid0(VALU_DEP_2)
	v_cmpx_ne_u32_e32 0x7f, v19
	s_cbranch_execz .LBB6_3059
; %bb.3056:                             ;   in Loop: Header=BB6_2621 Depth=2
	v_dual_lshrrev_b32 v17, 3, v19 :: v_dual_bitop2_b32 v96, 7, v18 bitop3:0x40
	s_mov_b32 s40, exec_lo
	v_cmpx_gt_u32_e32 8, v19
; %bb.3057:                             ;   in Loop: Header=BB6_2621 Depth=2
	s_delay_alu instid0(VALU_DEP_2) | instskip(NEXT) | instid1(VALU_DEP_1)
	v_clz_i32_u32_e32 v17, v96
	v_min_u32_e32 v17, 32, v17
	s_delay_alu instid0(VALU_DEP_1) | instskip(NEXT) | instid1(VALU_DEP_1)
	v_subrev_nc_u32_e32 v18, 28, v17
	v_lshlrev_b64_e32 v[18:19], v18, v[96:97]
	s_delay_alu instid0(VALU_DEP_1)
	v_dual_sub_nc_u32 v17, 29, v17 :: v_dual_bitop2_b32 v96, 7, v18 bitop3:0x40
; %bb.3058:                             ;   in Loop: Header=BB6_2621 Depth=2
	s_or_b32 exec_lo, exec_lo, s40
	s_delay_alu instid0(VALU_DEP_1) | instskip(NEXT) | instid1(VALU_DEP_2)
	v_dual_lshlrev_b32 v18, 24, v111 :: v_dual_lshlrev_b32 v19, 20, v96
	v_lshl_add_u32 v17, v17, 23, 0x3c000000
	s_delay_alu instid0(VALU_DEP_2) | instskip(NEXT) | instid1(VALU_DEP_1)
	v_and_b32_e32 v18, 0x80000000, v18
	v_or3_b32 v17, v19, v18, v17
.LBB6_3059:                             ;   in Loop: Header=BB6_2621 Depth=2
	s_or_b32 exec_lo, exec_lo, s29
.LBB6_3060:                             ;   in Loop: Header=BB6_2621 Depth=2
	s_delay_alu instid0(SALU_CYCLE_1)
	s_or_b32 exec_lo, exec_lo, s28
.LBB6_3061:                             ;   in Loop: Header=BB6_2621 Depth=2
	s_delay_alu instid0(SALU_CYCLE_1) | instskip(SKIP_3) | instid1(VALU_DEP_1)
	s_or_b32 exec_lo, exec_lo, s10
	s_wait_loadcnt_dscnt 0x1313
	v_and_b32_e32 v18, 0xff, v92
	s_mov_b32 s10, exec_lo
	v_cmpx_ne_u16_e32 0, v18
	s_cbranch_execz .LBB6_3069
; %bb.3062:                             ;   in Loop: Header=BB6_2621 Depth=2
	v_bfrev_b32_e32 v16, 1
	s_mov_b32 s28, exec_lo
	v_cmpx_ne_u16_e32 0x80, v18
	s_cbranch_execz .LBB6_3068
; %bb.3063:                             ;   in Loop: Header=BB6_2621 Depth=2
	v_and_b32_e32 v19, 0x7f, v92
	v_mov_b32_e32 v16, 0x7f800001
	s_mov_b32 s29, exec_lo
	s_delay_alu instid0(VALU_DEP_2)
	v_cmpx_ne_u32_e32 0x7f, v19
	s_cbranch_execz .LBB6_3067
; %bb.3064:                             ;   in Loop: Header=BB6_2621 Depth=2
	v_dual_lshrrev_b32 v16, 3, v19 :: v_dual_bitop2_b32 v96, 7, v18 bitop3:0x40
	s_mov_b32 s40, exec_lo
	v_cmpx_gt_u32_e32 8, v19
; %bb.3065:                             ;   in Loop: Header=BB6_2621 Depth=2
	s_delay_alu instid0(VALU_DEP_2) | instskip(NEXT) | instid1(VALU_DEP_1)
	v_clz_i32_u32_e32 v16, v96
	v_min_u32_e32 v16, 32, v16
	s_delay_alu instid0(VALU_DEP_1) | instskip(NEXT) | instid1(VALU_DEP_1)
	v_subrev_nc_u32_e32 v18, 28, v16
	v_lshlrev_b64_e32 v[18:19], v18, v[96:97]
	s_delay_alu instid0(VALU_DEP_1)
	v_dual_sub_nc_u32 v16, 29, v16 :: v_dual_bitop2_b32 v96, 7, v18 bitop3:0x40
; %bb.3066:                             ;   in Loop: Header=BB6_2621 Depth=2
	s_or_b32 exec_lo, exec_lo, s40
	v_lshlrev_b32_e32 v18, 24, v92
	s_delay_alu instid0(VALU_DEP_2) | instskip(NEXT) | instid1(VALU_DEP_3)
	v_lshlrev_b32_e32 v19, 20, v96
	v_lshl_add_u32 v16, v16, 23, 0x3c000000
	s_delay_alu instid0(VALU_DEP_3) | instskip(NEXT) | instid1(VALU_DEP_1)
	v_and_b32_e32 v18, 0x80000000, v18
	v_or3_b32 v16, v19, v18, v16
.LBB6_3067:                             ;   in Loop: Header=BB6_2621 Depth=2
	s_or_b32 exec_lo, exec_lo, s29
.LBB6_3068:                             ;   in Loop: Header=BB6_2621 Depth=2
	s_delay_alu instid0(SALU_CYCLE_1)
	s_or_b32 exec_lo, exec_lo, s28
.LBB6_3069:                             ;   in Loop: Header=BB6_2621 Depth=2
	s_delay_alu instid0(SALU_CYCLE_1) | instskip(NEXT) | instid1(VALU_DEP_1)
	s_or_b32 exec_lo, exec_lo, s10
	v_mul_f32_e32 v16, v17, v16
                                        ; implicit-def: $vgpr92
	s_mov_b32 s10, exec_lo
	s_delay_alu instid0(VALU_DEP_1) | instskip(SKIP_1) | instid1(VALU_DEP_2)
	v_and_b32_e32 v96, 0x7f800000, v16
	v_lshrrev_b32_e32 v17, 24, v16
	v_cmpx_ne_u64_e32 0x7f800000, v[96:97]
	s_xor_b32 s28, exec_lo, s10
	s_cbranch_execz .LBB6_3087
; %bb.3070:                             ;   in Loop: Header=BB6_2621 Depth=2
	v_and_b32_e32 v96, 0x7fffffff, v16
	v_and_b32_e32 v31, 0x80, v17
                                        ; implicit-def: $vgpr92
	s_mov_b32 s10, exec_lo
	s_delay_alu instid0(VALU_DEP_2)
	v_cmpx_gt_u64_e32 0x43e00001, v[96:97]
	s_xor_b32 s29, exec_lo, s10
	s_cbranch_execz .LBB6_3084
; %bb.3071:                             ;   in Loop: Header=BB6_2621 Depth=2
	v_mov_b32_e32 v92, 0
	s_mov_b32 s40, exec_lo
	v_cmpx_ne_u32_e32 0, v16
	s_cbranch_execz .LBB6_3083
; %bb.3072:                             ;   in Loop: Header=BB6_2621 Depth=2
	v_bfe_u32 v54, v16, 23, 8
	v_and_b32_e32 v18, 0x7fffff, v16
	s_delay_alu instid0(VALU_DEP_2) | instskip(SKIP_1) | instid1(VALU_DEP_3)
	v_sub_nc_u32_e32 v17, 0x79, v54
	v_cmp_gt_u32_e32 vcc_lo, 0x7a, v54
	v_or_b32_e32 v19, 0x800000, v18
	s_delay_alu instid0(VALU_DEP_3) | instskip(SKIP_1) | instid1(VALU_DEP_2)
	v_cndmask_b32_e32 v17, 0, v17, vcc_lo
	v_cmp_eq_u32_e32 vcc_lo, 0, v54
	v_cndmask_b32_e64 v55, v17, 0x78, vcc_lo
	s_delay_alu instid0(VALU_DEP_1) | instskip(SKIP_1) | instid1(VALU_DEP_2)
	v_dual_cndmask_b32 v96, v19, v18, vcc_lo :: v_dual_add_nc_u32 v66, 19, v55
	v_add_nc_u32_e32 v16, 20, v55
	v_lshlrev_b64_e64 v[18:19], v66, 1
	s_delay_alu instid0(VALU_DEP_2) | instskip(NEXT) | instid1(VALU_DEP_1)
	v_lshlrev_b64_e64 v[16:17], v16, -1
	v_bfi_b32 v67, v17, 0, 0
	s_delay_alu instid0(VALU_DEP_2) | instskip(SKIP_1) | instid1(VALU_DEP_2)
	v_bfi_b32 v66, v16, 0, v96
	v_lshrrev_b64 v[16:17], v55, v[96:97]
	v_cmp_eq_u64_e64 s10, v[66:67], v[18:19]
	s_delay_alu instid0(VALU_DEP_2)
	v_mov_b64_e32 v[18:19], v[16:17]
	s_and_saveexec_b32 s41, s10
; %bb.3073:                             ;   in Loop: Header=BB6_2621 Depth=2
	v_bfe_u32 v96, v16, 20, 1
	s_delay_alu instid0(VALU_DEP_1) | instskip(NEXT) | instid1(VALU_DEP_1)
	v_add_nc_u64_e32 v[18:19], v[16:17], v[96:97]
	v_add_nc_u64_e32 v[18:19], -1, v[18:19]
; %bb.3074:                             ;   in Loop: Header=BB6_2621 Depth=2
	s_or_b32 exec_lo, exec_lo, s41
	v_add_nc_u32_e32 v17, 0xffffff81, v54
	v_lshrrev_b32_e32 v19, 23, v16
	s_mov_b32 s10, exec_lo
	s_delay_alu instid0(VALU_DEP_2) | instskip(NEXT) | instid1(VALU_DEP_1)
	v_cndmask_b32_e64 v17, v17, 0xffffff82, vcc_lo
	v_add3_u32 v19, v55, v17, v19
	v_and_b32_e32 v17, 0xfffff, v18
                                        ; implicit-def: $vgpr18
	s_delay_alu instid0(VALU_DEP_1) | instskip(NEXT) | instid1(VALU_DEP_1)
	v_dual_add_nc_u32 v54, 6, v19 :: v_dual_add_nc_u32 v96, v17, v16
                                        ; implicit-def: $vgpr16_vgpr17
	v_cmpx_ne_u32_e32 0, v54
	s_xor_b32 s10, exec_lo, s10
; %bb.3075:                             ;   in Loop: Header=BB6_2621 Depth=2
	s_delay_alu instid0(VALU_DEP_2) | instskip(SKIP_1) | instid1(VALU_DEP_1)
	v_cmp_lt_u64_e32 vcc_lo, 0xffffff, v[96:97]
	v_add_nc_u32_e32 v16, 7, v19
	v_cndmask_b32_e32 v18, v54, v16, vcc_lo
	v_cndmask_b32_e64 v16, 0, 1, vcc_lo
	s_delay_alu instid0(VALU_DEP_1)
	v_lshrrev_b64 v[16:17], v16, v[96:97]
; %bb.3076:                             ;   in Loop: Header=BB6_2621 Depth=2
	s_and_not1_saveexec_b32 s10, s10
; %bb.3077:                             ;   in Loop: Header=BB6_2621 Depth=2
	v_mov_b64_e32 v[16:17], v[96:97]
	v_bfe_u32 v18, v96, 23, 1
; %bb.3078:                             ;   in Loop: Header=BB6_2621 Depth=2
	s_or_b32 exec_lo, exec_lo, s10
	s_delay_alu instid0(VALU_DEP_2) | instskip(NEXT) | instid1(VALU_DEP_2)
	v_lshrrev_b64 v[16:17], 20, v[16:17]
	v_cmp_gt_i32_e32 vcc_lo, 16, v18
	v_cmp_ne_u32_e64 s10, 0, v18
                                        ; implicit-def: $vgpr92
	s_delay_alu instid0(VALU_DEP_3) | instskip(NEXT) | instid1(VALU_DEP_1)
	v_dual_cndmask_b32 v17, 0, v17 :: v_dual_cndmask_b32 v16, 7, v16
	v_cmp_ne_u64_e32 vcc_lo, 0, v[16:17]
	s_or_b32 s10, s10, vcc_lo
	s_delay_alu instid0(SALU_CYCLE_1) | instskip(NEXT) | instid1(SALU_CYCLE_1)
	s_and_saveexec_b32 s41, s10
	s_xor_b32 s10, exec_lo, s41
; %bb.3079:                             ;   in Loop: Header=BB6_2621 Depth=2
	v_min_i32_e32 v17, 15, v18
	s_delay_alu instid0(VALU_DEP_1) | instskip(NEXT) | instid1(VALU_DEP_1)
	v_lshl_or_b32 v17, v17, 3, v31
                                        ; implicit-def: $vgpr31
	v_and_or_b32 v92, v16, 7, v17
; %bb.3080:                             ;   in Loop: Header=BB6_2621 Depth=2
	s_and_not1_saveexec_b32 s10, s10
; %bb.3081:                             ;   in Loop: Header=BB6_2621 Depth=2
	v_mov_b32_e32 v92, v31
; %bb.3082:                             ;   in Loop: Header=BB6_2621 Depth=2
	s_or_b32 exec_lo, exec_lo, s10
.LBB6_3083:                             ;   in Loop: Header=BB6_2621 Depth=2
	s_delay_alu instid0(SALU_CYCLE_1)
	s_or_b32 exec_lo, exec_lo, s40
                                        ; implicit-def: $vgpr31
.LBB6_3084:                             ;   in Loop: Header=BB6_2621 Depth=2
	s_and_not1_saveexec_b32 s10, s29
; %bb.3085:                             ;   in Loop: Header=BB6_2621 Depth=2
	v_or_b32_e32 v92, 0x7e, v31
; %bb.3086:                             ;   in Loop: Header=BB6_2621 Depth=2
	s_or_b32 exec_lo, exec_lo, s10
                                        ; implicit-def: $vgpr17
.LBB6_3087:                             ;   in Loop: Header=BB6_2621 Depth=2
	s_and_not1_saveexec_b32 s10, s28
; %bb.3088:                             ;   in Loop: Header=BB6_2621 Depth=2
	v_or_b32_e32 v92, 0x7f, v17
; %bb.3089:                             ;   in Loop: Header=BB6_2621 Depth=2
	s_or_b32 exec_lo, exec_lo, s10
	v_and_b32_e32 v18, 0xff, v110
	v_dual_mov_b32 v16, 0 :: v_dual_mov_b32 v17, 0
	s_mov_b32 s10, exec_lo
	s_delay_alu instid0(VALU_DEP_2)
	v_cmpx_ne_u16_e32 0, v18
	s_cbranch_execz .LBB6_3097
; %bb.3090:                             ;   in Loop: Header=BB6_2621 Depth=2
	v_bfrev_b32_e32 v17, 1
	s_mov_b32 s28, exec_lo
	v_cmpx_ne_u16_e32 0x80, v18
	s_cbranch_execz .LBB6_3096
; %bb.3091:                             ;   in Loop: Header=BB6_2621 Depth=2
	v_and_b32_e32 v19, 0x7f, v110
	v_mov_b32_e32 v17, 0x7f800001
	s_mov_b32 s29, exec_lo
	s_delay_alu instid0(VALU_DEP_2)
	v_cmpx_ne_u32_e32 0x7f, v19
	s_cbranch_execz .LBB6_3095
; %bb.3092:                             ;   in Loop: Header=BB6_2621 Depth=2
	v_dual_lshrrev_b32 v17, 3, v19 :: v_dual_bitop2_b32 v96, 7, v18 bitop3:0x40
	s_mov_b32 s40, exec_lo
	v_cmpx_gt_u32_e32 8, v19
; %bb.3093:                             ;   in Loop: Header=BB6_2621 Depth=2
	s_delay_alu instid0(VALU_DEP_2) | instskip(NEXT) | instid1(VALU_DEP_1)
	v_clz_i32_u32_e32 v17, v96
	v_min_u32_e32 v17, 32, v17
	s_delay_alu instid0(VALU_DEP_1) | instskip(NEXT) | instid1(VALU_DEP_1)
	v_subrev_nc_u32_e32 v18, 28, v17
	v_lshlrev_b64_e32 v[18:19], v18, v[96:97]
	s_delay_alu instid0(VALU_DEP_1)
	v_dual_sub_nc_u32 v17, 29, v17 :: v_dual_bitop2_b32 v96, 7, v18 bitop3:0x40
; %bb.3094:                             ;   in Loop: Header=BB6_2621 Depth=2
	s_or_b32 exec_lo, exec_lo, s40
	s_delay_alu instid0(VALU_DEP_1) | instskip(NEXT) | instid1(VALU_DEP_2)
	v_dual_lshlrev_b32 v18, 24, v110 :: v_dual_lshlrev_b32 v19, 20, v96
	v_lshl_add_u32 v17, v17, 23, 0x3c000000
	s_delay_alu instid0(VALU_DEP_2) | instskip(NEXT) | instid1(VALU_DEP_1)
	v_and_b32_e32 v18, 0x80000000, v18
	v_or3_b32 v17, v19, v18, v17
.LBB6_3095:                             ;   in Loop: Header=BB6_2621 Depth=2
	s_or_b32 exec_lo, exec_lo, s29
.LBB6_3096:                             ;   in Loop: Header=BB6_2621 Depth=2
	s_delay_alu instid0(SALU_CYCLE_1)
	s_or_b32 exec_lo, exec_lo, s28
.LBB6_3097:                             ;   in Loop: Header=BB6_2621 Depth=2
	s_delay_alu instid0(SALU_CYCLE_1) | instskip(SKIP_3) | instid1(VALU_DEP_1)
	s_or_b32 exec_lo, exec_lo, s10
	s_wait_loadcnt_dscnt 0x1212
	v_and_b32_e32 v18, 0xff, v95
	s_mov_b32 s10, exec_lo
	v_cmpx_ne_u16_e32 0, v18
	s_cbranch_execz .LBB6_3105
; %bb.3098:                             ;   in Loop: Header=BB6_2621 Depth=2
	v_bfrev_b32_e32 v16, 1
	s_mov_b32 s28, exec_lo
	v_cmpx_ne_u16_e32 0x80, v18
	s_cbranch_execz .LBB6_3104
; %bb.3099:                             ;   in Loop: Header=BB6_2621 Depth=2
	v_and_b32_e32 v19, 0x7f, v95
	v_mov_b32_e32 v16, 0x7f800001
	s_mov_b32 s29, exec_lo
	s_delay_alu instid0(VALU_DEP_2)
	v_cmpx_ne_u32_e32 0x7f, v19
	s_cbranch_execz .LBB6_3103
; %bb.3100:                             ;   in Loop: Header=BB6_2621 Depth=2
	v_dual_lshrrev_b32 v16, 3, v19 :: v_dual_bitop2_b32 v96, 7, v18 bitop3:0x40
	s_mov_b32 s40, exec_lo
	v_cmpx_gt_u32_e32 8, v19
; %bb.3101:                             ;   in Loop: Header=BB6_2621 Depth=2
	s_delay_alu instid0(VALU_DEP_2) | instskip(NEXT) | instid1(VALU_DEP_1)
	v_clz_i32_u32_e32 v16, v96
	v_min_u32_e32 v16, 32, v16
	s_delay_alu instid0(VALU_DEP_1) | instskip(NEXT) | instid1(VALU_DEP_1)
	v_subrev_nc_u32_e32 v18, 28, v16
	v_lshlrev_b64_e32 v[18:19], v18, v[96:97]
	s_delay_alu instid0(VALU_DEP_1)
	v_dual_sub_nc_u32 v16, 29, v16 :: v_dual_bitop2_b32 v96, 7, v18 bitop3:0x40
; %bb.3102:                             ;   in Loop: Header=BB6_2621 Depth=2
	s_or_b32 exec_lo, exec_lo, s40
	s_delay_alu instid0(VALU_DEP_1) | instskip(NEXT) | instid1(VALU_DEP_2)
	v_dual_lshlrev_b32 v18, 24, v95 :: v_dual_lshlrev_b32 v19, 20, v96
	v_lshl_add_u32 v16, v16, 23, 0x3c000000
	s_delay_alu instid0(VALU_DEP_2) | instskip(NEXT) | instid1(VALU_DEP_1)
	v_and_b32_e32 v18, 0x80000000, v18
	v_or3_b32 v16, v19, v18, v16
.LBB6_3103:                             ;   in Loop: Header=BB6_2621 Depth=2
	s_or_b32 exec_lo, exec_lo, s29
.LBB6_3104:                             ;   in Loop: Header=BB6_2621 Depth=2
	s_delay_alu instid0(SALU_CYCLE_1)
	s_or_b32 exec_lo, exec_lo, s28
.LBB6_3105:                             ;   in Loop: Header=BB6_2621 Depth=2
	s_delay_alu instid0(SALU_CYCLE_1) | instskip(NEXT) | instid1(VALU_DEP_1)
	s_or_b32 exec_lo, exec_lo, s10
	v_mul_f32_e32 v16, v17, v16
                                        ; implicit-def: $vgpr95
	s_mov_b32 s10, exec_lo
	s_delay_alu instid0(VALU_DEP_1) | instskip(SKIP_1) | instid1(VALU_DEP_2)
	v_and_b32_e32 v96, 0x7f800000, v16
	v_lshrrev_b32_e32 v17, 24, v16
	v_cmpx_ne_u64_e32 0x7f800000, v[96:97]
	s_xor_b32 s28, exec_lo, s10
	s_cbranch_execz .LBB6_3123
; %bb.3106:                             ;   in Loop: Header=BB6_2621 Depth=2
	v_and_b32_e32 v96, 0x7fffffff, v16
	v_and_b32_e32 v31, 0x80, v17
                                        ; implicit-def: $vgpr95
	s_mov_b32 s10, exec_lo
	s_delay_alu instid0(VALU_DEP_2)
	v_cmpx_gt_u64_e32 0x43e00001, v[96:97]
	s_xor_b32 s29, exec_lo, s10
	s_cbranch_execz .LBB6_3120
; %bb.3107:                             ;   in Loop: Header=BB6_2621 Depth=2
	v_mov_b32_e32 v95, 0
	s_mov_b32 s40, exec_lo
	v_cmpx_ne_u32_e32 0, v16
	s_cbranch_execz .LBB6_3119
; %bb.3108:                             ;   in Loop: Header=BB6_2621 Depth=2
	v_bfe_u32 v54, v16, 23, 8
	v_and_b32_e32 v18, 0x7fffff, v16
	s_delay_alu instid0(VALU_DEP_2) | instskip(SKIP_1) | instid1(VALU_DEP_3)
	v_sub_nc_u32_e32 v17, 0x79, v54
	v_cmp_gt_u32_e32 vcc_lo, 0x7a, v54
	v_or_b32_e32 v19, 0x800000, v18
	s_delay_alu instid0(VALU_DEP_3) | instskip(SKIP_1) | instid1(VALU_DEP_2)
	v_cndmask_b32_e32 v17, 0, v17, vcc_lo
	v_cmp_eq_u32_e32 vcc_lo, 0, v54
	v_cndmask_b32_e64 v55, v17, 0x78, vcc_lo
	s_delay_alu instid0(VALU_DEP_1) | instskip(SKIP_1) | instid1(VALU_DEP_2)
	v_dual_cndmask_b32 v96, v19, v18, vcc_lo :: v_dual_add_nc_u32 v66, 19, v55
	v_add_nc_u32_e32 v16, 20, v55
	v_lshlrev_b64_e64 v[18:19], v66, 1
	s_delay_alu instid0(VALU_DEP_2) | instskip(NEXT) | instid1(VALU_DEP_1)
	v_lshlrev_b64_e64 v[16:17], v16, -1
	v_bfi_b32 v67, v17, 0, 0
	s_delay_alu instid0(VALU_DEP_2) | instskip(SKIP_1) | instid1(VALU_DEP_2)
	v_bfi_b32 v66, v16, 0, v96
	v_lshrrev_b64 v[16:17], v55, v[96:97]
	v_cmp_eq_u64_e64 s10, v[66:67], v[18:19]
	s_delay_alu instid0(VALU_DEP_2)
	v_mov_b64_e32 v[18:19], v[16:17]
	s_and_saveexec_b32 s41, s10
; %bb.3109:                             ;   in Loop: Header=BB6_2621 Depth=2
	v_bfe_u32 v96, v16, 20, 1
	s_delay_alu instid0(VALU_DEP_1) | instskip(NEXT) | instid1(VALU_DEP_1)
	v_add_nc_u64_e32 v[18:19], v[16:17], v[96:97]
	v_add_nc_u64_e32 v[18:19], -1, v[18:19]
; %bb.3110:                             ;   in Loop: Header=BB6_2621 Depth=2
	s_or_b32 exec_lo, exec_lo, s41
	v_add_nc_u32_e32 v17, 0xffffff81, v54
	v_lshrrev_b32_e32 v19, 23, v16
	s_mov_b32 s10, exec_lo
	s_delay_alu instid0(VALU_DEP_2) | instskip(NEXT) | instid1(VALU_DEP_1)
	v_cndmask_b32_e64 v17, v17, 0xffffff82, vcc_lo
	v_add3_u32 v19, v55, v17, v19
	v_and_b32_e32 v17, 0xfffff, v18
                                        ; implicit-def: $vgpr18
	s_delay_alu instid0(VALU_DEP_1) | instskip(NEXT) | instid1(VALU_DEP_1)
	v_dual_add_nc_u32 v54, 6, v19 :: v_dual_add_nc_u32 v96, v17, v16
                                        ; implicit-def: $vgpr16_vgpr17
	v_cmpx_ne_u32_e32 0, v54
	s_xor_b32 s10, exec_lo, s10
; %bb.3111:                             ;   in Loop: Header=BB6_2621 Depth=2
	s_delay_alu instid0(VALU_DEP_2) | instskip(SKIP_1) | instid1(VALU_DEP_1)
	v_cmp_lt_u64_e32 vcc_lo, 0xffffff, v[96:97]
	v_add_nc_u32_e32 v16, 7, v19
	v_cndmask_b32_e32 v18, v54, v16, vcc_lo
	v_cndmask_b32_e64 v16, 0, 1, vcc_lo
	s_delay_alu instid0(VALU_DEP_1)
	v_lshrrev_b64 v[16:17], v16, v[96:97]
; %bb.3112:                             ;   in Loop: Header=BB6_2621 Depth=2
	s_and_not1_saveexec_b32 s10, s10
; %bb.3113:                             ;   in Loop: Header=BB6_2621 Depth=2
	v_mov_b64_e32 v[16:17], v[96:97]
	v_bfe_u32 v18, v96, 23, 1
; %bb.3114:                             ;   in Loop: Header=BB6_2621 Depth=2
	s_or_b32 exec_lo, exec_lo, s10
	s_delay_alu instid0(VALU_DEP_2) | instskip(NEXT) | instid1(VALU_DEP_2)
	v_lshrrev_b64 v[16:17], 20, v[16:17]
	v_cmp_gt_i32_e32 vcc_lo, 16, v18
	v_cmp_ne_u32_e64 s10, 0, v18
                                        ; implicit-def: $vgpr95
	s_delay_alu instid0(VALU_DEP_3) | instskip(NEXT) | instid1(VALU_DEP_1)
	v_dual_cndmask_b32 v17, 0, v17 :: v_dual_cndmask_b32 v16, 7, v16
	v_cmp_ne_u64_e32 vcc_lo, 0, v[16:17]
	s_or_b32 s10, s10, vcc_lo
	s_delay_alu instid0(SALU_CYCLE_1) | instskip(NEXT) | instid1(SALU_CYCLE_1)
	s_and_saveexec_b32 s41, s10
	s_xor_b32 s10, exec_lo, s41
; %bb.3115:                             ;   in Loop: Header=BB6_2621 Depth=2
	v_min_i32_e32 v17, 15, v18
	s_delay_alu instid0(VALU_DEP_1) | instskip(NEXT) | instid1(VALU_DEP_1)
	v_lshl_or_b32 v17, v17, 3, v31
                                        ; implicit-def: $vgpr31
	v_and_or_b32 v95, v16, 7, v17
; %bb.3116:                             ;   in Loop: Header=BB6_2621 Depth=2
	s_and_not1_saveexec_b32 s10, s10
; %bb.3117:                             ;   in Loop: Header=BB6_2621 Depth=2
	v_mov_b32_e32 v95, v31
; %bb.3118:                             ;   in Loop: Header=BB6_2621 Depth=2
	s_or_b32 exec_lo, exec_lo, s10
.LBB6_3119:                             ;   in Loop: Header=BB6_2621 Depth=2
	s_delay_alu instid0(SALU_CYCLE_1)
	s_or_b32 exec_lo, exec_lo, s40
                                        ; implicit-def: $vgpr31
.LBB6_3120:                             ;   in Loop: Header=BB6_2621 Depth=2
	s_and_not1_saveexec_b32 s10, s29
; %bb.3121:                             ;   in Loop: Header=BB6_2621 Depth=2
	v_or_b32_e32 v95, 0x7e, v31
; %bb.3122:                             ;   in Loop: Header=BB6_2621 Depth=2
	s_or_b32 exec_lo, exec_lo, s10
                                        ; implicit-def: $vgpr17
.LBB6_3123:                             ;   in Loop: Header=BB6_2621 Depth=2
	s_and_not1_saveexec_b32 s10, s28
; %bb.3124:                             ;   in Loop: Header=BB6_2621 Depth=2
	v_or_b32_e32 v95, 0x7f, v17
; %bb.3125:                             ;   in Loop: Header=BB6_2621 Depth=2
	s_or_b32 exec_lo, exec_lo, s10
	v_and_b32_e32 v18, 0xff, v109
	v_dual_mov_b32 v16, 0 :: v_dual_mov_b32 v17, 0
	s_mov_b32 s10, exec_lo
	s_delay_alu instid0(VALU_DEP_2)
	v_cmpx_ne_u16_e32 0, v18
	s_cbranch_execz .LBB6_3133
; %bb.3126:                             ;   in Loop: Header=BB6_2621 Depth=2
	v_bfrev_b32_e32 v17, 1
	s_mov_b32 s28, exec_lo
	v_cmpx_ne_u16_e32 0x80, v18
	s_cbranch_execz .LBB6_3132
; %bb.3127:                             ;   in Loop: Header=BB6_2621 Depth=2
	v_and_b32_e32 v19, 0x7f, v109
	v_mov_b32_e32 v17, 0x7f800001
	s_mov_b32 s29, exec_lo
	s_delay_alu instid0(VALU_DEP_2)
	v_cmpx_ne_u32_e32 0x7f, v19
	s_cbranch_execz .LBB6_3131
; %bb.3128:                             ;   in Loop: Header=BB6_2621 Depth=2
	v_dual_lshrrev_b32 v17, 3, v19 :: v_dual_bitop2_b32 v96, 7, v18 bitop3:0x40
	s_mov_b32 s40, exec_lo
	v_cmpx_gt_u32_e32 8, v19
; %bb.3129:                             ;   in Loop: Header=BB6_2621 Depth=2
	s_delay_alu instid0(VALU_DEP_2) | instskip(NEXT) | instid1(VALU_DEP_1)
	v_clz_i32_u32_e32 v17, v96
	v_min_u32_e32 v17, 32, v17
	s_delay_alu instid0(VALU_DEP_1) | instskip(NEXT) | instid1(VALU_DEP_1)
	v_subrev_nc_u32_e32 v18, 28, v17
	v_lshlrev_b64_e32 v[18:19], v18, v[96:97]
	s_delay_alu instid0(VALU_DEP_1)
	v_dual_sub_nc_u32 v17, 29, v17 :: v_dual_bitop2_b32 v96, 7, v18 bitop3:0x40
; %bb.3130:                             ;   in Loop: Header=BB6_2621 Depth=2
	s_or_b32 exec_lo, exec_lo, s40
	s_delay_alu instid0(VALU_DEP_1) | instskip(NEXT) | instid1(VALU_DEP_2)
	v_dual_lshlrev_b32 v18, 24, v109 :: v_dual_lshlrev_b32 v19, 20, v96
	v_lshl_add_u32 v17, v17, 23, 0x3c000000
	s_delay_alu instid0(VALU_DEP_2) | instskip(NEXT) | instid1(VALU_DEP_1)
	v_and_b32_e32 v18, 0x80000000, v18
	v_or3_b32 v17, v19, v18, v17
.LBB6_3131:                             ;   in Loop: Header=BB6_2621 Depth=2
	s_or_b32 exec_lo, exec_lo, s29
.LBB6_3132:                             ;   in Loop: Header=BB6_2621 Depth=2
	s_delay_alu instid0(SALU_CYCLE_1)
	s_or_b32 exec_lo, exec_lo, s28
.LBB6_3133:                             ;   in Loop: Header=BB6_2621 Depth=2
	s_delay_alu instid0(SALU_CYCLE_1) | instskip(SKIP_3) | instid1(VALU_DEP_1)
	s_or_b32 exec_lo, exec_lo, s10
	s_wait_loadcnt_dscnt 0x1111
	v_and_b32_e32 v18, 0xff, v106
	s_mov_b32 s10, exec_lo
	v_cmpx_ne_u16_e32 0, v18
	s_cbranch_execz .LBB6_3141
; %bb.3134:                             ;   in Loop: Header=BB6_2621 Depth=2
	v_bfrev_b32_e32 v16, 1
	s_mov_b32 s28, exec_lo
	v_cmpx_ne_u16_e32 0x80, v18
	s_cbranch_execz .LBB6_3140
; %bb.3135:                             ;   in Loop: Header=BB6_2621 Depth=2
	v_and_b32_e32 v19, 0x7f, v106
	v_mov_b32_e32 v16, 0x7f800001
	s_mov_b32 s29, exec_lo
	s_delay_alu instid0(VALU_DEP_2)
	v_cmpx_ne_u32_e32 0x7f, v19
	s_cbranch_execz .LBB6_3139
; %bb.3136:                             ;   in Loop: Header=BB6_2621 Depth=2
	v_dual_lshrrev_b32 v16, 3, v19 :: v_dual_bitop2_b32 v96, 7, v18 bitop3:0x40
	s_mov_b32 s40, exec_lo
	v_cmpx_gt_u32_e32 8, v19
; %bb.3137:                             ;   in Loop: Header=BB6_2621 Depth=2
	s_delay_alu instid0(VALU_DEP_2) | instskip(NEXT) | instid1(VALU_DEP_1)
	v_clz_i32_u32_e32 v16, v96
	v_min_u32_e32 v16, 32, v16
	s_delay_alu instid0(VALU_DEP_1) | instskip(NEXT) | instid1(VALU_DEP_1)
	v_subrev_nc_u32_e32 v18, 28, v16
	v_lshlrev_b64_e32 v[18:19], v18, v[96:97]
	s_delay_alu instid0(VALU_DEP_1)
	v_dual_sub_nc_u32 v16, 29, v16 :: v_dual_bitop2_b32 v96, 7, v18 bitop3:0x40
; %bb.3138:                             ;   in Loop: Header=BB6_2621 Depth=2
	s_or_b32 exec_lo, exec_lo, s40
	s_delay_alu instid0(VALU_DEP_1) | instskip(NEXT) | instid1(VALU_DEP_2)
	v_dual_lshlrev_b32 v18, 24, v106 :: v_dual_lshlrev_b32 v19, 20, v96
	v_lshl_add_u32 v16, v16, 23, 0x3c000000
	s_delay_alu instid0(VALU_DEP_2) | instskip(NEXT) | instid1(VALU_DEP_1)
	v_and_b32_e32 v18, 0x80000000, v18
	v_or3_b32 v16, v19, v18, v16
.LBB6_3139:                             ;   in Loop: Header=BB6_2621 Depth=2
	s_or_b32 exec_lo, exec_lo, s29
.LBB6_3140:                             ;   in Loop: Header=BB6_2621 Depth=2
	s_delay_alu instid0(SALU_CYCLE_1)
	s_or_b32 exec_lo, exec_lo, s28
.LBB6_3141:                             ;   in Loop: Header=BB6_2621 Depth=2
	s_delay_alu instid0(SALU_CYCLE_1) | instskip(NEXT) | instid1(VALU_DEP_1)
	s_or_b32 exec_lo, exec_lo, s10
	v_mul_f32_e32 v16, v17, v16
                                        ; implicit-def: $vgpr106
	s_mov_b32 s10, exec_lo
	s_delay_alu instid0(VALU_DEP_1) | instskip(SKIP_1) | instid1(VALU_DEP_2)
	v_and_b32_e32 v96, 0x7f800000, v16
	v_lshrrev_b32_e32 v17, 24, v16
	v_cmpx_ne_u64_e32 0x7f800000, v[96:97]
	s_xor_b32 s28, exec_lo, s10
	s_cbranch_execz .LBB6_3159
; %bb.3142:                             ;   in Loop: Header=BB6_2621 Depth=2
	v_and_b32_e32 v96, 0x7fffffff, v16
	v_and_b32_e32 v31, 0x80, v17
                                        ; implicit-def: $vgpr106
	s_mov_b32 s10, exec_lo
	s_delay_alu instid0(VALU_DEP_2)
	v_cmpx_gt_u64_e32 0x43e00001, v[96:97]
	s_xor_b32 s29, exec_lo, s10
	s_cbranch_execz .LBB6_3156
; %bb.3143:                             ;   in Loop: Header=BB6_2621 Depth=2
	v_mov_b32_e32 v106, 0
	s_mov_b32 s40, exec_lo
	v_cmpx_ne_u32_e32 0, v16
	s_cbranch_execz .LBB6_3155
; %bb.3144:                             ;   in Loop: Header=BB6_2621 Depth=2
	v_bfe_u32 v54, v16, 23, 8
	v_and_b32_e32 v18, 0x7fffff, v16
	s_delay_alu instid0(VALU_DEP_2) | instskip(SKIP_1) | instid1(VALU_DEP_3)
	v_sub_nc_u32_e32 v17, 0x79, v54
	v_cmp_gt_u32_e32 vcc_lo, 0x7a, v54
	v_or_b32_e32 v19, 0x800000, v18
	s_delay_alu instid0(VALU_DEP_3) | instskip(SKIP_1) | instid1(VALU_DEP_2)
	v_cndmask_b32_e32 v17, 0, v17, vcc_lo
	v_cmp_eq_u32_e32 vcc_lo, 0, v54
	v_cndmask_b32_e64 v55, v17, 0x78, vcc_lo
	s_delay_alu instid0(VALU_DEP_1) | instskip(SKIP_1) | instid1(VALU_DEP_2)
	v_dual_cndmask_b32 v96, v19, v18, vcc_lo :: v_dual_add_nc_u32 v66, 19, v55
	v_add_nc_u32_e32 v16, 20, v55
	v_lshlrev_b64_e64 v[18:19], v66, 1
	s_delay_alu instid0(VALU_DEP_2) | instskip(NEXT) | instid1(VALU_DEP_1)
	v_lshlrev_b64_e64 v[16:17], v16, -1
	v_bfi_b32 v67, v17, 0, 0
	s_delay_alu instid0(VALU_DEP_2) | instskip(SKIP_1) | instid1(VALU_DEP_2)
	v_bfi_b32 v66, v16, 0, v96
	v_lshrrev_b64 v[16:17], v55, v[96:97]
	v_cmp_eq_u64_e64 s10, v[66:67], v[18:19]
	s_delay_alu instid0(VALU_DEP_2)
	v_mov_b64_e32 v[18:19], v[16:17]
	s_and_saveexec_b32 s41, s10
; %bb.3145:                             ;   in Loop: Header=BB6_2621 Depth=2
	v_bfe_u32 v96, v16, 20, 1
	s_delay_alu instid0(VALU_DEP_1) | instskip(NEXT) | instid1(VALU_DEP_1)
	v_add_nc_u64_e32 v[18:19], v[16:17], v[96:97]
	v_add_nc_u64_e32 v[18:19], -1, v[18:19]
; %bb.3146:                             ;   in Loop: Header=BB6_2621 Depth=2
	s_or_b32 exec_lo, exec_lo, s41
	v_add_nc_u32_e32 v17, 0xffffff81, v54
	v_lshrrev_b32_e32 v19, 23, v16
	s_mov_b32 s10, exec_lo
	s_delay_alu instid0(VALU_DEP_2) | instskip(NEXT) | instid1(VALU_DEP_1)
	v_cndmask_b32_e64 v17, v17, 0xffffff82, vcc_lo
	v_add3_u32 v19, v55, v17, v19
	v_and_b32_e32 v17, 0xfffff, v18
                                        ; implicit-def: $vgpr18
	s_delay_alu instid0(VALU_DEP_1) | instskip(NEXT) | instid1(VALU_DEP_1)
	v_dual_add_nc_u32 v54, 6, v19 :: v_dual_add_nc_u32 v96, v17, v16
                                        ; implicit-def: $vgpr16_vgpr17
	v_cmpx_ne_u32_e32 0, v54
	s_xor_b32 s10, exec_lo, s10
; %bb.3147:                             ;   in Loop: Header=BB6_2621 Depth=2
	s_delay_alu instid0(VALU_DEP_2) | instskip(SKIP_1) | instid1(VALU_DEP_1)
	v_cmp_lt_u64_e32 vcc_lo, 0xffffff, v[96:97]
	v_add_nc_u32_e32 v16, 7, v19
	v_cndmask_b32_e32 v18, v54, v16, vcc_lo
	v_cndmask_b32_e64 v16, 0, 1, vcc_lo
	s_delay_alu instid0(VALU_DEP_1)
	v_lshrrev_b64 v[16:17], v16, v[96:97]
; %bb.3148:                             ;   in Loop: Header=BB6_2621 Depth=2
	s_and_not1_saveexec_b32 s10, s10
; %bb.3149:                             ;   in Loop: Header=BB6_2621 Depth=2
	v_mov_b64_e32 v[16:17], v[96:97]
	v_bfe_u32 v18, v96, 23, 1
; %bb.3150:                             ;   in Loop: Header=BB6_2621 Depth=2
	s_or_b32 exec_lo, exec_lo, s10
	s_delay_alu instid0(VALU_DEP_2) | instskip(NEXT) | instid1(VALU_DEP_2)
	v_lshrrev_b64 v[16:17], 20, v[16:17]
	v_cmp_gt_i32_e32 vcc_lo, 16, v18
	v_cmp_ne_u32_e64 s10, 0, v18
                                        ; implicit-def: $vgpr106
	s_delay_alu instid0(VALU_DEP_3) | instskip(NEXT) | instid1(VALU_DEP_1)
	v_dual_cndmask_b32 v17, 0, v17 :: v_dual_cndmask_b32 v16, 7, v16
	v_cmp_ne_u64_e32 vcc_lo, 0, v[16:17]
	s_or_b32 s10, s10, vcc_lo
	s_delay_alu instid0(SALU_CYCLE_1) | instskip(NEXT) | instid1(SALU_CYCLE_1)
	s_and_saveexec_b32 s41, s10
	s_xor_b32 s10, exec_lo, s41
; %bb.3151:                             ;   in Loop: Header=BB6_2621 Depth=2
	v_min_i32_e32 v17, 15, v18
	s_delay_alu instid0(VALU_DEP_1) | instskip(NEXT) | instid1(VALU_DEP_1)
	v_lshl_or_b32 v17, v17, 3, v31
                                        ; implicit-def: $vgpr31
	v_and_or_b32 v106, v16, 7, v17
; %bb.3152:                             ;   in Loop: Header=BB6_2621 Depth=2
	s_and_not1_saveexec_b32 s10, s10
; %bb.3153:                             ;   in Loop: Header=BB6_2621 Depth=2
	v_mov_b32_e32 v106, v31
; %bb.3154:                             ;   in Loop: Header=BB6_2621 Depth=2
	s_or_b32 exec_lo, exec_lo, s10
.LBB6_3155:                             ;   in Loop: Header=BB6_2621 Depth=2
	s_delay_alu instid0(SALU_CYCLE_1)
	s_or_b32 exec_lo, exec_lo, s40
                                        ; implicit-def: $vgpr31
.LBB6_3156:                             ;   in Loop: Header=BB6_2621 Depth=2
	s_and_not1_saveexec_b32 s10, s29
; %bb.3157:                             ;   in Loop: Header=BB6_2621 Depth=2
	v_or_b32_e32 v106, 0x7e, v31
; %bb.3158:                             ;   in Loop: Header=BB6_2621 Depth=2
	s_or_b32 exec_lo, exec_lo, s10
                                        ; implicit-def: $vgpr17
.LBB6_3159:                             ;   in Loop: Header=BB6_2621 Depth=2
	s_and_not1_saveexec_b32 s10, s28
; %bb.3160:                             ;   in Loop: Header=BB6_2621 Depth=2
	v_or_b32_e32 v106, 0x7f, v17
; %bb.3161:                             ;   in Loop: Header=BB6_2621 Depth=2
	s_or_b32 exec_lo, exec_lo, s10
	v_and_b32_e32 v18, 0xff, v108
	v_dual_mov_b32 v16, 0 :: v_dual_mov_b32 v17, 0
	s_mov_b32 s10, exec_lo
	s_delay_alu instid0(VALU_DEP_2)
	v_cmpx_ne_u16_e32 0, v18
	s_cbranch_execz .LBB6_3169
; %bb.3162:                             ;   in Loop: Header=BB6_2621 Depth=2
	v_bfrev_b32_e32 v17, 1
	s_mov_b32 s28, exec_lo
	v_cmpx_ne_u16_e32 0x80, v18
	s_cbranch_execz .LBB6_3168
; %bb.3163:                             ;   in Loop: Header=BB6_2621 Depth=2
	v_and_b32_e32 v19, 0x7f, v108
	v_mov_b32_e32 v17, 0x7f800001
	s_mov_b32 s29, exec_lo
	s_delay_alu instid0(VALU_DEP_2)
	v_cmpx_ne_u32_e32 0x7f, v19
	s_cbranch_execz .LBB6_3167
; %bb.3164:                             ;   in Loop: Header=BB6_2621 Depth=2
	v_dual_lshrrev_b32 v17, 3, v19 :: v_dual_bitop2_b32 v96, 7, v18 bitop3:0x40
	s_mov_b32 s40, exec_lo
	v_cmpx_gt_u32_e32 8, v19
; %bb.3165:                             ;   in Loop: Header=BB6_2621 Depth=2
	s_delay_alu instid0(VALU_DEP_2) | instskip(NEXT) | instid1(VALU_DEP_1)
	v_clz_i32_u32_e32 v17, v96
	v_min_u32_e32 v17, 32, v17
	s_delay_alu instid0(VALU_DEP_1) | instskip(NEXT) | instid1(VALU_DEP_1)
	v_subrev_nc_u32_e32 v18, 28, v17
	v_lshlrev_b64_e32 v[18:19], v18, v[96:97]
	s_delay_alu instid0(VALU_DEP_1)
	v_dual_sub_nc_u32 v17, 29, v17 :: v_dual_bitop2_b32 v96, 7, v18 bitop3:0x40
; %bb.3166:                             ;   in Loop: Header=BB6_2621 Depth=2
	s_or_b32 exec_lo, exec_lo, s40
	v_lshlrev_b32_e32 v18, 24, v108
	s_delay_alu instid0(VALU_DEP_2) | instskip(NEXT) | instid1(VALU_DEP_3)
	v_lshlrev_b32_e32 v19, 20, v96
	v_lshl_add_u32 v17, v17, 23, 0x3c000000
	s_delay_alu instid0(VALU_DEP_3) | instskip(NEXT) | instid1(VALU_DEP_1)
	v_and_b32_e32 v18, 0x80000000, v18
	v_or3_b32 v17, v19, v18, v17
.LBB6_3167:                             ;   in Loop: Header=BB6_2621 Depth=2
	s_or_b32 exec_lo, exec_lo, s29
.LBB6_3168:                             ;   in Loop: Header=BB6_2621 Depth=2
	s_delay_alu instid0(SALU_CYCLE_1)
	s_or_b32 exec_lo, exec_lo, s28
.LBB6_3169:                             ;   in Loop: Header=BB6_2621 Depth=2
	s_delay_alu instid0(SALU_CYCLE_1) | instskip(SKIP_3) | instid1(VALU_DEP_1)
	s_or_b32 exec_lo, exec_lo, s10
	s_wait_loadcnt_dscnt 0x1010
	v_and_b32_e32 v18, 0xff, v107
	s_mov_b32 s10, exec_lo
	v_cmpx_ne_u16_e32 0, v18
	s_cbranch_execz .LBB6_3177
; %bb.3170:                             ;   in Loop: Header=BB6_2621 Depth=2
	v_bfrev_b32_e32 v16, 1
	s_mov_b32 s28, exec_lo
	v_cmpx_ne_u16_e32 0x80, v18
	s_cbranch_execz .LBB6_3176
; %bb.3171:                             ;   in Loop: Header=BB6_2621 Depth=2
	v_and_b32_e32 v19, 0x7f, v107
	v_mov_b32_e32 v16, 0x7f800001
	s_mov_b32 s29, exec_lo
	s_delay_alu instid0(VALU_DEP_2)
	v_cmpx_ne_u32_e32 0x7f, v19
	s_cbranch_execz .LBB6_3175
; %bb.3172:                             ;   in Loop: Header=BB6_2621 Depth=2
	v_dual_lshrrev_b32 v16, 3, v19 :: v_dual_bitop2_b32 v96, 7, v18 bitop3:0x40
	s_mov_b32 s40, exec_lo
	v_cmpx_gt_u32_e32 8, v19
; %bb.3173:                             ;   in Loop: Header=BB6_2621 Depth=2
	s_delay_alu instid0(VALU_DEP_2) | instskip(NEXT) | instid1(VALU_DEP_1)
	v_clz_i32_u32_e32 v16, v96
	v_min_u32_e32 v16, 32, v16
	s_delay_alu instid0(VALU_DEP_1) | instskip(NEXT) | instid1(VALU_DEP_1)
	v_subrev_nc_u32_e32 v18, 28, v16
	v_lshlrev_b64_e32 v[18:19], v18, v[96:97]
	s_delay_alu instid0(VALU_DEP_1)
	v_dual_sub_nc_u32 v16, 29, v16 :: v_dual_bitop2_b32 v96, 7, v18 bitop3:0x40
; %bb.3174:                             ;   in Loop: Header=BB6_2621 Depth=2
	s_or_b32 exec_lo, exec_lo, s40
	s_delay_alu instid0(VALU_DEP_1) | instskip(NEXT) | instid1(VALU_DEP_2)
	v_dual_lshlrev_b32 v18, 24, v107 :: v_dual_lshlrev_b32 v19, 20, v96
	v_lshl_add_u32 v16, v16, 23, 0x3c000000
	s_delay_alu instid0(VALU_DEP_2) | instskip(NEXT) | instid1(VALU_DEP_1)
	v_and_b32_e32 v18, 0x80000000, v18
	v_or3_b32 v16, v19, v18, v16
.LBB6_3175:                             ;   in Loop: Header=BB6_2621 Depth=2
	s_or_b32 exec_lo, exec_lo, s29
.LBB6_3176:                             ;   in Loop: Header=BB6_2621 Depth=2
	s_delay_alu instid0(SALU_CYCLE_1)
	s_or_b32 exec_lo, exec_lo, s28
.LBB6_3177:                             ;   in Loop: Header=BB6_2621 Depth=2
	s_delay_alu instid0(SALU_CYCLE_1) | instskip(NEXT) | instid1(VALU_DEP_1)
	s_or_b32 exec_lo, exec_lo, s10
	v_mul_f32_e32 v16, v17, v16
                                        ; implicit-def: $vgpr107
	s_mov_b32 s10, exec_lo
	s_delay_alu instid0(VALU_DEP_1) | instskip(SKIP_1) | instid1(VALU_DEP_2)
	v_and_b32_e32 v96, 0x7f800000, v16
	v_lshrrev_b32_e32 v17, 24, v16
	v_cmpx_ne_u64_e32 0x7f800000, v[96:97]
	s_xor_b32 s28, exec_lo, s10
	s_cbranch_execz .LBB6_3195
; %bb.3178:                             ;   in Loop: Header=BB6_2621 Depth=2
	v_and_b32_e32 v96, 0x7fffffff, v16
	v_and_b32_e32 v31, 0x80, v17
                                        ; implicit-def: $vgpr107
	s_mov_b32 s10, exec_lo
	s_delay_alu instid0(VALU_DEP_2)
	v_cmpx_gt_u64_e32 0x43e00001, v[96:97]
	s_xor_b32 s29, exec_lo, s10
	s_cbranch_execz .LBB6_3192
; %bb.3179:                             ;   in Loop: Header=BB6_2621 Depth=2
	v_mov_b32_e32 v107, 0
	s_mov_b32 s40, exec_lo
	v_cmpx_ne_u32_e32 0, v16
	s_cbranch_execz .LBB6_3191
; %bb.3180:                             ;   in Loop: Header=BB6_2621 Depth=2
	v_bfe_u32 v54, v16, 23, 8
	v_and_b32_e32 v18, 0x7fffff, v16
	s_delay_alu instid0(VALU_DEP_2) | instskip(SKIP_1) | instid1(VALU_DEP_3)
	v_sub_nc_u32_e32 v17, 0x79, v54
	v_cmp_gt_u32_e32 vcc_lo, 0x7a, v54
	v_or_b32_e32 v19, 0x800000, v18
	s_delay_alu instid0(VALU_DEP_3) | instskip(SKIP_1) | instid1(VALU_DEP_2)
	v_cndmask_b32_e32 v17, 0, v17, vcc_lo
	v_cmp_eq_u32_e32 vcc_lo, 0, v54
	v_cndmask_b32_e64 v55, v17, 0x78, vcc_lo
	s_delay_alu instid0(VALU_DEP_1) | instskip(SKIP_1) | instid1(VALU_DEP_2)
	v_dual_cndmask_b32 v96, v19, v18, vcc_lo :: v_dual_add_nc_u32 v66, 19, v55
	v_add_nc_u32_e32 v16, 20, v55
	v_lshlrev_b64_e64 v[18:19], v66, 1
	s_delay_alu instid0(VALU_DEP_2) | instskip(NEXT) | instid1(VALU_DEP_1)
	v_lshlrev_b64_e64 v[16:17], v16, -1
	v_bfi_b32 v67, v17, 0, 0
	s_delay_alu instid0(VALU_DEP_2) | instskip(SKIP_1) | instid1(VALU_DEP_2)
	v_bfi_b32 v66, v16, 0, v96
	v_lshrrev_b64 v[16:17], v55, v[96:97]
	v_cmp_eq_u64_e64 s10, v[66:67], v[18:19]
	s_delay_alu instid0(VALU_DEP_2)
	v_mov_b64_e32 v[18:19], v[16:17]
	s_and_saveexec_b32 s41, s10
; %bb.3181:                             ;   in Loop: Header=BB6_2621 Depth=2
	v_bfe_u32 v96, v16, 20, 1
	s_delay_alu instid0(VALU_DEP_1) | instskip(NEXT) | instid1(VALU_DEP_1)
	v_add_nc_u64_e32 v[18:19], v[16:17], v[96:97]
	v_add_nc_u64_e32 v[18:19], -1, v[18:19]
; %bb.3182:                             ;   in Loop: Header=BB6_2621 Depth=2
	s_or_b32 exec_lo, exec_lo, s41
	v_add_nc_u32_e32 v17, 0xffffff81, v54
	v_lshrrev_b32_e32 v19, 23, v16
	s_mov_b32 s10, exec_lo
	s_delay_alu instid0(VALU_DEP_2) | instskip(NEXT) | instid1(VALU_DEP_1)
	v_cndmask_b32_e64 v17, v17, 0xffffff82, vcc_lo
	v_add3_u32 v19, v55, v17, v19
	v_and_b32_e32 v17, 0xfffff, v18
                                        ; implicit-def: $vgpr18
	s_delay_alu instid0(VALU_DEP_1) | instskip(NEXT) | instid1(VALU_DEP_1)
	v_dual_add_nc_u32 v54, 6, v19 :: v_dual_add_nc_u32 v96, v17, v16
                                        ; implicit-def: $vgpr16_vgpr17
	v_cmpx_ne_u32_e32 0, v54
	s_xor_b32 s10, exec_lo, s10
; %bb.3183:                             ;   in Loop: Header=BB6_2621 Depth=2
	s_delay_alu instid0(VALU_DEP_2) | instskip(SKIP_1) | instid1(VALU_DEP_1)
	v_cmp_lt_u64_e32 vcc_lo, 0xffffff, v[96:97]
	v_add_nc_u32_e32 v16, 7, v19
	v_cndmask_b32_e32 v18, v54, v16, vcc_lo
	v_cndmask_b32_e64 v16, 0, 1, vcc_lo
	s_delay_alu instid0(VALU_DEP_1)
	v_lshrrev_b64 v[16:17], v16, v[96:97]
; %bb.3184:                             ;   in Loop: Header=BB6_2621 Depth=2
	s_and_not1_saveexec_b32 s10, s10
; %bb.3185:                             ;   in Loop: Header=BB6_2621 Depth=2
	v_mov_b64_e32 v[16:17], v[96:97]
	v_bfe_u32 v18, v96, 23, 1
; %bb.3186:                             ;   in Loop: Header=BB6_2621 Depth=2
	s_or_b32 exec_lo, exec_lo, s10
	s_delay_alu instid0(VALU_DEP_2) | instskip(NEXT) | instid1(VALU_DEP_2)
	v_lshrrev_b64 v[16:17], 20, v[16:17]
	v_cmp_gt_i32_e32 vcc_lo, 16, v18
	v_cmp_ne_u32_e64 s10, 0, v18
                                        ; implicit-def: $vgpr107
	s_delay_alu instid0(VALU_DEP_3) | instskip(NEXT) | instid1(VALU_DEP_1)
	v_dual_cndmask_b32 v17, 0, v17 :: v_dual_cndmask_b32 v16, 7, v16
	v_cmp_ne_u64_e32 vcc_lo, 0, v[16:17]
	s_or_b32 s10, s10, vcc_lo
	s_delay_alu instid0(SALU_CYCLE_1) | instskip(NEXT) | instid1(SALU_CYCLE_1)
	s_and_saveexec_b32 s41, s10
	s_xor_b32 s10, exec_lo, s41
; %bb.3187:                             ;   in Loop: Header=BB6_2621 Depth=2
	v_min_i32_e32 v17, 15, v18
	s_delay_alu instid0(VALU_DEP_1) | instskip(NEXT) | instid1(VALU_DEP_1)
	v_lshl_or_b32 v17, v17, 3, v31
                                        ; implicit-def: $vgpr31
	v_and_or_b32 v107, v16, 7, v17
; %bb.3188:                             ;   in Loop: Header=BB6_2621 Depth=2
	s_and_not1_saveexec_b32 s10, s10
; %bb.3189:                             ;   in Loop: Header=BB6_2621 Depth=2
	v_mov_b32_e32 v107, v31
; %bb.3190:                             ;   in Loop: Header=BB6_2621 Depth=2
	s_or_b32 exec_lo, exec_lo, s10
.LBB6_3191:                             ;   in Loop: Header=BB6_2621 Depth=2
	s_delay_alu instid0(SALU_CYCLE_1)
	s_or_b32 exec_lo, exec_lo, s40
                                        ; implicit-def: $vgpr31
.LBB6_3192:                             ;   in Loop: Header=BB6_2621 Depth=2
	s_and_not1_saveexec_b32 s10, s29
; %bb.3193:                             ;   in Loop: Header=BB6_2621 Depth=2
	v_or_b32_e32 v107, 0x7e, v31
; %bb.3194:                             ;   in Loop: Header=BB6_2621 Depth=2
	s_or_b32 exec_lo, exec_lo, s10
                                        ; implicit-def: $vgpr17
.LBB6_3195:                             ;   in Loop: Header=BB6_2621 Depth=2
	s_and_not1_saveexec_b32 s10, s28
; %bb.3196:                             ;   in Loop: Header=BB6_2621 Depth=2
	v_or_b32_e32 v107, 0x7f, v17
; %bb.3197:                             ;   in Loop: Header=BB6_2621 Depth=2
	s_or_b32 exec_lo, exec_lo, s10
	v_and_b32_e32 v18, 0xff, v105
	v_dual_mov_b32 v16, 0 :: v_dual_mov_b32 v17, 0
	s_mov_b32 s10, exec_lo
	s_delay_alu instid0(VALU_DEP_2)
	v_cmpx_ne_u16_e32 0, v18
	s_cbranch_execz .LBB6_3205
; %bb.3198:                             ;   in Loop: Header=BB6_2621 Depth=2
	v_bfrev_b32_e32 v17, 1
	s_mov_b32 s28, exec_lo
	v_cmpx_ne_u16_e32 0x80, v18
	s_cbranch_execz .LBB6_3204
; %bb.3199:                             ;   in Loop: Header=BB6_2621 Depth=2
	v_and_b32_e32 v19, 0x7f, v105
	v_mov_b32_e32 v17, 0x7f800001
	s_mov_b32 s29, exec_lo
	s_delay_alu instid0(VALU_DEP_2)
	v_cmpx_ne_u32_e32 0x7f, v19
	s_cbranch_execz .LBB6_3203
; %bb.3200:                             ;   in Loop: Header=BB6_2621 Depth=2
	v_dual_lshrrev_b32 v17, 3, v19 :: v_dual_bitop2_b32 v96, 7, v18 bitop3:0x40
	s_mov_b32 s40, exec_lo
	v_cmpx_gt_u32_e32 8, v19
; %bb.3201:                             ;   in Loop: Header=BB6_2621 Depth=2
	s_delay_alu instid0(VALU_DEP_2) | instskip(NEXT) | instid1(VALU_DEP_1)
	v_clz_i32_u32_e32 v17, v96
	v_min_u32_e32 v17, 32, v17
	s_delay_alu instid0(VALU_DEP_1) | instskip(NEXT) | instid1(VALU_DEP_1)
	v_subrev_nc_u32_e32 v18, 28, v17
	v_lshlrev_b64_e32 v[18:19], v18, v[96:97]
	s_delay_alu instid0(VALU_DEP_1)
	v_dual_sub_nc_u32 v17, 29, v17 :: v_dual_bitop2_b32 v96, 7, v18 bitop3:0x40
; %bb.3202:                             ;   in Loop: Header=BB6_2621 Depth=2
	s_or_b32 exec_lo, exec_lo, s40
	s_delay_alu instid0(VALU_DEP_1) | instskip(NEXT) | instid1(VALU_DEP_2)
	v_dual_lshlrev_b32 v18, 24, v105 :: v_dual_lshlrev_b32 v19, 20, v96
	v_lshl_add_u32 v17, v17, 23, 0x3c000000
	s_delay_alu instid0(VALU_DEP_2) | instskip(NEXT) | instid1(VALU_DEP_1)
	v_and_b32_e32 v18, 0x80000000, v18
	v_or3_b32 v17, v19, v18, v17
.LBB6_3203:                             ;   in Loop: Header=BB6_2621 Depth=2
	s_or_b32 exec_lo, exec_lo, s29
.LBB6_3204:                             ;   in Loop: Header=BB6_2621 Depth=2
	s_delay_alu instid0(SALU_CYCLE_1)
	s_or_b32 exec_lo, exec_lo, s28
.LBB6_3205:                             ;   in Loop: Header=BB6_2621 Depth=2
	s_delay_alu instid0(SALU_CYCLE_1) | instskip(SKIP_3) | instid1(VALU_DEP_1)
	s_or_b32 exec_lo, exec_lo, s10
	s_wait_loadcnt_dscnt 0xf0f
	v_and_b32_e32 v18, 0xff, v104
	s_mov_b32 s10, exec_lo
	v_cmpx_ne_u16_e32 0, v18
	s_cbranch_execz .LBB6_3213
; %bb.3206:                             ;   in Loop: Header=BB6_2621 Depth=2
	v_bfrev_b32_e32 v16, 1
	s_mov_b32 s28, exec_lo
	v_cmpx_ne_u16_e32 0x80, v18
	s_cbranch_execz .LBB6_3212
; %bb.3207:                             ;   in Loop: Header=BB6_2621 Depth=2
	v_and_b32_e32 v19, 0x7f, v104
	v_mov_b32_e32 v16, 0x7f800001
	s_mov_b32 s29, exec_lo
	s_delay_alu instid0(VALU_DEP_2)
	v_cmpx_ne_u32_e32 0x7f, v19
	s_cbranch_execz .LBB6_3211
; %bb.3208:                             ;   in Loop: Header=BB6_2621 Depth=2
	v_dual_lshrrev_b32 v16, 3, v19 :: v_dual_bitop2_b32 v96, 7, v18 bitop3:0x40
	s_mov_b32 s40, exec_lo
	v_cmpx_gt_u32_e32 8, v19
; %bb.3209:                             ;   in Loop: Header=BB6_2621 Depth=2
	s_delay_alu instid0(VALU_DEP_2) | instskip(NEXT) | instid1(VALU_DEP_1)
	v_clz_i32_u32_e32 v16, v96
	v_min_u32_e32 v16, 32, v16
	s_delay_alu instid0(VALU_DEP_1) | instskip(NEXT) | instid1(VALU_DEP_1)
	v_subrev_nc_u32_e32 v18, 28, v16
	v_lshlrev_b64_e32 v[18:19], v18, v[96:97]
	s_delay_alu instid0(VALU_DEP_1)
	v_dual_sub_nc_u32 v16, 29, v16 :: v_dual_bitop2_b32 v96, 7, v18 bitop3:0x40
; %bb.3210:                             ;   in Loop: Header=BB6_2621 Depth=2
	s_or_b32 exec_lo, exec_lo, s40
	v_lshlrev_b32_e32 v18, 24, v104
	s_delay_alu instid0(VALU_DEP_2) | instskip(NEXT) | instid1(VALU_DEP_3)
	v_lshlrev_b32_e32 v19, 20, v96
	v_lshl_add_u32 v16, v16, 23, 0x3c000000
	s_delay_alu instid0(VALU_DEP_3) | instskip(NEXT) | instid1(VALU_DEP_1)
	v_and_b32_e32 v18, 0x80000000, v18
	v_or3_b32 v16, v19, v18, v16
.LBB6_3211:                             ;   in Loop: Header=BB6_2621 Depth=2
	s_or_b32 exec_lo, exec_lo, s29
.LBB6_3212:                             ;   in Loop: Header=BB6_2621 Depth=2
	s_delay_alu instid0(SALU_CYCLE_1)
	s_or_b32 exec_lo, exec_lo, s28
.LBB6_3213:                             ;   in Loop: Header=BB6_2621 Depth=2
	s_delay_alu instid0(SALU_CYCLE_1) | instskip(NEXT) | instid1(VALU_DEP_1)
	s_or_b32 exec_lo, exec_lo, s10
	v_mul_f32_e32 v16, v17, v16
                                        ; implicit-def: $vgpr104
	s_mov_b32 s10, exec_lo
	s_delay_alu instid0(VALU_DEP_1) | instskip(SKIP_1) | instid1(VALU_DEP_2)
	v_and_b32_e32 v96, 0x7f800000, v16
	v_lshrrev_b32_e32 v17, 24, v16
	v_cmpx_ne_u64_e32 0x7f800000, v[96:97]
	s_xor_b32 s28, exec_lo, s10
	s_cbranch_execz .LBB6_3231
; %bb.3214:                             ;   in Loop: Header=BB6_2621 Depth=2
	v_and_b32_e32 v96, 0x7fffffff, v16
	v_and_b32_e32 v31, 0x80, v17
                                        ; implicit-def: $vgpr104
	s_mov_b32 s10, exec_lo
	s_delay_alu instid0(VALU_DEP_2)
	v_cmpx_gt_u64_e32 0x43e00001, v[96:97]
	s_xor_b32 s29, exec_lo, s10
	s_cbranch_execz .LBB6_3228
; %bb.3215:                             ;   in Loop: Header=BB6_2621 Depth=2
	v_mov_b32_e32 v104, 0
	s_mov_b32 s40, exec_lo
	v_cmpx_ne_u32_e32 0, v16
	s_cbranch_execz .LBB6_3227
; %bb.3216:                             ;   in Loop: Header=BB6_2621 Depth=2
	v_bfe_u32 v54, v16, 23, 8
	v_and_b32_e32 v18, 0x7fffff, v16
	s_delay_alu instid0(VALU_DEP_2) | instskip(SKIP_1) | instid1(VALU_DEP_3)
	v_sub_nc_u32_e32 v17, 0x79, v54
	v_cmp_gt_u32_e32 vcc_lo, 0x7a, v54
	v_or_b32_e32 v19, 0x800000, v18
	s_delay_alu instid0(VALU_DEP_3) | instskip(SKIP_1) | instid1(VALU_DEP_2)
	v_cndmask_b32_e32 v17, 0, v17, vcc_lo
	v_cmp_eq_u32_e32 vcc_lo, 0, v54
	v_cndmask_b32_e64 v55, v17, 0x78, vcc_lo
	s_delay_alu instid0(VALU_DEP_1) | instskip(SKIP_1) | instid1(VALU_DEP_2)
	v_dual_cndmask_b32 v96, v19, v18, vcc_lo :: v_dual_add_nc_u32 v66, 19, v55
	v_add_nc_u32_e32 v16, 20, v55
	v_lshlrev_b64_e64 v[18:19], v66, 1
	s_delay_alu instid0(VALU_DEP_2) | instskip(NEXT) | instid1(VALU_DEP_1)
	v_lshlrev_b64_e64 v[16:17], v16, -1
	v_bfi_b32 v67, v17, 0, 0
	s_delay_alu instid0(VALU_DEP_2) | instskip(SKIP_1) | instid1(VALU_DEP_2)
	v_bfi_b32 v66, v16, 0, v96
	v_lshrrev_b64 v[16:17], v55, v[96:97]
	v_cmp_eq_u64_e64 s10, v[66:67], v[18:19]
	s_delay_alu instid0(VALU_DEP_2)
	v_mov_b64_e32 v[18:19], v[16:17]
	s_and_saveexec_b32 s41, s10
; %bb.3217:                             ;   in Loop: Header=BB6_2621 Depth=2
	v_bfe_u32 v96, v16, 20, 1
	s_delay_alu instid0(VALU_DEP_1) | instskip(NEXT) | instid1(VALU_DEP_1)
	v_add_nc_u64_e32 v[18:19], v[16:17], v[96:97]
	v_add_nc_u64_e32 v[18:19], -1, v[18:19]
; %bb.3218:                             ;   in Loop: Header=BB6_2621 Depth=2
	s_or_b32 exec_lo, exec_lo, s41
	v_add_nc_u32_e32 v17, 0xffffff81, v54
	v_lshrrev_b32_e32 v19, 23, v16
	s_mov_b32 s10, exec_lo
	s_delay_alu instid0(VALU_DEP_2) | instskip(NEXT) | instid1(VALU_DEP_1)
	v_cndmask_b32_e64 v17, v17, 0xffffff82, vcc_lo
	v_add3_u32 v19, v55, v17, v19
	v_and_b32_e32 v17, 0xfffff, v18
                                        ; implicit-def: $vgpr18
	s_delay_alu instid0(VALU_DEP_1) | instskip(NEXT) | instid1(VALU_DEP_1)
	v_dual_add_nc_u32 v54, 6, v19 :: v_dual_add_nc_u32 v96, v17, v16
                                        ; implicit-def: $vgpr16_vgpr17
	v_cmpx_ne_u32_e32 0, v54
	s_xor_b32 s10, exec_lo, s10
; %bb.3219:                             ;   in Loop: Header=BB6_2621 Depth=2
	s_delay_alu instid0(VALU_DEP_2) | instskip(SKIP_1) | instid1(VALU_DEP_1)
	v_cmp_lt_u64_e32 vcc_lo, 0xffffff, v[96:97]
	v_add_nc_u32_e32 v16, 7, v19
	v_cndmask_b32_e32 v18, v54, v16, vcc_lo
	v_cndmask_b32_e64 v16, 0, 1, vcc_lo
	s_delay_alu instid0(VALU_DEP_1)
	v_lshrrev_b64 v[16:17], v16, v[96:97]
; %bb.3220:                             ;   in Loop: Header=BB6_2621 Depth=2
	s_and_not1_saveexec_b32 s10, s10
; %bb.3221:                             ;   in Loop: Header=BB6_2621 Depth=2
	v_mov_b64_e32 v[16:17], v[96:97]
	v_bfe_u32 v18, v96, 23, 1
; %bb.3222:                             ;   in Loop: Header=BB6_2621 Depth=2
	s_or_b32 exec_lo, exec_lo, s10
	s_delay_alu instid0(VALU_DEP_2) | instskip(NEXT) | instid1(VALU_DEP_2)
	v_lshrrev_b64 v[16:17], 20, v[16:17]
	v_cmp_gt_i32_e32 vcc_lo, 16, v18
	v_cmp_ne_u32_e64 s10, 0, v18
                                        ; implicit-def: $vgpr104
	s_delay_alu instid0(VALU_DEP_3) | instskip(NEXT) | instid1(VALU_DEP_1)
	v_dual_cndmask_b32 v17, 0, v17 :: v_dual_cndmask_b32 v16, 7, v16
	v_cmp_ne_u64_e32 vcc_lo, 0, v[16:17]
	s_or_b32 s10, s10, vcc_lo
	s_delay_alu instid0(SALU_CYCLE_1) | instskip(NEXT) | instid1(SALU_CYCLE_1)
	s_and_saveexec_b32 s41, s10
	s_xor_b32 s10, exec_lo, s41
; %bb.3223:                             ;   in Loop: Header=BB6_2621 Depth=2
	v_min_i32_e32 v17, 15, v18
	s_delay_alu instid0(VALU_DEP_1) | instskip(NEXT) | instid1(VALU_DEP_1)
	v_lshl_or_b32 v17, v17, 3, v31
                                        ; implicit-def: $vgpr31
	v_and_or_b32 v104, v16, 7, v17
; %bb.3224:                             ;   in Loop: Header=BB6_2621 Depth=2
	s_and_not1_saveexec_b32 s10, s10
; %bb.3225:                             ;   in Loop: Header=BB6_2621 Depth=2
	v_mov_b32_e32 v104, v31
; %bb.3226:                             ;   in Loop: Header=BB6_2621 Depth=2
	s_or_b32 exec_lo, exec_lo, s10
.LBB6_3227:                             ;   in Loop: Header=BB6_2621 Depth=2
	s_delay_alu instid0(SALU_CYCLE_1)
	s_or_b32 exec_lo, exec_lo, s40
                                        ; implicit-def: $vgpr31
.LBB6_3228:                             ;   in Loop: Header=BB6_2621 Depth=2
	s_and_not1_saveexec_b32 s10, s29
; %bb.3229:                             ;   in Loop: Header=BB6_2621 Depth=2
	v_or_b32_e32 v104, 0x7e, v31
; %bb.3230:                             ;   in Loop: Header=BB6_2621 Depth=2
	s_or_b32 exec_lo, exec_lo, s10
                                        ; implicit-def: $vgpr17
.LBB6_3231:                             ;   in Loop: Header=BB6_2621 Depth=2
	s_and_not1_saveexec_b32 s10, s28
; %bb.3232:                             ;   in Loop: Header=BB6_2621 Depth=2
	v_or_b32_e32 v104, 0x7f, v17
; %bb.3233:                             ;   in Loop: Header=BB6_2621 Depth=2
	s_or_b32 exec_lo, exec_lo, s10
	v_and_b32_e32 v18, 0xff, v94
	v_dual_mov_b32 v16, 0 :: v_dual_mov_b32 v17, 0
	s_mov_b32 s10, exec_lo
	s_delay_alu instid0(VALU_DEP_2)
	v_cmpx_ne_u16_e32 0, v18
	s_cbranch_execz .LBB6_3241
; %bb.3234:                             ;   in Loop: Header=BB6_2621 Depth=2
	v_bfrev_b32_e32 v17, 1
	s_mov_b32 s28, exec_lo
	v_cmpx_ne_u16_e32 0x80, v18
	s_cbranch_execz .LBB6_3240
; %bb.3235:                             ;   in Loop: Header=BB6_2621 Depth=2
	v_and_b32_e32 v19, 0x7f, v94
	v_mov_b32_e32 v17, 0x7f800001
	s_mov_b32 s29, exec_lo
	s_delay_alu instid0(VALU_DEP_2)
	v_cmpx_ne_u32_e32 0x7f, v19
	s_cbranch_execz .LBB6_3239
; %bb.3236:                             ;   in Loop: Header=BB6_2621 Depth=2
	v_dual_lshrrev_b32 v17, 3, v19 :: v_dual_bitop2_b32 v96, 7, v18 bitop3:0x40
	s_mov_b32 s40, exec_lo
	v_cmpx_gt_u32_e32 8, v19
; %bb.3237:                             ;   in Loop: Header=BB6_2621 Depth=2
	s_delay_alu instid0(VALU_DEP_2) | instskip(NEXT) | instid1(VALU_DEP_1)
	v_clz_i32_u32_e32 v17, v96
	v_min_u32_e32 v17, 32, v17
	s_delay_alu instid0(VALU_DEP_1) | instskip(NEXT) | instid1(VALU_DEP_1)
	v_subrev_nc_u32_e32 v18, 28, v17
	v_lshlrev_b64_e32 v[18:19], v18, v[96:97]
	s_delay_alu instid0(VALU_DEP_1)
	v_dual_sub_nc_u32 v17, 29, v17 :: v_dual_bitop2_b32 v96, 7, v18 bitop3:0x40
; %bb.3238:                             ;   in Loop: Header=BB6_2621 Depth=2
	s_or_b32 exec_lo, exec_lo, s40
	s_delay_alu instid0(VALU_DEP_1) | instskip(NEXT) | instid1(VALU_DEP_2)
	v_dual_lshlrev_b32 v18, 24, v94 :: v_dual_lshlrev_b32 v19, 20, v96
	v_lshl_add_u32 v17, v17, 23, 0x3c000000
	s_delay_alu instid0(VALU_DEP_2) | instskip(NEXT) | instid1(VALU_DEP_1)
	v_and_b32_e32 v18, 0x80000000, v18
	v_or3_b32 v17, v19, v18, v17
.LBB6_3239:                             ;   in Loop: Header=BB6_2621 Depth=2
	s_or_b32 exec_lo, exec_lo, s29
.LBB6_3240:                             ;   in Loop: Header=BB6_2621 Depth=2
	s_delay_alu instid0(SALU_CYCLE_1)
	s_or_b32 exec_lo, exec_lo, s28
.LBB6_3241:                             ;   in Loop: Header=BB6_2621 Depth=2
	s_delay_alu instid0(SALU_CYCLE_1) | instskip(SKIP_3) | instid1(VALU_DEP_1)
	s_or_b32 exec_lo, exec_lo, s10
	s_wait_loadcnt_dscnt 0xe0e
	v_and_b32_e32 v18, 0xff, v93
	s_mov_b32 s10, exec_lo
	v_cmpx_ne_u16_e32 0, v18
	s_cbranch_execz .LBB6_3249
; %bb.3242:                             ;   in Loop: Header=BB6_2621 Depth=2
	v_bfrev_b32_e32 v16, 1
	s_mov_b32 s28, exec_lo
	v_cmpx_ne_u16_e32 0x80, v18
	s_cbranch_execz .LBB6_3248
; %bb.3243:                             ;   in Loop: Header=BB6_2621 Depth=2
	v_and_b32_e32 v19, 0x7f, v93
	v_mov_b32_e32 v16, 0x7f800001
	s_mov_b32 s29, exec_lo
	s_delay_alu instid0(VALU_DEP_2)
	v_cmpx_ne_u32_e32 0x7f, v19
	s_cbranch_execz .LBB6_3247
; %bb.3244:                             ;   in Loop: Header=BB6_2621 Depth=2
	v_dual_lshrrev_b32 v16, 3, v19 :: v_dual_bitop2_b32 v96, 7, v18 bitop3:0x40
	s_mov_b32 s40, exec_lo
	v_cmpx_gt_u32_e32 8, v19
; %bb.3245:                             ;   in Loop: Header=BB6_2621 Depth=2
	s_delay_alu instid0(VALU_DEP_2) | instskip(NEXT) | instid1(VALU_DEP_1)
	v_clz_i32_u32_e32 v16, v96
	v_min_u32_e32 v16, 32, v16
	s_delay_alu instid0(VALU_DEP_1) | instskip(NEXT) | instid1(VALU_DEP_1)
	v_subrev_nc_u32_e32 v18, 28, v16
	v_lshlrev_b64_e32 v[18:19], v18, v[96:97]
	s_delay_alu instid0(VALU_DEP_1)
	v_dual_sub_nc_u32 v16, 29, v16 :: v_dual_bitop2_b32 v96, 7, v18 bitop3:0x40
; %bb.3246:                             ;   in Loop: Header=BB6_2621 Depth=2
	s_or_b32 exec_lo, exec_lo, s40
	s_delay_alu instid0(VALU_DEP_1) | instskip(NEXT) | instid1(VALU_DEP_2)
	v_dual_lshlrev_b32 v18, 24, v93 :: v_dual_lshlrev_b32 v19, 20, v96
	v_lshl_add_u32 v16, v16, 23, 0x3c000000
	s_delay_alu instid0(VALU_DEP_2) | instskip(NEXT) | instid1(VALU_DEP_1)
	v_and_b32_e32 v18, 0x80000000, v18
	v_or3_b32 v16, v19, v18, v16
.LBB6_3247:                             ;   in Loop: Header=BB6_2621 Depth=2
	s_or_b32 exec_lo, exec_lo, s29
.LBB6_3248:                             ;   in Loop: Header=BB6_2621 Depth=2
	s_delay_alu instid0(SALU_CYCLE_1)
	s_or_b32 exec_lo, exec_lo, s28
.LBB6_3249:                             ;   in Loop: Header=BB6_2621 Depth=2
	s_delay_alu instid0(SALU_CYCLE_1) | instskip(NEXT) | instid1(VALU_DEP_1)
	s_or_b32 exec_lo, exec_lo, s10
	v_mul_f32_e32 v16, v17, v16
                                        ; implicit-def: $vgpr93
	s_mov_b32 s10, exec_lo
	s_delay_alu instid0(VALU_DEP_1) | instskip(SKIP_1) | instid1(VALU_DEP_2)
	v_and_b32_e32 v96, 0x7f800000, v16
	v_lshrrev_b32_e32 v17, 24, v16
	v_cmpx_ne_u64_e32 0x7f800000, v[96:97]
	s_xor_b32 s28, exec_lo, s10
	s_cbranch_execz .LBB6_3267
; %bb.3250:                             ;   in Loop: Header=BB6_2621 Depth=2
	v_and_b32_e32 v96, 0x7fffffff, v16
	v_and_b32_e32 v31, 0x80, v17
                                        ; implicit-def: $vgpr93
	s_mov_b32 s10, exec_lo
	s_delay_alu instid0(VALU_DEP_2)
	v_cmpx_gt_u64_e32 0x43e00001, v[96:97]
	s_xor_b32 s29, exec_lo, s10
	s_cbranch_execz .LBB6_3264
; %bb.3251:                             ;   in Loop: Header=BB6_2621 Depth=2
	v_mov_b32_e32 v93, 0
	s_mov_b32 s40, exec_lo
	v_cmpx_ne_u32_e32 0, v16
	s_cbranch_execz .LBB6_3263
; %bb.3252:                             ;   in Loop: Header=BB6_2621 Depth=2
	v_bfe_u32 v54, v16, 23, 8
	v_and_b32_e32 v18, 0x7fffff, v16
	s_delay_alu instid0(VALU_DEP_2) | instskip(SKIP_1) | instid1(VALU_DEP_3)
	v_sub_nc_u32_e32 v17, 0x79, v54
	v_cmp_gt_u32_e32 vcc_lo, 0x7a, v54
	v_or_b32_e32 v19, 0x800000, v18
	s_delay_alu instid0(VALU_DEP_3) | instskip(SKIP_1) | instid1(VALU_DEP_2)
	v_cndmask_b32_e32 v17, 0, v17, vcc_lo
	v_cmp_eq_u32_e32 vcc_lo, 0, v54
	v_cndmask_b32_e64 v55, v17, 0x78, vcc_lo
	s_delay_alu instid0(VALU_DEP_1) | instskip(SKIP_1) | instid1(VALU_DEP_2)
	v_dual_cndmask_b32 v96, v19, v18, vcc_lo :: v_dual_add_nc_u32 v66, 19, v55
	v_add_nc_u32_e32 v16, 20, v55
	v_lshlrev_b64_e64 v[18:19], v66, 1
	s_delay_alu instid0(VALU_DEP_2) | instskip(NEXT) | instid1(VALU_DEP_1)
	v_lshlrev_b64_e64 v[16:17], v16, -1
	v_bfi_b32 v67, v17, 0, 0
	s_delay_alu instid0(VALU_DEP_2) | instskip(SKIP_1) | instid1(VALU_DEP_2)
	v_bfi_b32 v66, v16, 0, v96
	v_lshrrev_b64 v[16:17], v55, v[96:97]
	v_cmp_eq_u64_e64 s10, v[66:67], v[18:19]
	s_delay_alu instid0(VALU_DEP_2)
	v_mov_b64_e32 v[18:19], v[16:17]
	s_and_saveexec_b32 s41, s10
; %bb.3253:                             ;   in Loop: Header=BB6_2621 Depth=2
	v_bfe_u32 v96, v16, 20, 1
	s_delay_alu instid0(VALU_DEP_1) | instskip(NEXT) | instid1(VALU_DEP_1)
	v_add_nc_u64_e32 v[18:19], v[16:17], v[96:97]
	v_add_nc_u64_e32 v[18:19], -1, v[18:19]
; %bb.3254:                             ;   in Loop: Header=BB6_2621 Depth=2
	s_or_b32 exec_lo, exec_lo, s41
	v_add_nc_u32_e32 v17, 0xffffff81, v54
	v_lshrrev_b32_e32 v19, 23, v16
	s_mov_b32 s10, exec_lo
	s_delay_alu instid0(VALU_DEP_2) | instskip(NEXT) | instid1(VALU_DEP_1)
	v_cndmask_b32_e64 v17, v17, 0xffffff82, vcc_lo
	v_add3_u32 v19, v55, v17, v19
	v_and_b32_e32 v17, 0xfffff, v18
                                        ; implicit-def: $vgpr18
	s_delay_alu instid0(VALU_DEP_1) | instskip(NEXT) | instid1(VALU_DEP_1)
	v_dual_add_nc_u32 v54, 6, v19 :: v_dual_add_nc_u32 v96, v17, v16
                                        ; implicit-def: $vgpr16_vgpr17
	v_cmpx_ne_u32_e32 0, v54
	s_xor_b32 s10, exec_lo, s10
; %bb.3255:                             ;   in Loop: Header=BB6_2621 Depth=2
	s_delay_alu instid0(VALU_DEP_2) | instskip(SKIP_1) | instid1(VALU_DEP_1)
	v_cmp_lt_u64_e32 vcc_lo, 0xffffff, v[96:97]
	v_add_nc_u32_e32 v16, 7, v19
	v_cndmask_b32_e32 v18, v54, v16, vcc_lo
	v_cndmask_b32_e64 v16, 0, 1, vcc_lo
	s_delay_alu instid0(VALU_DEP_1)
	v_lshrrev_b64 v[16:17], v16, v[96:97]
; %bb.3256:                             ;   in Loop: Header=BB6_2621 Depth=2
	s_and_not1_saveexec_b32 s10, s10
; %bb.3257:                             ;   in Loop: Header=BB6_2621 Depth=2
	v_mov_b64_e32 v[16:17], v[96:97]
	v_bfe_u32 v18, v96, 23, 1
; %bb.3258:                             ;   in Loop: Header=BB6_2621 Depth=2
	s_or_b32 exec_lo, exec_lo, s10
	s_delay_alu instid0(VALU_DEP_2) | instskip(NEXT) | instid1(VALU_DEP_2)
	v_lshrrev_b64 v[16:17], 20, v[16:17]
	v_cmp_gt_i32_e32 vcc_lo, 16, v18
	v_cmp_ne_u32_e64 s10, 0, v18
                                        ; implicit-def: $vgpr93
	s_delay_alu instid0(VALU_DEP_3) | instskip(NEXT) | instid1(VALU_DEP_1)
	v_dual_cndmask_b32 v17, 0, v17 :: v_dual_cndmask_b32 v16, 7, v16
	v_cmp_ne_u64_e32 vcc_lo, 0, v[16:17]
	s_or_b32 s10, s10, vcc_lo
	s_delay_alu instid0(SALU_CYCLE_1) | instskip(NEXT) | instid1(SALU_CYCLE_1)
	s_and_saveexec_b32 s41, s10
	s_xor_b32 s10, exec_lo, s41
; %bb.3259:                             ;   in Loop: Header=BB6_2621 Depth=2
	v_min_i32_e32 v17, 15, v18
	s_delay_alu instid0(VALU_DEP_1) | instskip(NEXT) | instid1(VALU_DEP_1)
	v_lshl_or_b32 v17, v17, 3, v31
                                        ; implicit-def: $vgpr31
	v_and_or_b32 v93, v16, 7, v17
; %bb.3260:                             ;   in Loop: Header=BB6_2621 Depth=2
	s_and_not1_saveexec_b32 s10, s10
; %bb.3261:                             ;   in Loop: Header=BB6_2621 Depth=2
	v_mov_b32_e32 v93, v31
; %bb.3262:                             ;   in Loop: Header=BB6_2621 Depth=2
	s_or_b32 exec_lo, exec_lo, s10
.LBB6_3263:                             ;   in Loop: Header=BB6_2621 Depth=2
	s_delay_alu instid0(SALU_CYCLE_1)
	s_or_b32 exec_lo, exec_lo, s40
                                        ; implicit-def: $vgpr31
.LBB6_3264:                             ;   in Loop: Header=BB6_2621 Depth=2
	s_and_not1_saveexec_b32 s10, s29
; %bb.3265:                             ;   in Loop: Header=BB6_2621 Depth=2
	v_or_b32_e32 v93, 0x7e, v31
; %bb.3266:                             ;   in Loop: Header=BB6_2621 Depth=2
	s_or_b32 exec_lo, exec_lo, s10
                                        ; implicit-def: $vgpr17
.LBB6_3267:                             ;   in Loop: Header=BB6_2621 Depth=2
	s_and_not1_saveexec_b32 s10, s28
; %bb.3268:                             ;   in Loop: Header=BB6_2621 Depth=2
	v_or_b32_e32 v93, 0x7f, v17
; %bb.3269:                             ;   in Loop: Header=BB6_2621 Depth=2
	s_or_b32 exec_lo, exec_lo, s10
	v_and_b32_e32 v18, 0xff, v91
	v_dual_mov_b32 v16, 0 :: v_dual_mov_b32 v17, 0
	s_mov_b32 s10, exec_lo
	s_delay_alu instid0(VALU_DEP_2)
	v_cmpx_ne_u16_e32 0, v18
	s_cbranch_execz .LBB6_3277
; %bb.3270:                             ;   in Loop: Header=BB6_2621 Depth=2
	v_bfrev_b32_e32 v17, 1
	s_mov_b32 s28, exec_lo
	v_cmpx_ne_u16_e32 0x80, v18
	s_cbranch_execz .LBB6_3276
; %bb.3271:                             ;   in Loop: Header=BB6_2621 Depth=2
	v_and_b32_e32 v19, 0x7f, v91
	v_mov_b32_e32 v17, 0x7f800001
	s_mov_b32 s29, exec_lo
	s_delay_alu instid0(VALU_DEP_2)
	v_cmpx_ne_u32_e32 0x7f, v19
	s_cbranch_execz .LBB6_3275
; %bb.3272:                             ;   in Loop: Header=BB6_2621 Depth=2
	v_dual_lshrrev_b32 v17, 3, v19 :: v_dual_bitop2_b32 v96, 7, v18 bitop3:0x40
	s_mov_b32 s40, exec_lo
	v_cmpx_gt_u32_e32 8, v19
; %bb.3273:                             ;   in Loop: Header=BB6_2621 Depth=2
	s_delay_alu instid0(VALU_DEP_2) | instskip(NEXT) | instid1(VALU_DEP_1)
	v_clz_i32_u32_e32 v17, v96
	v_min_u32_e32 v17, 32, v17
	s_delay_alu instid0(VALU_DEP_1) | instskip(NEXT) | instid1(VALU_DEP_1)
	v_subrev_nc_u32_e32 v18, 28, v17
	v_lshlrev_b64_e32 v[18:19], v18, v[96:97]
	s_delay_alu instid0(VALU_DEP_1)
	v_dual_sub_nc_u32 v17, 29, v17 :: v_dual_bitop2_b32 v96, 7, v18 bitop3:0x40
; %bb.3274:                             ;   in Loop: Header=BB6_2621 Depth=2
	s_or_b32 exec_lo, exec_lo, s40
	s_delay_alu instid0(VALU_DEP_1) | instskip(NEXT) | instid1(VALU_DEP_2)
	v_dual_lshlrev_b32 v18, 24, v91 :: v_dual_lshlrev_b32 v19, 20, v96
	v_lshl_add_u32 v17, v17, 23, 0x3c000000
	s_delay_alu instid0(VALU_DEP_2) | instskip(NEXT) | instid1(VALU_DEP_1)
	v_and_b32_e32 v18, 0x80000000, v18
	v_or3_b32 v17, v19, v18, v17
.LBB6_3275:                             ;   in Loop: Header=BB6_2621 Depth=2
	s_or_b32 exec_lo, exec_lo, s29
.LBB6_3276:                             ;   in Loop: Header=BB6_2621 Depth=2
	s_delay_alu instid0(SALU_CYCLE_1)
	s_or_b32 exec_lo, exec_lo, s28
.LBB6_3277:                             ;   in Loop: Header=BB6_2621 Depth=2
	s_delay_alu instid0(SALU_CYCLE_1) | instskip(SKIP_3) | instid1(VALU_DEP_1)
	s_or_b32 exec_lo, exec_lo, s10
	s_wait_loadcnt_dscnt 0xd0d
	v_and_b32_e32 v18, 0xff, v3
	s_mov_b32 s10, exec_lo
	v_cmpx_ne_u16_e32 0, v18
	s_cbranch_execz .LBB6_3285
; %bb.3278:                             ;   in Loop: Header=BB6_2621 Depth=2
	v_bfrev_b32_e32 v16, 1
	s_mov_b32 s28, exec_lo
	v_cmpx_ne_u16_e32 0x80, v18
	s_cbranch_execz .LBB6_3284
; %bb.3279:                             ;   in Loop: Header=BB6_2621 Depth=2
	v_and_b32_e32 v19, 0x7f, v3
	v_mov_b32_e32 v16, 0x7f800001
	s_mov_b32 s29, exec_lo
	s_delay_alu instid0(VALU_DEP_2)
	v_cmpx_ne_u32_e32 0x7f, v19
	s_cbranch_execz .LBB6_3283
; %bb.3280:                             ;   in Loop: Header=BB6_2621 Depth=2
	v_dual_lshrrev_b32 v16, 3, v19 :: v_dual_bitop2_b32 v96, 7, v18 bitop3:0x40
	s_mov_b32 s40, exec_lo
	v_cmpx_gt_u32_e32 8, v19
; %bb.3281:                             ;   in Loop: Header=BB6_2621 Depth=2
	s_delay_alu instid0(VALU_DEP_2) | instskip(NEXT) | instid1(VALU_DEP_1)
	v_clz_i32_u32_e32 v16, v96
	v_min_u32_e32 v16, 32, v16
	s_delay_alu instid0(VALU_DEP_1) | instskip(NEXT) | instid1(VALU_DEP_1)
	v_subrev_nc_u32_e32 v18, 28, v16
	v_lshlrev_b64_e32 v[18:19], v18, v[96:97]
	s_delay_alu instid0(VALU_DEP_1)
	v_dual_sub_nc_u32 v16, 29, v16 :: v_dual_bitop2_b32 v96, 7, v18 bitop3:0x40
; %bb.3282:                             ;   in Loop: Header=BB6_2621 Depth=2
	s_or_b32 exec_lo, exec_lo, s40
	s_delay_alu instid0(VALU_DEP_1) | instskip(NEXT) | instid1(VALU_DEP_2)
	v_dual_lshlrev_b32 v3, 24, v3 :: v_dual_lshlrev_b32 v18, 20, v96
	v_lshl_add_u32 v16, v16, 23, 0x3c000000
	s_delay_alu instid0(VALU_DEP_2) | instskip(NEXT) | instid1(VALU_DEP_1)
	v_and_b32_e32 v3, 0x80000000, v3
	v_or3_b32 v16, v18, v3, v16
.LBB6_3283:                             ;   in Loop: Header=BB6_2621 Depth=2
	s_or_b32 exec_lo, exec_lo, s29
.LBB6_3284:                             ;   in Loop: Header=BB6_2621 Depth=2
	s_delay_alu instid0(SALU_CYCLE_1)
	s_or_b32 exec_lo, exec_lo, s28
.LBB6_3285:                             ;   in Loop: Header=BB6_2621 Depth=2
	s_delay_alu instid0(SALU_CYCLE_1) | instskip(NEXT) | instid1(VALU_DEP_1)
	s_or_b32 exec_lo, exec_lo, s10
	v_mul_f32_e32 v16, v17, v16
                                        ; implicit-def: $vgpr3
	s_mov_b32 s10, exec_lo
	s_delay_alu instid0(VALU_DEP_1) | instskip(SKIP_1) | instid1(VALU_DEP_2)
	v_and_b32_e32 v96, 0x7f800000, v16
	v_lshrrev_b32_e32 v17, 24, v16
	v_cmpx_ne_u64_e32 0x7f800000, v[96:97]
	s_xor_b32 s28, exec_lo, s10
	s_cbranch_execz .LBB6_3303
; %bb.3286:                             ;   in Loop: Header=BB6_2621 Depth=2
	v_and_b32_e32 v96, 0x7fffffff, v16
	v_and_b32_e32 v31, 0x80, v17
                                        ; implicit-def: $vgpr3
	s_mov_b32 s10, exec_lo
	s_delay_alu instid0(VALU_DEP_2)
	v_cmpx_gt_u64_e32 0x43e00001, v[96:97]
	s_xor_b32 s29, exec_lo, s10
	s_cbranch_execz .LBB6_3300
; %bb.3287:                             ;   in Loop: Header=BB6_2621 Depth=2
	v_mov_b32_e32 v3, 0
	s_mov_b32 s40, exec_lo
	v_cmpx_ne_u32_e32 0, v16
	s_cbranch_execz .LBB6_3299
; %bb.3288:                             ;   in Loop: Header=BB6_2621 Depth=2
	v_bfe_u32 v3, v16, 23, 8
	v_and_b32_e32 v18, 0x7fffff, v16
	s_delay_alu instid0(VALU_DEP_2) | instskip(NEXT) | instid1(VALU_DEP_2)
	v_cmp_gt_u32_e32 vcc_lo, 0x7a, v3
	v_or_b32_e32 v19, 0x800000, v18
	v_sub_nc_u32_e32 v17, 0x79, v3
	s_delay_alu instid0(VALU_DEP_1) | instskip(SKIP_1) | instid1(VALU_DEP_2)
	v_cndmask_b32_e32 v17, 0, v17, vcc_lo
	v_cmp_eq_u32_e32 vcc_lo, 0, v3
	v_cndmask_b32_e64 v54, v17, 0x78, vcc_lo
	v_cndmask_b32_e32 v96, v19, v18, vcc_lo
	s_delay_alu instid0(VALU_DEP_2) | instskip(NEXT) | instid1(VALU_DEP_1)
	v_dual_add_nc_u32 v16, 20, v54 :: v_dual_add_nc_u32 v55, 19, v54
	v_lshlrev_b64_e64 v[16:17], v16, -1
	s_delay_alu instid0(VALU_DEP_2) | instskip(NEXT) | instid1(VALU_DEP_2)
	v_lshlrev_b64_e64 v[18:19], v55, 1
	v_bfi_b32 v67, v17, 0, 0
	s_delay_alu instid0(VALU_DEP_3) | instskip(SKIP_1) | instid1(VALU_DEP_2)
	v_bfi_b32 v66, v16, 0, v96
	v_lshrrev_b64 v[16:17], v54, v[96:97]
	v_cmp_eq_u64_e64 s10, v[66:67], v[18:19]
	s_delay_alu instid0(VALU_DEP_2)
	v_mov_b64_e32 v[18:19], v[16:17]
	s_and_saveexec_b32 s41, s10
; %bb.3289:                             ;   in Loop: Header=BB6_2621 Depth=2
	v_bfe_u32 v96, v16, 20, 1
	s_delay_alu instid0(VALU_DEP_1) | instskip(NEXT) | instid1(VALU_DEP_1)
	v_add_nc_u64_e32 v[18:19], v[16:17], v[96:97]
	v_add_nc_u64_e32 v[18:19], -1, v[18:19]
; %bb.3290:                             ;   in Loop: Header=BB6_2621 Depth=2
	s_or_b32 exec_lo, exec_lo, s41
	v_add_nc_u32_e32 v3, 0xffffff81, v3
	v_lshrrev_b32_e32 v17, 23, v16
	s_mov_b32 s10, exec_lo
	s_delay_alu instid0(VALU_DEP_2) | instskip(NEXT) | instid1(VALU_DEP_1)
	v_cndmask_b32_e64 v3, v3, 0xffffff82, vcc_lo
	v_add3_u32 v3, v54, v3, v17
	v_and_b32_e32 v17, 0xfffff, v18
                                        ; implicit-def: $vgpr18
	s_delay_alu instid0(VALU_DEP_1) | instskip(NEXT) | instid1(VALU_DEP_1)
	v_dual_add_nc_u32 v19, 6, v3 :: v_dual_add_nc_u32 v96, v17, v16
                                        ; implicit-def: $vgpr16_vgpr17
	v_cmpx_ne_u32_e32 0, v19
	s_xor_b32 s10, exec_lo, s10
; %bb.3291:                             ;   in Loop: Header=BB6_2621 Depth=2
	s_delay_alu instid0(VALU_DEP_2) | instskip(SKIP_1) | instid1(VALU_DEP_1)
	v_cmp_lt_u64_e32 vcc_lo, 0xffffff, v[96:97]
	v_add_nc_u32_e32 v3, 7, v3
	v_cndmask_b32_e32 v18, v19, v3, vcc_lo
	v_cndmask_b32_e64 v3, 0, 1, vcc_lo
	s_delay_alu instid0(VALU_DEP_1)
	v_lshrrev_b64 v[16:17], v3, v[96:97]
; %bb.3292:                             ;   in Loop: Header=BB6_2621 Depth=2
	s_and_not1_saveexec_b32 s10, s10
; %bb.3293:                             ;   in Loop: Header=BB6_2621 Depth=2
	v_mov_b64_e32 v[16:17], v[96:97]
	v_bfe_u32 v18, v96, 23, 1
; %bb.3294:                             ;   in Loop: Header=BB6_2621 Depth=2
	s_or_b32 exec_lo, exec_lo, s10
	s_delay_alu instid0(VALU_DEP_2) | instskip(NEXT) | instid1(VALU_DEP_2)
	v_lshrrev_b64 v[16:17], 20, v[16:17]
	v_cmp_gt_i32_e32 vcc_lo, 16, v18
	v_cmp_ne_u32_e64 s10, 0, v18
                                        ; implicit-def: $vgpr3
	s_delay_alu instid0(VALU_DEP_3) | instskip(NEXT) | instid1(VALU_DEP_1)
	v_dual_cndmask_b32 v17, 0, v17 :: v_dual_cndmask_b32 v16, 7, v16
	v_cmp_ne_u64_e32 vcc_lo, 0, v[16:17]
	s_or_b32 s10, s10, vcc_lo
	s_delay_alu instid0(SALU_CYCLE_1) | instskip(NEXT) | instid1(SALU_CYCLE_1)
	s_and_saveexec_b32 s41, s10
	s_xor_b32 s10, exec_lo, s41
; %bb.3295:                             ;   in Loop: Header=BB6_2621 Depth=2
	v_min_i32_e32 v3, 15, v18
	s_delay_alu instid0(VALU_DEP_1) | instskip(NEXT) | instid1(VALU_DEP_1)
	v_lshl_or_b32 v3, v3, 3, v31
                                        ; implicit-def: $vgpr31
	v_and_or_b32 v3, v16, 7, v3
; %bb.3296:                             ;   in Loop: Header=BB6_2621 Depth=2
	s_and_not1_saveexec_b32 s10, s10
; %bb.3297:                             ;   in Loop: Header=BB6_2621 Depth=2
	v_mov_b32_e32 v3, v31
; %bb.3298:                             ;   in Loop: Header=BB6_2621 Depth=2
	s_or_b32 exec_lo, exec_lo, s10
.LBB6_3299:                             ;   in Loop: Header=BB6_2621 Depth=2
	s_delay_alu instid0(SALU_CYCLE_1)
	s_or_b32 exec_lo, exec_lo, s40
                                        ; implicit-def: $vgpr31
.LBB6_3300:                             ;   in Loop: Header=BB6_2621 Depth=2
	s_and_not1_saveexec_b32 s10, s29
; %bb.3301:                             ;   in Loop: Header=BB6_2621 Depth=2
	v_or_b32_e32 v3, 0x7e, v31
; %bb.3302:                             ;   in Loop: Header=BB6_2621 Depth=2
	s_or_b32 exec_lo, exec_lo, s10
                                        ; implicit-def: $vgpr17
.LBB6_3303:                             ;   in Loop: Header=BB6_2621 Depth=2
	s_and_not1_saveexec_b32 s10, s28
; %bb.3304:                             ;   in Loop: Header=BB6_2621 Depth=2
	v_or_b32_e32 v3, 0x7f, v17
; %bb.3305:                             ;   in Loop: Header=BB6_2621 Depth=2
	s_or_b32 exec_lo, exec_lo, s10
	v_and_b32_e32 v18, 0xff, v90
	v_dual_mov_b32 v16, 0 :: v_dual_mov_b32 v17, 0
	s_mov_b32 s10, exec_lo
	s_delay_alu instid0(VALU_DEP_2)
	v_cmpx_ne_u16_e32 0, v18
	s_cbranch_execz .LBB6_3313
; %bb.3306:                             ;   in Loop: Header=BB6_2621 Depth=2
	v_bfrev_b32_e32 v17, 1
	s_mov_b32 s28, exec_lo
	v_cmpx_ne_u16_e32 0x80, v18
	s_cbranch_execz .LBB6_3312
; %bb.3307:                             ;   in Loop: Header=BB6_2621 Depth=2
	v_and_b32_e32 v19, 0x7f, v90
	v_mov_b32_e32 v17, 0x7f800001
	s_mov_b32 s29, exec_lo
	s_delay_alu instid0(VALU_DEP_2)
	v_cmpx_ne_u32_e32 0x7f, v19
	s_cbranch_execz .LBB6_3311
; %bb.3308:                             ;   in Loop: Header=BB6_2621 Depth=2
	v_dual_lshrrev_b32 v17, 3, v19 :: v_dual_bitop2_b32 v96, 7, v18 bitop3:0x40
	s_mov_b32 s40, exec_lo
	v_cmpx_gt_u32_e32 8, v19
; %bb.3309:                             ;   in Loop: Header=BB6_2621 Depth=2
	s_delay_alu instid0(VALU_DEP_2) | instskip(NEXT) | instid1(VALU_DEP_1)
	v_clz_i32_u32_e32 v17, v96
	v_min_u32_e32 v17, 32, v17
	s_delay_alu instid0(VALU_DEP_1) | instskip(NEXT) | instid1(VALU_DEP_1)
	v_subrev_nc_u32_e32 v18, 28, v17
	v_lshlrev_b64_e32 v[18:19], v18, v[96:97]
	s_delay_alu instid0(VALU_DEP_1)
	v_dual_sub_nc_u32 v17, 29, v17 :: v_dual_bitop2_b32 v96, 7, v18 bitop3:0x40
; %bb.3310:                             ;   in Loop: Header=BB6_2621 Depth=2
	s_or_b32 exec_lo, exec_lo, s40
	s_delay_alu instid0(VALU_DEP_1) | instskip(NEXT) | instid1(VALU_DEP_2)
	v_dual_lshlrev_b32 v18, 24, v90 :: v_dual_lshlrev_b32 v19, 20, v96
	v_lshl_add_u32 v17, v17, 23, 0x3c000000
	s_delay_alu instid0(VALU_DEP_2) | instskip(NEXT) | instid1(VALU_DEP_1)
	v_and_b32_e32 v18, 0x80000000, v18
	v_or3_b32 v17, v19, v18, v17
.LBB6_3311:                             ;   in Loop: Header=BB6_2621 Depth=2
	s_or_b32 exec_lo, exec_lo, s29
.LBB6_3312:                             ;   in Loop: Header=BB6_2621 Depth=2
	s_delay_alu instid0(SALU_CYCLE_1)
	s_or_b32 exec_lo, exec_lo, s28
.LBB6_3313:                             ;   in Loop: Header=BB6_2621 Depth=2
	s_delay_alu instid0(SALU_CYCLE_1) | instskip(SKIP_3) | instid1(VALU_DEP_1)
	s_or_b32 exec_lo, exec_lo, s10
	s_wait_loadcnt_dscnt 0xc0c
	v_and_b32_e32 v18, 0xff, v89
	s_mov_b32 s10, exec_lo
	v_cmpx_ne_u16_e32 0, v18
	s_cbranch_execz .LBB6_3321
; %bb.3314:                             ;   in Loop: Header=BB6_2621 Depth=2
	v_bfrev_b32_e32 v16, 1
	s_mov_b32 s28, exec_lo
	v_cmpx_ne_u16_e32 0x80, v18
	s_cbranch_execz .LBB6_3320
; %bb.3315:                             ;   in Loop: Header=BB6_2621 Depth=2
	v_and_b32_e32 v19, 0x7f, v89
	v_mov_b32_e32 v16, 0x7f800001
	s_mov_b32 s29, exec_lo
	s_delay_alu instid0(VALU_DEP_2)
	v_cmpx_ne_u32_e32 0x7f, v19
	s_cbranch_execz .LBB6_3319
; %bb.3316:                             ;   in Loop: Header=BB6_2621 Depth=2
	v_dual_lshrrev_b32 v16, 3, v19 :: v_dual_bitop2_b32 v96, 7, v18 bitop3:0x40
	s_mov_b32 s40, exec_lo
	v_cmpx_gt_u32_e32 8, v19
; %bb.3317:                             ;   in Loop: Header=BB6_2621 Depth=2
	s_delay_alu instid0(VALU_DEP_2) | instskip(NEXT) | instid1(VALU_DEP_1)
	v_clz_i32_u32_e32 v16, v96
	v_min_u32_e32 v16, 32, v16
	s_delay_alu instid0(VALU_DEP_1) | instskip(NEXT) | instid1(VALU_DEP_1)
	v_subrev_nc_u32_e32 v18, 28, v16
	v_lshlrev_b64_e32 v[18:19], v18, v[96:97]
	s_delay_alu instid0(VALU_DEP_1)
	v_dual_sub_nc_u32 v16, 29, v16 :: v_dual_bitop2_b32 v96, 7, v18 bitop3:0x40
; %bb.3318:                             ;   in Loop: Header=BB6_2621 Depth=2
	s_or_b32 exec_lo, exec_lo, s40
	s_delay_alu instid0(VALU_DEP_1) | instskip(NEXT) | instid1(VALU_DEP_2)
	v_dual_lshlrev_b32 v18, 24, v89 :: v_dual_lshlrev_b32 v19, 20, v96
	v_lshl_add_u32 v16, v16, 23, 0x3c000000
	s_delay_alu instid0(VALU_DEP_2) | instskip(NEXT) | instid1(VALU_DEP_1)
	v_and_b32_e32 v18, 0x80000000, v18
	v_or3_b32 v16, v19, v18, v16
.LBB6_3319:                             ;   in Loop: Header=BB6_2621 Depth=2
	s_or_b32 exec_lo, exec_lo, s29
.LBB6_3320:                             ;   in Loop: Header=BB6_2621 Depth=2
	s_delay_alu instid0(SALU_CYCLE_1)
	s_or_b32 exec_lo, exec_lo, s28
.LBB6_3321:                             ;   in Loop: Header=BB6_2621 Depth=2
	s_delay_alu instid0(SALU_CYCLE_1) | instskip(NEXT) | instid1(VALU_DEP_1)
	s_or_b32 exec_lo, exec_lo, s10
	v_mul_f32_e32 v16, v17, v16
                                        ; implicit-def: $vgpr112
	s_mov_b32 s10, exec_lo
	s_delay_alu instid0(VALU_DEP_1) | instskip(SKIP_1) | instid1(VALU_DEP_2)
	v_and_b32_e32 v96, 0x7f800000, v16
	v_lshrrev_b32_e32 v17, 24, v16
	v_cmpx_ne_u64_e32 0x7f800000, v[96:97]
	s_xor_b32 s28, exec_lo, s10
	s_cbranch_execz .LBB6_3339
; %bb.3322:                             ;   in Loop: Header=BB6_2621 Depth=2
	v_and_b32_e32 v96, 0x7fffffff, v16
	v_and_b32_e32 v31, 0x80, v17
                                        ; implicit-def: $vgpr112
	s_mov_b32 s10, exec_lo
	s_delay_alu instid0(VALU_DEP_2)
	v_cmpx_gt_u64_e32 0x43e00001, v[96:97]
	s_xor_b32 s29, exec_lo, s10
	s_cbranch_execz .LBB6_3336
; %bb.3323:                             ;   in Loop: Header=BB6_2621 Depth=2
	v_mov_b32_e32 v112, 0
	s_mov_b32 s40, exec_lo
	v_cmpx_ne_u32_e32 0, v16
	s_cbranch_execz .LBB6_3335
; %bb.3324:                             ;   in Loop: Header=BB6_2621 Depth=2
	v_bfe_u32 v54, v16, 23, 8
	v_and_b32_e32 v18, 0x7fffff, v16
	s_delay_alu instid0(VALU_DEP_2) | instskip(SKIP_1) | instid1(VALU_DEP_3)
	v_sub_nc_u32_e32 v17, 0x79, v54
	v_cmp_gt_u32_e32 vcc_lo, 0x7a, v54
	v_or_b32_e32 v19, 0x800000, v18
	s_delay_alu instid0(VALU_DEP_3) | instskip(SKIP_1) | instid1(VALU_DEP_2)
	v_cndmask_b32_e32 v17, 0, v17, vcc_lo
	v_cmp_eq_u32_e32 vcc_lo, 0, v54
	v_cndmask_b32_e64 v55, v17, 0x78, vcc_lo
	s_delay_alu instid0(VALU_DEP_1) | instskip(SKIP_1) | instid1(VALU_DEP_2)
	v_dual_cndmask_b32 v96, v19, v18, vcc_lo :: v_dual_add_nc_u32 v66, 19, v55
	v_add_nc_u32_e32 v16, 20, v55
	v_lshlrev_b64_e64 v[18:19], v66, 1
	s_delay_alu instid0(VALU_DEP_2) | instskip(NEXT) | instid1(VALU_DEP_1)
	v_lshlrev_b64_e64 v[16:17], v16, -1
	v_bfi_b32 v67, v17, 0, 0
	s_delay_alu instid0(VALU_DEP_2) | instskip(SKIP_1) | instid1(VALU_DEP_2)
	v_bfi_b32 v66, v16, 0, v96
	v_lshrrev_b64 v[16:17], v55, v[96:97]
	v_cmp_eq_u64_e64 s10, v[66:67], v[18:19]
	s_delay_alu instid0(VALU_DEP_2)
	v_mov_b64_e32 v[18:19], v[16:17]
	s_and_saveexec_b32 s41, s10
; %bb.3325:                             ;   in Loop: Header=BB6_2621 Depth=2
	v_bfe_u32 v96, v16, 20, 1
	s_delay_alu instid0(VALU_DEP_1) | instskip(NEXT) | instid1(VALU_DEP_1)
	v_add_nc_u64_e32 v[18:19], v[16:17], v[96:97]
	v_add_nc_u64_e32 v[18:19], -1, v[18:19]
; %bb.3326:                             ;   in Loop: Header=BB6_2621 Depth=2
	s_or_b32 exec_lo, exec_lo, s41
	v_add_nc_u32_e32 v17, 0xffffff81, v54
	v_lshrrev_b32_e32 v19, 23, v16
	s_mov_b32 s10, exec_lo
	s_delay_alu instid0(VALU_DEP_2) | instskip(NEXT) | instid1(VALU_DEP_1)
	v_cndmask_b32_e64 v17, v17, 0xffffff82, vcc_lo
	v_add3_u32 v19, v55, v17, v19
	v_and_b32_e32 v17, 0xfffff, v18
                                        ; implicit-def: $vgpr18
	s_delay_alu instid0(VALU_DEP_1) | instskip(NEXT) | instid1(VALU_DEP_1)
	v_dual_add_nc_u32 v54, 6, v19 :: v_dual_add_nc_u32 v96, v17, v16
                                        ; implicit-def: $vgpr16_vgpr17
	v_cmpx_ne_u32_e32 0, v54
	s_xor_b32 s10, exec_lo, s10
; %bb.3327:                             ;   in Loop: Header=BB6_2621 Depth=2
	s_delay_alu instid0(VALU_DEP_2) | instskip(SKIP_1) | instid1(VALU_DEP_1)
	v_cmp_lt_u64_e32 vcc_lo, 0xffffff, v[96:97]
	v_add_nc_u32_e32 v16, 7, v19
	v_cndmask_b32_e32 v18, v54, v16, vcc_lo
	v_cndmask_b32_e64 v16, 0, 1, vcc_lo
	s_delay_alu instid0(VALU_DEP_1)
	v_lshrrev_b64 v[16:17], v16, v[96:97]
; %bb.3328:                             ;   in Loop: Header=BB6_2621 Depth=2
	s_and_not1_saveexec_b32 s10, s10
; %bb.3329:                             ;   in Loop: Header=BB6_2621 Depth=2
	v_mov_b64_e32 v[16:17], v[96:97]
	v_bfe_u32 v18, v96, 23, 1
; %bb.3330:                             ;   in Loop: Header=BB6_2621 Depth=2
	s_or_b32 exec_lo, exec_lo, s10
	s_delay_alu instid0(VALU_DEP_2) | instskip(NEXT) | instid1(VALU_DEP_2)
	v_lshrrev_b64 v[16:17], 20, v[16:17]
	v_cmp_gt_i32_e32 vcc_lo, 16, v18
	v_cmp_ne_u32_e64 s10, 0, v18
                                        ; implicit-def: $vgpr112
	s_delay_alu instid0(VALU_DEP_3) | instskip(NEXT) | instid1(VALU_DEP_1)
	v_dual_cndmask_b32 v17, 0, v17 :: v_dual_cndmask_b32 v16, 7, v16
	v_cmp_ne_u64_e32 vcc_lo, 0, v[16:17]
	s_or_b32 s10, s10, vcc_lo
	s_delay_alu instid0(SALU_CYCLE_1) | instskip(NEXT) | instid1(SALU_CYCLE_1)
	s_and_saveexec_b32 s41, s10
	s_xor_b32 s10, exec_lo, s41
; %bb.3331:                             ;   in Loop: Header=BB6_2621 Depth=2
	v_min_i32_e32 v17, 15, v18
	s_delay_alu instid0(VALU_DEP_1) | instskip(NEXT) | instid1(VALU_DEP_1)
	v_lshl_or_b32 v17, v17, 3, v31
                                        ; implicit-def: $vgpr31
	v_and_or_b32 v112, v16, 7, v17
; %bb.3332:                             ;   in Loop: Header=BB6_2621 Depth=2
	s_and_not1_saveexec_b32 s10, s10
; %bb.3333:                             ;   in Loop: Header=BB6_2621 Depth=2
	v_mov_b32_e32 v112, v31
; %bb.3334:                             ;   in Loop: Header=BB6_2621 Depth=2
	s_or_b32 exec_lo, exec_lo, s10
.LBB6_3335:                             ;   in Loop: Header=BB6_2621 Depth=2
	s_delay_alu instid0(SALU_CYCLE_1)
	s_or_b32 exec_lo, exec_lo, s40
                                        ; implicit-def: $vgpr31
.LBB6_3336:                             ;   in Loop: Header=BB6_2621 Depth=2
	s_and_not1_saveexec_b32 s10, s29
; %bb.3337:                             ;   in Loop: Header=BB6_2621 Depth=2
	v_or_b32_e32 v112, 0x7e, v31
; %bb.3338:                             ;   in Loop: Header=BB6_2621 Depth=2
	s_or_b32 exec_lo, exec_lo, s10
                                        ; implicit-def: $vgpr17
.LBB6_3339:                             ;   in Loop: Header=BB6_2621 Depth=2
	s_and_not1_saveexec_b32 s10, s28
; %bb.3340:                             ;   in Loop: Header=BB6_2621 Depth=2
	v_or_b32_e32 v112, 0x7f, v17
; %bb.3341:                             ;   in Loop: Header=BB6_2621 Depth=2
	s_or_b32 exec_lo, exec_lo, s10
	v_and_b32_e32 v18, 0xff, v79
	v_dual_mov_b32 v16, 0 :: v_dual_mov_b32 v17, 0
	s_mov_b32 s10, exec_lo
	s_delay_alu instid0(VALU_DEP_2)
	v_cmpx_ne_u16_e32 0, v18
	s_cbranch_execz .LBB6_3349
; %bb.3342:                             ;   in Loop: Header=BB6_2621 Depth=2
	v_bfrev_b32_e32 v17, 1
	s_mov_b32 s28, exec_lo
	v_cmpx_ne_u16_e32 0x80, v18
	s_cbranch_execz .LBB6_3348
; %bb.3343:                             ;   in Loop: Header=BB6_2621 Depth=2
	v_and_b32_e32 v19, 0x7f, v79
	v_mov_b32_e32 v17, 0x7f800001
	s_mov_b32 s29, exec_lo
	s_delay_alu instid0(VALU_DEP_2)
	v_cmpx_ne_u32_e32 0x7f, v19
	s_cbranch_execz .LBB6_3347
; %bb.3344:                             ;   in Loop: Header=BB6_2621 Depth=2
	v_dual_lshrrev_b32 v17, 3, v19 :: v_dual_bitop2_b32 v96, 7, v18 bitop3:0x40
	s_mov_b32 s40, exec_lo
	v_cmpx_gt_u32_e32 8, v19
; %bb.3345:                             ;   in Loop: Header=BB6_2621 Depth=2
	s_delay_alu instid0(VALU_DEP_2) | instskip(NEXT) | instid1(VALU_DEP_1)
	v_clz_i32_u32_e32 v17, v96
	v_min_u32_e32 v17, 32, v17
	s_delay_alu instid0(VALU_DEP_1) | instskip(NEXT) | instid1(VALU_DEP_1)
	v_subrev_nc_u32_e32 v18, 28, v17
	v_lshlrev_b64_e32 v[18:19], v18, v[96:97]
	s_delay_alu instid0(VALU_DEP_1)
	v_dual_sub_nc_u32 v17, 29, v17 :: v_dual_bitop2_b32 v96, 7, v18 bitop3:0x40
; %bb.3346:                             ;   in Loop: Header=BB6_2621 Depth=2
	s_or_b32 exec_lo, exec_lo, s40
	s_delay_alu instid0(VALU_DEP_1) | instskip(NEXT) | instid1(VALU_DEP_2)
	v_dual_lshlrev_b32 v18, 24, v79 :: v_dual_lshlrev_b32 v19, 20, v96
	v_lshl_add_u32 v17, v17, 23, 0x3c000000
	s_delay_alu instid0(VALU_DEP_2) | instskip(NEXT) | instid1(VALU_DEP_1)
	v_and_b32_e32 v18, 0x80000000, v18
	v_or3_b32 v17, v19, v18, v17
.LBB6_3347:                             ;   in Loop: Header=BB6_2621 Depth=2
	s_or_b32 exec_lo, exec_lo, s29
.LBB6_3348:                             ;   in Loop: Header=BB6_2621 Depth=2
	s_delay_alu instid0(SALU_CYCLE_1)
	s_or_b32 exec_lo, exec_lo, s28
.LBB6_3349:                             ;   in Loop: Header=BB6_2621 Depth=2
	s_delay_alu instid0(SALU_CYCLE_1) | instskip(SKIP_3) | instid1(VALU_DEP_1)
	s_or_b32 exec_lo, exec_lo, s10
	s_wait_loadcnt_dscnt 0xb0b
	v_and_b32_e32 v18, 0xff, v78
	s_mov_b32 s10, exec_lo
	v_cmpx_ne_u16_e32 0, v18
	s_cbranch_execz .LBB6_3357
; %bb.3350:                             ;   in Loop: Header=BB6_2621 Depth=2
	v_bfrev_b32_e32 v16, 1
	s_mov_b32 s28, exec_lo
	v_cmpx_ne_u16_e32 0x80, v18
	s_cbranch_execz .LBB6_3356
; %bb.3351:                             ;   in Loop: Header=BB6_2621 Depth=2
	v_and_b32_e32 v19, 0x7f, v78
	v_mov_b32_e32 v16, 0x7f800001
	s_mov_b32 s29, exec_lo
	s_delay_alu instid0(VALU_DEP_2)
	v_cmpx_ne_u32_e32 0x7f, v19
	s_cbranch_execz .LBB6_3355
; %bb.3352:                             ;   in Loop: Header=BB6_2621 Depth=2
	v_dual_lshrrev_b32 v16, 3, v19 :: v_dual_bitop2_b32 v96, 7, v18 bitop3:0x40
	s_mov_b32 s40, exec_lo
	v_cmpx_gt_u32_e32 8, v19
; %bb.3353:                             ;   in Loop: Header=BB6_2621 Depth=2
	s_delay_alu instid0(VALU_DEP_2) | instskip(NEXT) | instid1(VALU_DEP_1)
	v_clz_i32_u32_e32 v16, v96
	v_min_u32_e32 v16, 32, v16
	s_delay_alu instid0(VALU_DEP_1) | instskip(NEXT) | instid1(VALU_DEP_1)
	v_subrev_nc_u32_e32 v18, 28, v16
	v_lshlrev_b64_e32 v[18:19], v18, v[96:97]
	s_delay_alu instid0(VALU_DEP_1)
	v_dual_sub_nc_u32 v16, 29, v16 :: v_dual_bitop2_b32 v96, 7, v18 bitop3:0x40
; %bb.3354:                             ;   in Loop: Header=BB6_2621 Depth=2
	s_or_b32 exec_lo, exec_lo, s40
	s_delay_alu instid0(VALU_DEP_1) | instskip(NEXT) | instid1(VALU_DEP_2)
	v_dual_lshlrev_b32 v18, 24, v78 :: v_dual_lshlrev_b32 v19, 20, v96
	v_lshl_add_u32 v16, v16, 23, 0x3c000000
	s_delay_alu instid0(VALU_DEP_2) | instskip(NEXT) | instid1(VALU_DEP_1)
	v_and_b32_e32 v18, 0x80000000, v18
	v_or3_b32 v16, v19, v18, v16
.LBB6_3355:                             ;   in Loop: Header=BB6_2621 Depth=2
	s_or_b32 exec_lo, exec_lo, s29
.LBB6_3356:                             ;   in Loop: Header=BB6_2621 Depth=2
	s_delay_alu instid0(SALU_CYCLE_1)
	s_or_b32 exec_lo, exec_lo, s28
.LBB6_3357:                             ;   in Loop: Header=BB6_2621 Depth=2
	s_delay_alu instid0(SALU_CYCLE_1) | instskip(NEXT) | instid1(VALU_DEP_1)
	s_or_b32 exec_lo, exec_lo, s10
	v_mul_f32_e32 v16, v17, v16
                                        ; implicit-def: $vgpr113
	s_mov_b32 s10, exec_lo
	s_delay_alu instid0(VALU_DEP_1) | instskip(SKIP_1) | instid1(VALU_DEP_2)
	v_and_b32_e32 v96, 0x7f800000, v16
	v_lshrrev_b32_e32 v17, 24, v16
	v_cmpx_ne_u64_e32 0x7f800000, v[96:97]
	s_xor_b32 s28, exec_lo, s10
	s_cbranch_execz .LBB6_3375
; %bb.3358:                             ;   in Loop: Header=BB6_2621 Depth=2
	v_and_b32_e32 v96, 0x7fffffff, v16
	v_and_b32_e32 v31, 0x80, v17
                                        ; implicit-def: $vgpr113
	s_mov_b32 s10, exec_lo
	s_delay_alu instid0(VALU_DEP_2)
	v_cmpx_gt_u64_e32 0x43e00001, v[96:97]
	s_xor_b32 s29, exec_lo, s10
	s_cbranch_execz .LBB6_3372
; %bb.3359:                             ;   in Loop: Header=BB6_2621 Depth=2
	v_mov_b32_e32 v113, 0
	s_mov_b32 s40, exec_lo
	v_cmpx_ne_u32_e32 0, v16
	s_cbranch_execz .LBB6_3371
; %bb.3360:                             ;   in Loop: Header=BB6_2621 Depth=2
	v_bfe_u32 v54, v16, 23, 8
	v_and_b32_e32 v18, 0x7fffff, v16
	s_delay_alu instid0(VALU_DEP_2) | instskip(SKIP_1) | instid1(VALU_DEP_3)
	v_sub_nc_u32_e32 v17, 0x79, v54
	v_cmp_gt_u32_e32 vcc_lo, 0x7a, v54
	v_or_b32_e32 v19, 0x800000, v18
	s_delay_alu instid0(VALU_DEP_3) | instskip(SKIP_1) | instid1(VALU_DEP_2)
	v_cndmask_b32_e32 v17, 0, v17, vcc_lo
	v_cmp_eq_u32_e32 vcc_lo, 0, v54
	v_cndmask_b32_e64 v55, v17, 0x78, vcc_lo
	s_delay_alu instid0(VALU_DEP_1) | instskip(SKIP_1) | instid1(VALU_DEP_2)
	v_dual_cndmask_b32 v96, v19, v18, vcc_lo :: v_dual_add_nc_u32 v66, 19, v55
	v_add_nc_u32_e32 v16, 20, v55
	v_lshlrev_b64_e64 v[18:19], v66, 1
	s_delay_alu instid0(VALU_DEP_2) | instskip(NEXT) | instid1(VALU_DEP_1)
	v_lshlrev_b64_e64 v[16:17], v16, -1
	v_bfi_b32 v67, v17, 0, 0
	s_delay_alu instid0(VALU_DEP_2) | instskip(SKIP_1) | instid1(VALU_DEP_2)
	v_bfi_b32 v66, v16, 0, v96
	v_lshrrev_b64 v[16:17], v55, v[96:97]
	v_cmp_eq_u64_e64 s10, v[66:67], v[18:19]
	s_delay_alu instid0(VALU_DEP_2)
	v_mov_b64_e32 v[18:19], v[16:17]
	s_and_saveexec_b32 s41, s10
; %bb.3361:                             ;   in Loop: Header=BB6_2621 Depth=2
	v_bfe_u32 v96, v16, 20, 1
	s_delay_alu instid0(VALU_DEP_1) | instskip(NEXT) | instid1(VALU_DEP_1)
	v_add_nc_u64_e32 v[18:19], v[16:17], v[96:97]
	v_add_nc_u64_e32 v[18:19], -1, v[18:19]
; %bb.3362:                             ;   in Loop: Header=BB6_2621 Depth=2
	s_or_b32 exec_lo, exec_lo, s41
	v_add_nc_u32_e32 v17, 0xffffff81, v54
	v_lshrrev_b32_e32 v19, 23, v16
	s_mov_b32 s10, exec_lo
	s_delay_alu instid0(VALU_DEP_2) | instskip(NEXT) | instid1(VALU_DEP_1)
	v_cndmask_b32_e64 v17, v17, 0xffffff82, vcc_lo
	v_add3_u32 v19, v55, v17, v19
	v_and_b32_e32 v17, 0xfffff, v18
                                        ; implicit-def: $vgpr18
	s_delay_alu instid0(VALU_DEP_1) | instskip(NEXT) | instid1(VALU_DEP_1)
	v_dual_add_nc_u32 v54, 6, v19 :: v_dual_add_nc_u32 v96, v17, v16
                                        ; implicit-def: $vgpr16_vgpr17
	v_cmpx_ne_u32_e32 0, v54
	s_xor_b32 s10, exec_lo, s10
; %bb.3363:                             ;   in Loop: Header=BB6_2621 Depth=2
	s_delay_alu instid0(VALU_DEP_2) | instskip(SKIP_1) | instid1(VALU_DEP_1)
	v_cmp_lt_u64_e32 vcc_lo, 0xffffff, v[96:97]
	v_add_nc_u32_e32 v16, 7, v19
	v_cndmask_b32_e32 v18, v54, v16, vcc_lo
	v_cndmask_b32_e64 v16, 0, 1, vcc_lo
	s_delay_alu instid0(VALU_DEP_1)
	v_lshrrev_b64 v[16:17], v16, v[96:97]
; %bb.3364:                             ;   in Loop: Header=BB6_2621 Depth=2
	s_and_not1_saveexec_b32 s10, s10
; %bb.3365:                             ;   in Loop: Header=BB6_2621 Depth=2
	v_mov_b64_e32 v[16:17], v[96:97]
	v_bfe_u32 v18, v96, 23, 1
; %bb.3366:                             ;   in Loop: Header=BB6_2621 Depth=2
	s_or_b32 exec_lo, exec_lo, s10
	s_delay_alu instid0(VALU_DEP_2) | instskip(NEXT) | instid1(VALU_DEP_2)
	v_lshrrev_b64 v[16:17], 20, v[16:17]
	v_cmp_gt_i32_e32 vcc_lo, 16, v18
	v_cmp_ne_u32_e64 s10, 0, v18
                                        ; implicit-def: $vgpr113
	s_delay_alu instid0(VALU_DEP_3) | instskip(NEXT) | instid1(VALU_DEP_1)
	v_dual_cndmask_b32 v17, 0, v17 :: v_dual_cndmask_b32 v16, 7, v16
	v_cmp_ne_u64_e32 vcc_lo, 0, v[16:17]
	s_or_b32 s10, s10, vcc_lo
	s_delay_alu instid0(SALU_CYCLE_1) | instskip(NEXT) | instid1(SALU_CYCLE_1)
	s_and_saveexec_b32 s41, s10
	s_xor_b32 s10, exec_lo, s41
; %bb.3367:                             ;   in Loop: Header=BB6_2621 Depth=2
	v_min_i32_e32 v17, 15, v18
	s_delay_alu instid0(VALU_DEP_1) | instskip(NEXT) | instid1(VALU_DEP_1)
	v_lshl_or_b32 v17, v17, 3, v31
                                        ; implicit-def: $vgpr31
	v_and_or_b32 v113, v16, 7, v17
; %bb.3368:                             ;   in Loop: Header=BB6_2621 Depth=2
	s_and_not1_saveexec_b32 s10, s10
; %bb.3369:                             ;   in Loop: Header=BB6_2621 Depth=2
	v_mov_b32_e32 v113, v31
; %bb.3370:                             ;   in Loop: Header=BB6_2621 Depth=2
	s_or_b32 exec_lo, exec_lo, s10
.LBB6_3371:                             ;   in Loop: Header=BB6_2621 Depth=2
	s_delay_alu instid0(SALU_CYCLE_1)
	s_or_b32 exec_lo, exec_lo, s40
                                        ; implicit-def: $vgpr31
.LBB6_3372:                             ;   in Loop: Header=BB6_2621 Depth=2
	s_and_not1_saveexec_b32 s10, s29
; %bb.3373:                             ;   in Loop: Header=BB6_2621 Depth=2
	v_or_b32_e32 v113, 0x7e, v31
; %bb.3374:                             ;   in Loop: Header=BB6_2621 Depth=2
	s_or_b32 exec_lo, exec_lo, s10
                                        ; implicit-def: $vgpr17
.LBB6_3375:                             ;   in Loop: Header=BB6_2621 Depth=2
	s_and_not1_saveexec_b32 s10, s28
; %bb.3376:                             ;   in Loop: Header=BB6_2621 Depth=2
	v_or_b32_e32 v113, 0x7f, v17
; %bb.3377:                             ;   in Loop: Header=BB6_2621 Depth=2
	s_or_b32 exec_lo, exec_lo, s10
	v_and_b32_e32 v18, 0xff, v62
	v_dual_mov_b32 v16, 0 :: v_dual_mov_b32 v17, 0
	s_mov_b32 s10, exec_lo
	s_delay_alu instid0(VALU_DEP_2)
	v_cmpx_ne_u16_e32 0, v18
	s_cbranch_execz .LBB6_3385
; %bb.3378:                             ;   in Loop: Header=BB6_2621 Depth=2
	v_bfrev_b32_e32 v17, 1
	s_mov_b32 s28, exec_lo
	v_cmpx_ne_u16_e32 0x80, v18
	s_cbranch_execz .LBB6_3384
; %bb.3379:                             ;   in Loop: Header=BB6_2621 Depth=2
	v_and_b32_e32 v19, 0x7f, v62
	v_mov_b32_e32 v17, 0x7f800001
	s_mov_b32 s29, exec_lo
	s_delay_alu instid0(VALU_DEP_2)
	v_cmpx_ne_u32_e32 0x7f, v19
	s_cbranch_execz .LBB6_3383
; %bb.3380:                             ;   in Loop: Header=BB6_2621 Depth=2
	v_dual_lshrrev_b32 v17, 3, v19 :: v_dual_bitop2_b32 v96, 7, v18 bitop3:0x40
	s_mov_b32 s40, exec_lo
	v_cmpx_gt_u32_e32 8, v19
; %bb.3381:                             ;   in Loop: Header=BB6_2621 Depth=2
	s_delay_alu instid0(VALU_DEP_2) | instskip(NEXT) | instid1(VALU_DEP_1)
	v_clz_i32_u32_e32 v17, v96
	v_min_u32_e32 v17, 32, v17
	s_delay_alu instid0(VALU_DEP_1) | instskip(NEXT) | instid1(VALU_DEP_1)
	v_subrev_nc_u32_e32 v18, 28, v17
	v_lshlrev_b64_e32 v[18:19], v18, v[96:97]
	s_delay_alu instid0(VALU_DEP_1)
	v_dual_sub_nc_u32 v17, 29, v17 :: v_dual_bitop2_b32 v96, 7, v18 bitop3:0x40
; %bb.3382:                             ;   in Loop: Header=BB6_2621 Depth=2
	s_or_b32 exec_lo, exec_lo, s40
	s_delay_alu instid0(VALU_DEP_1) | instskip(NEXT) | instid1(VALU_DEP_2)
	v_dual_lshlrev_b32 v18, 24, v62 :: v_dual_lshlrev_b32 v19, 20, v96
	v_lshl_add_u32 v17, v17, 23, 0x3c000000
	s_delay_alu instid0(VALU_DEP_2) | instskip(NEXT) | instid1(VALU_DEP_1)
	v_and_b32_e32 v18, 0x80000000, v18
	v_or3_b32 v17, v19, v18, v17
.LBB6_3383:                             ;   in Loop: Header=BB6_2621 Depth=2
	s_or_b32 exec_lo, exec_lo, s29
.LBB6_3384:                             ;   in Loop: Header=BB6_2621 Depth=2
	s_delay_alu instid0(SALU_CYCLE_1)
	s_or_b32 exec_lo, exec_lo, s28
.LBB6_3385:                             ;   in Loop: Header=BB6_2621 Depth=2
	s_delay_alu instid0(SALU_CYCLE_1) | instskip(SKIP_3) | instid1(VALU_DEP_1)
	s_or_b32 exec_lo, exec_lo, s10
	s_wait_loadcnt_dscnt 0xa0a
	v_and_b32_e32 v18, 0xff, v61
	s_mov_b32 s10, exec_lo
	v_cmpx_ne_u16_e32 0, v18
	s_cbranch_execz .LBB6_3393
; %bb.3386:                             ;   in Loop: Header=BB6_2621 Depth=2
	v_bfrev_b32_e32 v16, 1
	s_mov_b32 s28, exec_lo
	v_cmpx_ne_u16_e32 0x80, v18
	s_cbranch_execz .LBB6_3392
; %bb.3387:                             ;   in Loop: Header=BB6_2621 Depth=2
	v_and_b32_e32 v19, 0x7f, v61
	v_mov_b32_e32 v16, 0x7f800001
	s_mov_b32 s29, exec_lo
	s_delay_alu instid0(VALU_DEP_2)
	v_cmpx_ne_u32_e32 0x7f, v19
	s_cbranch_execz .LBB6_3391
; %bb.3388:                             ;   in Loop: Header=BB6_2621 Depth=2
	v_dual_lshrrev_b32 v16, 3, v19 :: v_dual_bitop2_b32 v96, 7, v18 bitop3:0x40
	s_mov_b32 s40, exec_lo
	v_cmpx_gt_u32_e32 8, v19
; %bb.3389:                             ;   in Loop: Header=BB6_2621 Depth=2
	s_delay_alu instid0(VALU_DEP_2) | instskip(NEXT) | instid1(VALU_DEP_1)
	v_clz_i32_u32_e32 v16, v96
	v_min_u32_e32 v16, 32, v16
	s_delay_alu instid0(VALU_DEP_1) | instskip(NEXT) | instid1(VALU_DEP_1)
	v_subrev_nc_u32_e32 v18, 28, v16
	v_lshlrev_b64_e32 v[18:19], v18, v[96:97]
	s_delay_alu instid0(VALU_DEP_1)
	v_dual_sub_nc_u32 v16, 29, v16 :: v_dual_bitop2_b32 v96, 7, v18 bitop3:0x40
; %bb.3390:                             ;   in Loop: Header=BB6_2621 Depth=2
	s_or_b32 exec_lo, exec_lo, s40
	s_delay_alu instid0(VALU_DEP_1) | instskip(NEXT) | instid1(VALU_DEP_2)
	v_dual_lshlrev_b32 v18, 24, v61 :: v_dual_lshlrev_b32 v19, 20, v96
	v_lshl_add_u32 v16, v16, 23, 0x3c000000
	s_delay_alu instid0(VALU_DEP_2) | instskip(NEXT) | instid1(VALU_DEP_1)
	v_and_b32_e32 v18, 0x80000000, v18
	v_or3_b32 v16, v19, v18, v16
.LBB6_3391:                             ;   in Loop: Header=BB6_2621 Depth=2
	s_or_b32 exec_lo, exec_lo, s29
.LBB6_3392:                             ;   in Loop: Header=BB6_2621 Depth=2
	s_delay_alu instid0(SALU_CYCLE_1)
	s_or_b32 exec_lo, exec_lo, s28
.LBB6_3393:                             ;   in Loop: Header=BB6_2621 Depth=2
	s_delay_alu instid0(SALU_CYCLE_1) | instskip(NEXT) | instid1(VALU_DEP_1)
	s_or_b32 exec_lo, exec_lo, s10
	v_mul_f32_e32 v16, v17, v16
                                        ; implicit-def: $vgpr61
	s_mov_b32 s10, exec_lo
	s_delay_alu instid0(VALU_DEP_1) | instskip(SKIP_1) | instid1(VALU_DEP_2)
	v_and_b32_e32 v96, 0x7f800000, v16
	v_lshrrev_b32_e32 v17, 24, v16
	v_cmpx_ne_u64_e32 0x7f800000, v[96:97]
	s_xor_b32 s28, exec_lo, s10
	s_cbranch_execz .LBB6_3411
; %bb.3394:                             ;   in Loop: Header=BB6_2621 Depth=2
	v_and_b32_e32 v96, 0x7fffffff, v16
	v_and_b32_e32 v31, 0x80, v17
                                        ; implicit-def: $vgpr61
	s_mov_b32 s10, exec_lo
	s_delay_alu instid0(VALU_DEP_2)
	v_cmpx_gt_u64_e32 0x43e00001, v[96:97]
	s_xor_b32 s29, exec_lo, s10
	s_cbranch_execz .LBB6_3408
; %bb.3395:                             ;   in Loop: Header=BB6_2621 Depth=2
	v_mov_b32_e32 v61, 0
	s_mov_b32 s40, exec_lo
	v_cmpx_ne_u32_e32 0, v16
	s_cbranch_execz .LBB6_3407
; %bb.3396:                             ;   in Loop: Header=BB6_2621 Depth=2
	v_bfe_u32 v54, v16, 23, 8
	v_and_b32_e32 v18, 0x7fffff, v16
	s_delay_alu instid0(VALU_DEP_2) | instskip(SKIP_1) | instid1(VALU_DEP_3)
	v_sub_nc_u32_e32 v17, 0x79, v54
	v_cmp_gt_u32_e32 vcc_lo, 0x7a, v54
	v_or_b32_e32 v19, 0x800000, v18
	s_delay_alu instid0(VALU_DEP_3) | instskip(SKIP_1) | instid1(VALU_DEP_2)
	v_cndmask_b32_e32 v17, 0, v17, vcc_lo
	v_cmp_eq_u32_e32 vcc_lo, 0, v54
	v_cndmask_b32_e64 v55, v17, 0x78, vcc_lo
	s_delay_alu instid0(VALU_DEP_1) | instskip(SKIP_1) | instid1(VALU_DEP_2)
	v_dual_cndmask_b32 v96, v19, v18, vcc_lo :: v_dual_add_nc_u32 v66, 19, v55
	v_add_nc_u32_e32 v16, 20, v55
	v_lshlrev_b64_e64 v[18:19], v66, 1
	s_delay_alu instid0(VALU_DEP_2) | instskip(NEXT) | instid1(VALU_DEP_1)
	v_lshlrev_b64_e64 v[16:17], v16, -1
	v_bfi_b32 v67, v17, 0, 0
	s_delay_alu instid0(VALU_DEP_2) | instskip(SKIP_1) | instid1(VALU_DEP_2)
	v_bfi_b32 v66, v16, 0, v96
	v_lshrrev_b64 v[16:17], v55, v[96:97]
	v_cmp_eq_u64_e64 s10, v[66:67], v[18:19]
	s_delay_alu instid0(VALU_DEP_2)
	v_mov_b64_e32 v[18:19], v[16:17]
	s_and_saveexec_b32 s41, s10
; %bb.3397:                             ;   in Loop: Header=BB6_2621 Depth=2
	v_bfe_u32 v96, v16, 20, 1
	s_delay_alu instid0(VALU_DEP_1) | instskip(NEXT) | instid1(VALU_DEP_1)
	v_add_nc_u64_e32 v[18:19], v[16:17], v[96:97]
	v_add_nc_u64_e32 v[18:19], -1, v[18:19]
; %bb.3398:                             ;   in Loop: Header=BB6_2621 Depth=2
	s_or_b32 exec_lo, exec_lo, s41
	v_add_nc_u32_e32 v17, 0xffffff81, v54
	v_lshrrev_b32_e32 v19, 23, v16
	s_mov_b32 s10, exec_lo
	s_delay_alu instid0(VALU_DEP_2) | instskip(NEXT) | instid1(VALU_DEP_1)
	v_cndmask_b32_e64 v17, v17, 0xffffff82, vcc_lo
	v_add3_u32 v19, v55, v17, v19
	v_and_b32_e32 v17, 0xfffff, v18
                                        ; implicit-def: $vgpr18
	s_delay_alu instid0(VALU_DEP_1) | instskip(NEXT) | instid1(VALU_DEP_1)
	v_dual_add_nc_u32 v54, 6, v19 :: v_dual_add_nc_u32 v96, v17, v16
                                        ; implicit-def: $vgpr16_vgpr17
	v_cmpx_ne_u32_e32 0, v54
	s_xor_b32 s10, exec_lo, s10
; %bb.3399:                             ;   in Loop: Header=BB6_2621 Depth=2
	s_delay_alu instid0(VALU_DEP_2) | instskip(SKIP_1) | instid1(VALU_DEP_1)
	v_cmp_lt_u64_e32 vcc_lo, 0xffffff, v[96:97]
	v_add_nc_u32_e32 v16, 7, v19
	v_cndmask_b32_e32 v18, v54, v16, vcc_lo
	v_cndmask_b32_e64 v16, 0, 1, vcc_lo
	s_delay_alu instid0(VALU_DEP_1)
	v_lshrrev_b64 v[16:17], v16, v[96:97]
; %bb.3400:                             ;   in Loop: Header=BB6_2621 Depth=2
	s_and_not1_saveexec_b32 s10, s10
; %bb.3401:                             ;   in Loop: Header=BB6_2621 Depth=2
	v_mov_b64_e32 v[16:17], v[96:97]
	v_bfe_u32 v18, v96, 23, 1
; %bb.3402:                             ;   in Loop: Header=BB6_2621 Depth=2
	s_or_b32 exec_lo, exec_lo, s10
	s_delay_alu instid0(VALU_DEP_2) | instskip(NEXT) | instid1(VALU_DEP_2)
	v_lshrrev_b64 v[16:17], 20, v[16:17]
	v_cmp_gt_i32_e32 vcc_lo, 16, v18
	v_cmp_ne_u32_e64 s10, 0, v18
                                        ; implicit-def: $vgpr61
	s_delay_alu instid0(VALU_DEP_3) | instskip(NEXT) | instid1(VALU_DEP_1)
	v_dual_cndmask_b32 v17, 0, v17 :: v_dual_cndmask_b32 v16, 7, v16
	v_cmp_ne_u64_e32 vcc_lo, 0, v[16:17]
	s_or_b32 s10, s10, vcc_lo
	s_delay_alu instid0(SALU_CYCLE_1) | instskip(NEXT) | instid1(SALU_CYCLE_1)
	s_and_saveexec_b32 s41, s10
	s_xor_b32 s10, exec_lo, s41
; %bb.3403:                             ;   in Loop: Header=BB6_2621 Depth=2
	v_min_i32_e32 v17, 15, v18
	s_delay_alu instid0(VALU_DEP_1) | instskip(NEXT) | instid1(VALU_DEP_1)
	v_lshl_or_b32 v17, v17, 3, v31
                                        ; implicit-def: $vgpr31
	v_and_or_b32 v61, v16, 7, v17
; %bb.3404:                             ;   in Loop: Header=BB6_2621 Depth=2
	s_and_not1_saveexec_b32 s10, s10
; %bb.3405:                             ;   in Loop: Header=BB6_2621 Depth=2
	v_mov_b32_e32 v61, v31
; %bb.3406:                             ;   in Loop: Header=BB6_2621 Depth=2
	s_or_b32 exec_lo, exec_lo, s10
.LBB6_3407:                             ;   in Loop: Header=BB6_2621 Depth=2
	s_delay_alu instid0(SALU_CYCLE_1)
	s_or_b32 exec_lo, exec_lo, s40
                                        ; implicit-def: $vgpr31
.LBB6_3408:                             ;   in Loop: Header=BB6_2621 Depth=2
	s_and_not1_saveexec_b32 s10, s29
; %bb.3409:                             ;   in Loop: Header=BB6_2621 Depth=2
	v_or_b32_e32 v61, 0x7e, v31
; %bb.3410:                             ;   in Loop: Header=BB6_2621 Depth=2
	s_or_b32 exec_lo, exec_lo, s10
                                        ; implicit-def: $vgpr17
.LBB6_3411:                             ;   in Loop: Header=BB6_2621 Depth=2
	s_and_not1_saveexec_b32 s10, s28
; %bb.3412:                             ;   in Loop: Header=BB6_2621 Depth=2
	v_or_b32_e32 v61, 0x7f, v17
; %bb.3413:                             ;   in Loop: Header=BB6_2621 Depth=2
	s_or_b32 exec_lo, exec_lo, s10
	v_and_b32_e32 v18, 0xff, v59
	v_dual_mov_b32 v16, 0 :: v_dual_mov_b32 v17, 0
	s_mov_b32 s10, exec_lo
	s_delay_alu instid0(VALU_DEP_2)
	v_cmpx_ne_u16_e32 0, v18
	s_cbranch_execz .LBB6_3421
; %bb.3414:                             ;   in Loop: Header=BB6_2621 Depth=2
	v_bfrev_b32_e32 v17, 1
	s_mov_b32 s28, exec_lo
	v_cmpx_ne_u16_e32 0x80, v18
	s_cbranch_execz .LBB6_3420
; %bb.3415:                             ;   in Loop: Header=BB6_2621 Depth=2
	v_and_b32_e32 v19, 0x7f, v59
	v_mov_b32_e32 v17, 0x7f800001
	s_mov_b32 s29, exec_lo
	s_delay_alu instid0(VALU_DEP_2)
	v_cmpx_ne_u32_e32 0x7f, v19
	s_cbranch_execz .LBB6_3419
; %bb.3416:                             ;   in Loop: Header=BB6_2621 Depth=2
	v_dual_lshrrev_b32 v17, 3, v19 :: v_dual_bitop2_b32 v96, 7, v18 bitop3:0x40
	s_mov_b32 s40, exec_lo
	v_cmpx_gt_u32_e32 8, v19
; %bb.3417:                             ;   in Loop: Header=BB6_2621 Depth=2
	s_delay_alu instid0(VALU_DEP_2) | instskip(NEXT) | instid1(VALU_DEP_1)
	v_clz_i32_u32_e32 v17, v96
	v_min_u32_e32 v17, 32, v17
	s_delay_alu instid0(VALU_DEP_1) | instskip(NEXT) | instid1(VALU_DEP_1)
	v_subrev_nc_u32_e32 v18, 28, v17
	v_lshlrev_b64_e32 v[18:19], v18, v[96:97]
	s_delay_alu instid0(VALU_DEP_1)
	v_dual_sub_nc_u32 v17, 29, v17 :: v_dual_bitop2_b32 v96, 7, v18 bitop3:0x40
; %bb.3418:                             ;   in Loop: Header=BB6_2621 Depth=2
	s_or_b32 exec_lo, exec_lo, s40
	s_delay_alu instid0(VALU_DEP_1) | instskip(NEXT) | instid1(VALU_DEP_2)
	v_dual_lshlrev_b32 v18, 24, v59 :: v_dual_lshlrev_b32 v19, 20, v96
	v_lshl_add_u32 v17, v17, 23, 0x3c000000
	s_delay_alu instid0(VALU_DEP_2) | instskip(NEXT) | instid1(VALU_DEP_1)
	v_and_b32_e32 v18, 0x80000000, v18
	v_or3_b32 v17, v19, v18, v17
.LBB6_3419:                             ;   in Loop: Header=BB6_2621 Depth=2
	s_or_b32 exec_lo, exec_lo, s29
.LBB6_3420:                             ;   in Loop: Header=BB6_2621 Depth=2
	s_delay_alu instid0(SALU_CYCLE_1)
	s_or_b32 exec_lo, exec_lo, s28
.LBB6_3421:                             ;   in Loop: Header=BB6_2621 Depth=2
	s_delay_alu instid0(SALU_CYCLE_1) | instskip(SKIP_3) | instid1(VALU_DEP_1)
	s_or_b32 exec_lo, exec_lo, s10
	s_wait_loadcnt_dscnt 0x909
	v_and_b32_e32 v18, 0xff, v58
	s_mov_b32 s10, exec_lo
	v_cmpx_ne_u16_e32 0, v18
	s_cbranch_execz .LBB6_3429
; %bb.3422:                             ;   in Loop: Header=BB6_2621 Depth=2
	v_bfrev_b32_e32 v16, 1
	s_mov_b32 s28, exec_lo
	v_cmpx_ne_u16_e32 0x80, v18
	s_cbranch_execz .LBB6_3428
; %bb.3423:                             ;   in Loop: Header=BB6_2621 Depth=2
	v_and_b32_e32 v19, 0x7f, v58
	v_mov_b32_e32 v16, 0x7f800001
	s_mov_b32 s29, exec_lo
	s_delay_alu instid0(VALU_DEP_2)
	v_cmpx_ne_u32_e32 0x7f, v19
	s_cbranch_execz .LBB6_3427
; %bb.3424:                             ;   in Loop: Header=BB6_2621 Depth=2
	v_dual_lshrrev_b32 v16, 3, v19 :: v_dual_bitop2_b32 v96, 7, v18 bitop3:0x40
	s_mov_b32 s40, exec_lo
	v_cmpx_gt_u32_e32 8, v19
; %bb.3425:                             ;   in Loop: Header=BB6_2621 Depth=2
	s_delay_alu instid0(VALU_DEP_2) | instskip(NEXT) | instid1(VALU_DEP_1)
	v_clz_i32_u32_e32 v16, v96
	v_min_u32_e32 v16, 32, v16
	s_delay_alu instid0(VALU_DEP_1) | instskip(NEXT) | instid1(VALU_DEP_1)
	v_subrev_nc_u32_e32 v18, 28, v16
	v_lshlrev_b64_e32 v[18:19], v18, v[96:97]
	s_delay_alu instid0(VALU_DEP_1)
	v_dual_sub_nc_u32 v16, 29, v16 :: v_dual_bitop2_b32 v96, 7, v18 bitop3:0x40
; %bb.3426:                             ;   in Loop: Header=BB6_2621 Depth=2
	s_or_b32 exec_lo, exec_lo, s40
	s_delay_alu instid0(VALU_DEP_1) | instskip(NEXT) | instid1(VALU_DEP_2)
	v_dual_lshlrev_b32 v18, 24, v58 :: v_dual_lshlrev_b32 v19, 20, v96
	v_lshl_add_u32 v16, v16, 23, 0x3c000000
	s_delay_alu instid0(VALU_DEP_2) | instskip(NEXT) | instid1(VALU_DEP_1)
	v_and_b32_e32 v18, 0x80000000, v18
	v_or3_b32 v16, v19, v18, v16
.LBB6_3427:                             ;   in Loop: Header=BB6_2621 Depth=2
	s_or_b32 exec_lo, exec_lo, s29
.LBB6_3428:                             ;   in Loop: Header=BB6_2621 Depth=2
	s_delay_alu instid0(SALU_CYCLE_1)
	s_or_b32 exec_lo, exec_lo, s28
.LBB6_3429:                             ;   in Loop: Header=BB6_2621 Depth=2
	s_delay_alu instid0(SALU_CYCLE_1) | instskip(NEXT) | instid1(VALU_DEP_1)
	s_or_b32 exec_lo, exec_lo, s10
	v_mul_f32_e32 v16, v17, v16
                                        ; implicit-def: $vgpr58
	s_mov_b32 s10, exec_lo
	s_delay_alu instid0(VALU_DEP_1) | instskip(SKIP_1) | instid1(VALU_DEP_2)
	v_and_b32_e32 v96, 0x7f800000, v16
	v_lshrrev_b32_e32 v17, 24, v16
	v_cmpx_ne_u64_e32 0x7f800000, v[96:97]
	s_xor_b32 s28, exec_lo, s10
	s_cbranch_execz .LBB6_3447
; %bb.3430:                             ;   in Loop: Header=BB6_2621 Depth=2
	v_and_b32_e32 v96, 0x7fffffff, v16
	v_and_b32_e32 v31, 0x80, v17
                                        ; implicit-def: $vgpr58
	s_mov_b32 s10, exec_lo
	s_delay_alu instid0(VALU_DEP_2)
	v_cmpx_gt_u64_e32 0x43e00001, v[96:97]
	s_xor_b32 s29, exec_lo, s10
	s_cbranch_execz .LBB6_3444
; %bb.3431:                             ;   in Loop: Header=BB6_2621 Depth=2
	v_mov_b32_e32 v58, 0
	s_mov_b32 s40, exec_lo
	v_cmpx_ne_u32_e32 0, v16
	s_cbranch_execz .LBB6_3443
; %bb.3432:                             ;   in Loop: Header=BB6_2621 Depth=2
	v_bfe_u32 v54, v16, 23, 8
	v_and_b32_e32 v18, 0x7fffff, v16
	s_delay_alu instid0(VALU_DEP_2) | instskip(SKIP_1) | instid1(VALU_DEP_3)
	v_sub_nc_u32_e32 v17, 0x79, v54
	v_cmp_gt_u32_e32 vcc_lo, 0x7a, v54
	v_or_b32_e32 v19, 0x800000, v18
	s_delay_alu instid0(VALU_DEP_3) | instskip(SKIP_1) | instid1(VALU_DEP_2)
	v_cndmask_b32_e32 v17, 0, v17, vcc_lo
	v_cmp_eq_u32_e32 vcc_lo, 0, v54
	v_cndmask_b32_e64 v55, v17, 0x78, vcc_lo
	s_delay_alu instid0(VALU_DEP_1) | instskip(SKIP_1) | instid1(VALU_DEP_2)
	v_dual_cndmask_b32 v96, v19, v18, vcc_lo :: v_dual_add_nc_u32 v66, 19, v55
	v_add_nc_u32_e32 v16, 20, v55
	v_lshlrev_b64_e64 v[18:19], v66, 1
	s_delay_alu instid0(VALU_DEP_2) | instskip(NEXT) | instid1(VALU_DEP_1)
	v_lshlrev_b64_e64 v[16:17], v16, -1
	v_bfi_b32 v67, v17, 0, 0
	s_delay_alu instid0(VALU_DEP_2) | instskip(SKIP_1) | instid1(VALU_DEP_2)
	v_bfi_b32 v66, v16, 0, v96
	v_lshrrev_b64 v[16:17], v55, v[96:97]
	v_cmp_eq_u64_e64 s10, v[66:67], v[18:19]
	s_delay_alu instid0(VALU_DEP_2)
	v_mov_b64_e32 v[18:19], v[16:17]
	s_and_saveexec_b32 s41, s10
; %bb.3433:                             ;   in Loop: Header=BB6_2621 Depth=2
	v_bfe_u32 v96, v16, 20, 1
	s_delay_alu instid0(VALU_DEP_1) | instskip(NEXT) | instid1(VALU_DEP_1)
	v_add_nc_u64_e32 v[18:19], v[16:17], v[96:97]
	v_add_nc_u64_e32 v[18:19], -1, v[18:19]
; %bb.3434:                             ;   in Loop: Header=BB6_2621 Depth=2
	s_or_b32 exec_lo, exec_lo, s41
	v_add_nc_u32_e32 v17, 0xffffff81, v54
	v_lshrrev_b32_e32 v19, 23, v16
	s_mov_b32 s10, exec_lo
	s_delay_alu instid0(VALU_DEP_2) | instskip(NEXT) | instid1(VALU_DEP_1)
	v_cndmask_b32_e64 v17, v17, 0xffffff82, vcc_lo
	v_add3_u32 v19, v55, v17, v19
	v_and_b32_e32 v17, 0xfffff, v18
                                        ; implicit-def: $vgpr18
	s_delay_alu instid0(VALU_DEP_1) | instskip(NEXT) | instid1(VALU_DEP_1)
	v_dual_add_nc_u32 v54, 6, v19 :: v_dual_add_nc_u32 v96, v17, v16
                                        ; implicit-def: $vgpr16_vgpr17
	v_cmpx_ne_u32_e32 0, v54
	s_xor_b32 s10, exec_lo, s10
; %bb.3435:                             ;   in Loop: Header=BB6_2621 Depth=2
	s_delay_alu instid0(VALU_DEP_2) | instskip(SKIP_1) | instid1(VALU_DEP_1)
	v_cmp_lt_u64_e32 vcc_lo, 0xffffff, v[96:97]
	v_add_nc_u32_e32 v16, 7, v19
	v_cndmask_b32_e32 v18, v54, v16, vcc_lo
	v_cndmask_b32_e64 v16, 0, 1, vcc_lo
	s_delay_alu instid0(VALU_DEP_1)
	v_lshrrev_b64 v[16:17], v16, v[96:97]
; %bb.3436:                             ;   in Loop: Header=BB6_2621 Depth=2
	s_and_not1_saveexec_b32 s10, s10
; %bb.3437:                             ;   in Loop: Header=BB6_2621 Depth=2
	v_mov_b64_e32 v[16:17], v[96:97]
	v_bfe_u32 v18, v96, 23, 1
; %bb.3438:                             ;   in Loop: Header=BB6_2621 Depth=2
	s_or_b32 exec_lo, exec_lo, s10
	s_delay_alu instid0(VALU_DEP_2) | instskip(NEXT) | instid1(VALU_DEP_2)
	v_lshrrev_b64 v[16:17], 20, v[16:17]
	v_cmp_gt_i32_e32 vcc_lo, 16, v18
	v_cmp_ne_u32_e64 s10, 0, v18
                                        ; implicit-def: $vgpr58
	s_delay_alu instid0(VALU_DEP_3) | instskip(NEXT) | instid1(VALU_DEP_1)
	v_dual_cndmask_b32 v17, 0, v17 :: v_dual_cndmask_b32 v16, 7, v16
	v_cmp_ne_u64_e32 vcc_lo, 0, v[16:17]
	s_or_b32 s10, s10, vcc_lo
	s_delay_alu instid0(SALU_CYCLE_1) | instskip(NEXT) | instid1(SALU_CYCLE_1)
	s_and_saveexec_b32 s41, s10
	s_xor_b32 s10, exec_lo, s41
; %bb.3439:                             ;   in Loop: Header=BB6_2621 Depth=2
	v_min_i32_e32 v17, 15, v18
	s_delay_alu instid0(VALU_DEP_1) | instskip(NEXT) | instid1(VALU_DEP_1)
	v_lshl_or_b32 v17, v17, 3, v31
                                        ; implicit-def: $vgpr31
	v_and_or_b32 v58, v16, 7, v17
; %bb.3440:                             ;   in Loop: Header=BB6_2621 Depth=2
	s_and_not1_saveexec_b32 s10, s10
; %bb.3441:                             ;   in Loop: Header=BB6_2621 Depth=2
	v_mov_b32_e32 v58, v31
; %bb.3442:                             ;   in Loop: Header=BB6_2621 Depth=2
	s_or_b32 exec_lo, exec_lo, s10
.LBB6_3443:                             ;   in Loop: Header=BB6_2621 Depth=2
	s_delay_alu instid0(SALU_CYCLE_1)
	s_or_b32 exec_lo, exec_lo, s40
                                        ; implicit-def: $vgpr31
.LBB6_3444:                             ;   in Loop: Header=BB6_2621 Depth=2
	s_and_not1_saveexec_b32 s10, s29
; %bb.3445:                             ;   in Loop: Header=BB6_2621 Depth=2
	v_or_b32_e32 v58, 0x7e, v31
; %bb.3446:                             ;   in Loop: Header=BB6_2621 Depth=2
	s_or_b32 exec_lo, exec_lo, s10
                                        ; implicit-def: $vgpr17
.LBB6_3447:                             ;   in Loop: Header=BB6_2621 Depth=2
	s_and_not1_saveexec_b32 s10, s28
; %bb.3448:                             ;   in Loop: Header=BB6_2621 Depth=2
	v_or_b32_e32 v58, 0x7f, v17
; %bb.3449:                             ;   in Loop: Header=BB6_2621 Depth=2
	s_or_b32 exec_lo, exec_lo, s10
	v_and_b32_e32 v18, 0xff, v56
	v_dual_mov_b32 v16, 0 :: v_dual_mov_b32 v17, 0
	s_mov_b32 s10, exec_lo
	s_delay_alu instid0(VALU_DEP_2)
	v_cmpx_ne_u16_e32 0, v18
	s_cbranch_execz .LBB6_3457
; %bb.3450:                             ;   in Loop: Header=BB6_2621 Depth=2
	v_bfrev_b32_e32 v17, 1
	s_mov_b32 s28, exec_lo
	v_cmpx_ne_u16_e32 0x80, v18
	s_cbranch_execz .LBB6_3456
; %bb.3451:                             ;   in Loop: Header=BB6_2621 Depth=2
	v_and_b32_e32 v19, 0x7f, v56
	v_mov_b32_e32 v17, 0x7f800001
	s_mov_b32 s29, exec_lo
	s_delay_alu instid0(VALU_DEP_2)
	v_cmpx_ne_u32_e32 0x7f, v19
	s_cbranch_execz .LBB6_3455
; %bb.3452:                             ;   in Loop: Header=BB6_2621 Depth=2
	v_dual_lshrrev_b32 v17, 3, v19 :: v_dual_bitop2_b32 v96, 7, v18 bitop3:0x40
	s_mov_b32 s40, exec_lo
	v_cmpx_gt_u32_e32 8, v19
; %bb.3453:                             ;   in Loop: Header=BB6_2621 Depth=2
	s_delay_alu instid0(VALU_DEP_2) | instskip(NEXT) | instid1(VALU_DEP_1)
	v_clz_i32_u32_e32 v17, v96
	v_min_u32_e32 v17, 32, v17
	s_delay_alu instid0(VALU_DEP_1) | instskip(NEXT) | instid1(VALU_DEP_1)
	v_subrev_nc_u32_e32 v18, 28, v17
	v_lshlrev_b64_e32 v[18:19], v18, v[96:97]
	s_delay_alu instid0(VALU_DEP_1)
	v_dual_sub_nc_u32 v17, 29, v17 :: v_dual_bitop2_b32 v96, 7, v18 bitop3:0x40
; %bb.3454:                             ;   in Loop: Header=BB6_2621 Depth=2
	s_or_b32 exec_lo, exec_lo, s40
	v_lshlrev_b32_e32 v18, 24, v56
	s_delay_alu instid0(VALU_DEP_2) | instskip(NEXT) | instid1(VALU_DEP_3)
	v_lshlrev_b32_e32 v19, 20, v96
	v_lshl_add_u32 v17, v17, 23, 0x3c000000
	s_delay_alu instid0(VALU_DEP_3) | instskip(NEXT) | instid1(VALU_DEP_1)
	v_and_b32_e32 v18, 0x80000000, v18
	v_or3_b32 v17, v19, v18, v17
.LBB6_3455:                             ;   in Loop: Header=BB6_2621 Depth=2
	s_or_b32 exec_lo, exec_lo, s29
.LBB6_3456:                             ;   in Loop: Header=BB6_2621 Depth=2
	s_delay_alu instid0(SALU_CYCLE_1)
	s_or_b32 exec_lo, exec_lo, s28
.LBB6_3457:                             ;   in Loop: Header=BB6_2621 Depth=2
	s_delay_alu instid0(SALU_CYCLE_1) | instskip(SKIP_3) | instid1(VALU_DEP_1)
	s_or_b32 exec_lo, exec_lo, s10
	s_wait_loadcnt_dscnt 0x808
	v_and_b32_e32 v18, 0xff, v47
	s_mov_b32 s10, exec_lo
	v_cmpx_ne_u16_e32 0, v18
	s_cbranch_execz .LBB6_3465
; %bb.3458:                             ;   in Loop: Header=BB6_2621 Depth=2
	v_bfrev_b32_e32 v16, 1
	s_mov_b32 s28, exec_lo
	v_cmpx_ne_u16_e32 0x80, v18
	s_cbranch_execz .LBB6_3464
; %bb.3459:                             ;   in Loop: Header=BB6_2621 Depth=2
	v_and_b32_e32 v19, 0x7f, v47
	v_mov_b32_e32 v16, 0x7f800001
	s_mov_b32 s29, exec_lo
	s_delay_alu instid0(VALU_DEP_2)
	v_cmpx_ne_u32_e32 0x7f, v19
	s_cbranch_execz .LBB6_3463
; %bb.3460:                             ;   in Loop: Header=BB6_2621 Depth=2
	v_dual_lshrrev_b32 v16, 3, v19 :: v_dual_bitop2_b32 v96, 7, v18 bitop3:0x40
	s_mov_b32 s40, exec_lo
	v_cmpx_gt_u32_e32 8, v19
; %bb.3461:                             ;   in Loop: Header=BB6_2621 Depth=2
	s_delay_alu instid0(VALU_DEP_2) | instskip(NEXT) | instid1(VALU_DEP_1)
	v_clz_i32_u32_e32 v16, v96
	v_min_u32_e32 v16, 32, v16
	s_delay_alu instid0(VALU_DEP_1) | instskip(NEXT) | instid1(VALU_DEP_1)
	v_subrev_nc_u32_e32 v18, 28, v16
	v_lshlrev_b64_e32 v[18:19], v18, v[96:97]
	s_delay_alu instid0(VALU_DEP_1)
	v_dual_sub_nc_u32 v16, 29, v16 :: v_dual_bitop2_b32 v96, 7, v18 bitop3:0x40
; %bb.3462:                             ;   in Loop: Header=BB6_2621 Depth=2
	s_or_b32 exec_lo, exec_lo, s40
	s_delay_alu instid0(VALU_DEP_1) | instskip(NEXT) | instid1(VALU_DEP_2)
	v_dual_lshlrev_b32 v18, 24, v47 :: v_dual_lshlrev_b32 v19, 20, v96
	v_lshl_add_u32 v16, v16, 23, 0x3c000000
	s_delay_alu instid0(VALU_DEP_2) | instskip(NEXT) | instid1(VALU_DEP_1)
	v_and_b32_e32 v18, 0x80000000, v18
	v_or3_b32 v16, v19, v18, v16
.LBB6_3463:                             ;   in Loop: Header=BB6_2621 Depth=2
	s_or_b32 exec_lo, exec_lo, s29
.LBB6_3464:                             ;   in Loop: Header=BB6_2621 Depth=2
	s_delay_alu instid0(SALU_CYCLE_1)
	s_or_b32 exec_lo, exec_lo, s28
.LBB6_3465:                             ;   in Loop: Header=BB6_2621 Depth=2
	s_delay_alu instid0(SALU_CYCLE_1) | instskip(NEXT) | instid1(VALU_DEP_1)
	s_or_b32 exec_lo, exec_lo, s10
	v_mul_f32_e32 v16, v17, v16
                                        ; implicit-def: $vgpr47
	s_mov_b32 s10, exec_lo
	s_delay_alu instid0(VALU_DEP_1) | instskip(SKIP_1) | instid1(VALU_DEP_2)
	v_and_b32_e32 v96, 0x7f800000, v16
	v_lshrrev_b32_e32 v17, 24, v16
	v_cmpx_ne_u64_e32 0x7f800000, v[96:97]
	s_xor_b32 s28, exec_lo, s10
	s_cbranch_execz .LBB6_3483
; %bb.3466:                             ;   in Loop: Header=BB6_2621 Depth=2
	v_and_b32_e32 v96, 0x7fffffff, v16
	v_and_b32_e32 v31, 0x80, v17
                                        ; implicit-def: $vgpr47
	s_mov_b32 s10, exec_lo
	s_delay_alu instid0(VALU_DEP_2)
	v_cmpx_gt_u64_e32 0x43e00001, v[96:97]
	s_xor_b32 s29, exec_lo, s10
	s_cbranch_execz .LBB6_3480
; %bb.3467:                             ;   in Loop: Header=BB6_2621 Depth=2
	v_mov_b32_e32 v47, 0
	s_mov_b32 s40, exec_lo
	v_cmpx_ne_u32_e32 0, v16
	s_cbranch_execz .LBB6_3479
; %bb.3468:                             ;   in Loop: Header=BB6_2621 Depth=2
	v_bfe_u32 v54, v16, 23, 8
	v_and_b32_e32 v18, 0x7fffff, v16
	s_delay_alu instid0(VALU_DEP_2) | instskip(SKIP_1) | instid1(VALU_DEP_3)
	v_sub_nc_u32_e32 v17, 0x79, v54
	v_cmp_gt_u32_e32 vcc_lo, 0x7a, v54
	v_or_b32_e32 v19, 0x800000, v18
	s_delay_alu instid0(VALU_DEP_3) | instskip(SKIP_1) | instid1(VALU_DEP_2)
	v_cndmask_b32_e32 v17, 0, v17, vcc_lo
	v_cmp_eq_u32_e32 vcc_lo, 0, v54
	v_cndmask_b32_e64 v55, v17, 0x78, vcc_lo
	s_delay_alu instid0(VALU_DEP_1) | instskip(SKIP_1) | instid1(VALU_DEP_2)
	v_dual_cndmask_b32 v96, v19, v18, vcc_lo :: v_dual_add_nc_u32 v66, 19, v55
	v_add_nc_u32_e32 v16, 20, v55
	v_lshlrev_b64_e64 v[18:19], v66, 1
	s_delay_alu instid0(VALU_DEP_2) | instskip(NEXT) | instid1(VALU_DEP_1)
	v_lshlrev_b64_e64 v[16:17], v16, -1
	v_bfi_b32 v67, v17, 0, 0
	s_delay_alu instid0(VALU_DEP_2) | instskip(SKIP_1) | instid1(VALU_DEP_2)
	v_bfi_b32 v66, v16, 0, v96
	v_lshrrev_b64 v[16:17], v55, v[96:97]
	v_cmp_eq_u64_e64 s10, v[66:67], v[18:19]
	s_delay_alu instid0(VALU_DEP_2)
	v_mov_b64_e32 v[18:19], v[16:17]
	s_and_saveexec_b32 s41, s10
; %bb.3469:                             ;   in Loop: Header=BB6_2621 Depth=2
	v_bfe_u32 v96, v16, 20, 1
	s_delay_alu instid0(VALU_DEP_1) | instskip(NEXT) | instid1(VALU_DEP_1)
	v_add_nc_u64_e32 v[18:19], v[16:17], v[96:97]
	v_add_nc_u64_e32 v[18:19], -1, v[18:19]
; %bb.3470:                             ;   in Loop: Header=BB6_2621 Depth=2
	s_or_b32 exec_lo, exec_lo, s41
	v_add_nc_u32_e32 v17, 0xffffff81, v54
	v_lshrrev_b32_e32 v19, 23, v16
	s_mov_b32 s10, exec_lo
	s_delay_alu instid0(VALU_DEP_2) | instskip(NEXT) | instid1(VALU_DEP_1)
	v_cndmask_b32_e64 v17, v17, 0xffffff82, vcc_lo
	v_add3_u32 v19, v55, v17, v19
	v_and_b32_e32 v17, 0xfffff, v18
                                        ; implicit-def: $vgpr18
	s_delay_alu instid0(VALU_DEP_1) | instskip(NEXT) | instid1(VALU_DEP_1)
	v_dual_add_nc_u32 v54, 6, v19 :: v_dual_add_nc_u32 v96, v17, v16
                                        ; implicit-def: $vgpr16_vgpr17
	v_cmpx_ne_u32_e32 0, v54
	s_xor_b32 s10, exec_lo, s10
; %bb.3471:                             ;   in Loop: Header=BB6_2621 Depth=2
	s_delay_alu instid0(VALU_DEP_2) | instskip(SKIP_1) | instid1(VALU_DEP_1)
	v_cmp_lt_u64_e32 vcc_lo, 0xffffff, v[96:97]
	v_add_nc_u32_e32 v16, 7, v19
	v_cndmask_b32_e32 v18, v54, v16, vcc_lo
	v_cndmask_b32_e64 v16, 0, 1, vcc_lo
	s_delay_alu instid0(VALU_DEP_1)
	v_lshrrev_b64 v[16:17], v16, v[96:97]
; %bb.3472:                             ;   in Loop: Header=BB6_2621 Depth=2
	s_and_not1_saveexec_b32 s10, s10
; %bb.3473:                             ;   in Loop: Header=BB6_2621 Depth=2
	v_mov_b64_e32 v[16:17], v[96:97]
	v_bfe_u32 v18, v96, 23, 1
; %bb.3474:                             ;   in Loop: Header=BB6_2621 Depth=2
	s_or_b32 exec_lo, exec_lo, s10
	s_delay_alu instid0(VALU_DEP_2) | instskip(NEXT) | instid1(VALU_DEP_2)
	v_lshrrev_b64 v[16:17], 20, v[16:17]
	v_cmp_gt_i32_e32 vcc_lo, 16, v18
	v_cmp_ne_u32_e64 s10, 0, v18
                                        ; implicit-def: $vgpr47
	s_delay_alu instid0(VALU_DEP_3) | instskip(NEXT) | instid1(VALU_DEP_1)
	v_dual_cndmask_b32 v17, 0, v17 :: v_dual_cndmask_b32 v16, 7, v16
	v_cmp_ne_u64_e32 vcc_lo, 0, v[16:17]
	s_or_b32 s10, s10, vcc_lo
	s_delay_alu instid0(SALU_CYCLE_1) | instskip(NEXT) | instid1(SALU_CYCLE_1)
	s_and_saveexec_b32 s41, s10
	s_xor_b32 s10, exec_lo, s41
; %bb.3475:                             ;   in Loop: Header=BB6_2621 Depth=2
	v_min_i32_e32 v17, 15, v18
	s_delay_alu instid0(VALU_DEP_1) | instskip(NEXT) | instid1(VALU_DEP_1)
	v_lshl_or_b32 v17, v17, 3, v31
                                        ; implicit-def: $vgpr31
	v_and_or_b32 v47, v16, 7, v17
; %bb.3476:                             ;   in Loop: Header=BB6_2621 Depth=2
	s_and_not1_saveexec_b32 s10, s10
; %bb.3477:                             ;   in Loop: Header=BB6_2621 Depth=2
	v_mov_b32_e32 v47, v31
; %bb.3478:                             ;   in Loop: Header=BB6_2621 Depth=2
	s_or_b32 exec_lo, exec_lo, s10
.LBB6_3479:                             ;   in Loop: Header=BB6_2621 Depth=2
	s_delay_alu instid0(SALU_CYCLE_1)
	s_or_b32 exec_lo, exec_lo, s40
                                        ; implicit-def: $vgpr31
.LBB6_3480:                             ;   in Loop: Header=BB6_2621 Depth=2
	s_and_not1_saveexec_b32 s10, s29
; %bb.3481:                             ;   in Loop: Header=BB6_2621 Depth=2
	v_or_b32_e32 v47, 0x7e, v31
; %bb.3482:                             ;   in Loop: Header=BB6_2621 Depth=2
	s_or_b32 exec_lo, exec_lo, s10
                                        ; implicit-def: $vgpr17
.LBB6_3483:                             ;   in Loop: Header=BB6_2621 Depth=2
	s_and_not1_saveexec_b32 s10, s28
; %bb.3484:                             ;   in Loop: Header=BB6_2621 Depth=2
	v_or_b32_e32 v47, 0x7f, v17
; %bb.3485:                             ;   in Loop: Header=BB6_2621 Depth=2
	s_or_b32 exec_lo, exec_lo, s10
	v_and_b32_e32 v18, 0xff, v45
	v_dual_mov_b32 v16, 0 :: v_dual_mov_b32 v17, 0
	s_mov_b32 s10, exec_lo
	s_delay_alu instid0(VALU_DEP_2)
	v_cmpx_ne_u16_e32 0, v18
	s_cbranch_execz .LBB6_3493
; %bb.3486:                             ;   in Loop: Header=BB6_2621 Depth=2
	v_bfrev_b32_e32 v17, 1
	s_mov_b32 s28, exec_lo
	v_cmpx_ne_u16_e32 0x80, v18
	s_cbranch_execz .LBB6_3492
; %bb.3487:                             ;   in Loop: Header=BB6_2621 Depth=2
	v_and_b32_e32 v19, 0x7f, v45
	v_mov_b32_e32 v17, 0x7f800001
	s_mov_b32 s29, exec_lo
	s_delay_alu instid0(VALU_DEP_2)
	v_cmpx_ne_u32_e32 0x7f, v19
	s_cbranch_execz .LBB6_3491
; %bb.3488:                             ;   in Loop: Header=BB6_2621 Depth=2
	v_dual_lshrrev_b32 v17, 3, v19 :: v_dual_bitop2_b32 v96, 7, v18 bitop3:0x40
	s_mov_b32 s40, exec_lo
	v_cmpx_gt_u32_e32 8, v19
; %bb.3489:                             ;   in Loop: Header=BB6_2621 Depth=2
	s_delay_alu instid0(VALU_DEP_2) | instskip(NEXT) | instid1(VALU_DEP_1)
	v_clz_i32_u32_e32 v17, v96
	v_min_u32_e32 v17, 32, v17
	s_delay_alu instid0(VALU_DEP_1) | instskip(NEXT) | instid1(VALU_DEP_1)
	v_subrev_nc_u32_e32 v18, 28, v17
	v_lshlrev_b64_e32 v[18:19], v18, v[96:97]
	s_delay_alu instid0(VALU_DEP_1)
	v_dual_sub_nc_u32 v17, 29, v17 :: v_dual_bitop2_b32 v96, 7, v18 bitop3:0x40
; %bb.3490:                             ;   in Loop: Header=BB6_2621 Depth=2
	s_or_b32 exec_lo, exec_lo, s40
	s_delay_alu instid0(VALU_DEP_1) | instskip(NEXT) | instid1(VALU_DEP_2)
	v_dual_lshlrev_b32 v18, 24, v45 :: v_dual_lshlrev_b32 v19, 20, v96
	v_lshl_add_u32 v17, v17, 23, 0x3c000000
	s_delay_alu instid0(VALU_DEP_2) | instskip(NEXT) | instid1(VALU_DEP_1)
	v_and_b32_e32 v18, 0x80000000, v18
	v_or3_b32 v17, v19, v18, v17
.LBB6_3491:                             ;   in Loop: Header=BB6_2621 Depth=2
	s_or_b32 exec_lo, exec_lo, s29
.LBB6_3492:                             ;   in Loop: Header=BB6_2621 Depth=2
	s_delay_alu instid0(SALU_CYCLE_1)
	s_or_b32 exec_lo, exec_lo, s28
.LBB6_3493:                             ;   in Loop: Header=BB6_2621 Depth=2
	s_delay_alu instid0(SALU_CYCLE_1) | instskip(SKIP_3) | instid1(VALU_DEP_1)
	s_or_b32 exec_lo, exec_lo, s10
	s_wait_loadcnt_dscnt 0x707
	v_and_b32_e32 v18, 0xff, v44
	s_mov_b32 s10, exec_lo
	v_cmpx_ne_u16_e32 0, v18
	s_cbranch_execz .LBB6_3501
; %bb.3494:                             ;   in Loop: Header=BB6_2621 Depth=2
	v_bfrev_b32_e32 v16, 1
	s_mov_b32 s28, exec_lo
	v_cmpx_ne_u16_e32 0x80, v18
	s_cbranch_execz .LBB6_3500
; %bb.3495:                             ;   in Loop: Header=BB6_2621 Depth=2
	v_and_b32_e32 v19, 0x7f, v44
	v_mov_b32_e32 v16, 0x7f800001
	s_mov_b32 s29, exec_lo
	s_delay_alu instid0(VALU_DEP_2)
	v_cmpx_ne_u32_e32 0x7f, v19
	s_cbranch_execz .LBB6_3499
; %bb.3496:                             ;   in Loop: Header=BB6_2621 Depth=2
	v_dual_lshrrev_b32 v16, 3, v19 :: v_dual_bitop2_b32 v96, 7, v18 bitop3:0x40
	s_mov_b32 s40, exec_lo
	v_cmpx_gt_u32_e32 8, v19
; %bb.3497:                             ;   in Loop: Header=BB6_2621 Depth=2
	s_delay_alu instid0(VALU_DEP_2) | instskip(NEXT) | instid1(VALU_DEP_1)
	v_clz_i32_u32_e32 v16, v96
	v_min_u32_e32 v16, 32, v16
	s_delay_alu instid0(VALU_DEP_1) | instskip(NEXT) | instid1(VALU_DEP_1)
	v_subrev_nc_u32_e32 v18, 28, v16
	v_lshlrev_b64_e32 v[18:19], v18, v[96:97]
	s_delay_alu instid0(VALU_DEP_1)
	v_dual_sub_nc_u32 v16, 29, v16 :: v_dual_bitop2_b32 v96, 7, v18 bitop3:0x40
; %bb.3498:                             ;   in Loop: Header=BB6_2621 Depth=2
	s_or_b32 exec_lo, exec_lo, s40
	v_lshlrev_b32_e32 v18, 24, v44
	s_delay_alu instid0(VALU_DEP_2) | instskip(NEXT) | instid1(VALU_DEP_3)
	v_lshlrev_b32_e32 v19, 20, v96
	v_lshl_add_u32 v16, v16, 23, 0x3c000000
	s_delay_alu instid0(VALU_DEP_3) | instskip(NEXT) | instid1(VALU_DEP_1)
	v_and_b32_e32 v18, 0x80000000, v18
	v_or3_b32 v16, v19, v18, v16
.LBB6_3499:                             ;   in Loop: Header=BB6_2621 Depth=2
	s_or_b32 exec_lo, exec_lo, s29
.LBB6_3500:                             ;   in Loop: Header=BB6_2621 Depth=2
	s_delay_alu instid0(SALU_CYCLE_1)
	s_or_b32 exec_lo, exec_lo, s28
.LBB6_3501:                             ;   in Loop: Header=BB6_2621 Depth=2
	s_delay_alu instid0(SALU_CYCLE_1) | instskip(NEXT) | instid1(VALU_DEP_1)
	s_or_b32 exec_lo, exec_lo, s10
	v_mul_f32_e32 v16, v17, v16
                                        ; implicit-def: $vgpr44
	s_mov_b32 s10, exec_lo
	s_delay_alu instid0(VALU_DEP_1) | instskip(SKIP_1) | instid1(VALU_DEP_2)
	v_and_b32_e32 v96, 0x7f800000, v16
	v_lshrrev_b32_e32 v17, 24, v16
	v_cmpx_ne_u64_e32 0x7f800000, v[96:97]
	s_xor_b32 s28, exec_lo, s10
	s_cbranch_execz .LBB6_3519
; %bb.3502:                             ;   in Loop: Header=BB6_2621 Depth=2
	v_and_b32_e32 v96, 0x7fffffff, v16
	v_and_b32_e32 v31, 0x80, v17
                                        ; implicit-def: $vgpr44
	s_mov_b32 s10, exec_lo
	s_delay_alu instid0(VALU_DEP_2)
	v_cmpx_gt_u64_e32 0x43e00001, v[96:97]
	s_xor_b32 s29, exec_lo, s10
	s_cbranch_execz .LBB6_3516
; %bb.3503:                             ;   in Loop: Header=BB6_2621 Depth=2
	v_mov_b32_e32 v44, 0
	s_mov_b32 s40, exec_lo
	v_cmpx_ne_u32_e32 0, v16
	s_cbranch_execz .LBB6_3515
; %bb.3504:                             ;   in Loop: Header=BB6_2621 Depth=2
	v_bfe_u32 v54, v16, 23, 8
	v_and_b32_e32 v18, 0x7fffff, v16
	s_delay_alu instid0(VALU_DEP_2) | instskip(SKIP_1) | instid1(VALU_DEP_3)
	v_sub_nc_u32_e32 v17, 0x79, v54
	v_cmp_gt_u32_e32 vcc_lo, 0x7a, v54
	v_or_b32_e32 v19, 0x800000, v18
	s_delay_alu instid0(VALU_DEP_3) | instskip(SKIP_1) | instid1(VALU_DEP_2)
	v_cndmask_b32_e32 v17, 0, v17, vcc_lo
	v_cmp_eq_u32_e32 vcc_lo, 0, v54
	v_cndmask_b32_e64 v55, v17, 0x78, vcc_lo
	s_delay_alu instid0(VALU_DEP_1) | instskip(SKIP_1) | instid1(VALU_DEP_2)
	v_dual_cndmask_b32 v96, v19, v18, vcc_lo :: v_dual_add_nc_u32 v66, 19, v55
	v_add_nc_u32_e32 v16, 20, v55
	v_lshlrev_b64_e64 v[18:19], v66, 1
	s_delay_alu instid0(VALU_DEP_2) | instskip(NEXT) | instid1(VALU_DEP_1)
	v_lshlrev_b64_e64 v[16:17], v16, -1
	v_bfi_b32 v67, v17, 0, 0
	s_delay_alu instid0(VALU_DEP_2) | instskip(SKIP_1) | instid1(VALU_DEP_2)
	v_bfi_b32 v66, v16, 0, v96
	v_lshrrev_b64 v[16:17], v55, v[96:97]
	v_cmp_eq_u64_e64 s10, v[66:67], v[18:19]
	s_delay_alu instid0(VALU_DEP_2)
	v_mov_b64_e32 v[18:19], v[16:17]
	s_and_saveexec_b32 s41, s10
; %bb.3505:                             ;   in Loop: Header=BB6_2621 Depth=2
	v_bfe_u32 v96, v16, 20, 1
	s_delay_alu instid0(VALU_DEP_1) | instskip(NEXT) | instid1(VALU_DEP_1)
	v_add_nc_u64_e32 v[18:19], v[16:17], v[96:97]
	v_add_nc_u64_e32 v[18:19], -1, v[18:19]
; %bb.3506:                             ;   in Loop: Header=BB6_2621 Depth=2
	s_or_b32 exec_lo, exec_lo, s41
	v_add_nc_u32_e32 v17, 0xffffff81, v54
	v_lshrrev_b32_e32 v19, 23, v16
	s_mov_b32 s10, exec_lo
	s_delay_alu instid0(VALU_DEP_2) | instskip(NEXT) | instid1(VALU_DEP_1)
	v_cndmask_b32_e64 v17, v17, 0xffffff82, vcc_lo
	v_add3_u32 v19, v55, v17, v19
	v_and_b32_e32 v17, 0xfffff, v18
                                        ; implicit-def: $vgpr18
	s_delay_alu instid0(VALU_DEP_1) | instskip(NEXT) | instid1(VALU_DEP_1)
	v_dual_add_nc_u32 v54, 6, v19 :: v_dual_add_nc_u32 v96, v17, v16
                                        ; implicit-def: $vgpr16_vgpr17
	v_cmpx_ne_u32_e32 0, v54
	s_xor_b32 s10, exec_lo, s10
; %bb.3507:                             ;   in Loop: Header=BB6_2621 Depth=2
	s_delay_alu instid0(VALU_DEP_2) | instskip(SKIP_1) | instid1(VALU_DEP_1)
	v_cmp_lt_u64_e32 vcc_lo, 0xffffff, v[96:97]
	v_add_nc_u32_e32 v16, 7, v19
	v_cndmask_b32_e32 v18, v54, v16, vcc_lo
	v_cndmask_b32_e64 v16, 0, 1, vcc_lo
	s_delay_alu instid0(VALU_DEP_1)
	v_lshrrev_b64 v[16:17], v16, v[96:97]
; %bb.3508:                             ;   in Loop: Header=BB6_2621 Depth=2
	s_and_not1_saveexec_b32 s10, s10
; %bb.3509:                             ;   in Loop: Header=BB6_2621 Depth=2
	v_mov_b64_e32 v[16:17], v[96:97]
	v_bfe_u32 v18, v96, 23, 1
; %bb.3510:                             ;   in Loop: Header=BB6_2621 Depth=2
	s_or_b32 exec_lo, exec_lo, s10
	s_delay_alu instid0(VALU_DEP_2) | instskip(NEXT) | instid1(VALU_DEP_2)
	v_lshrrev_b64 v[16:17], 20, v[16:17]
	v_cmp_gt_i32_e32 vcc_lo, 16, v18
	v_cmp_ne_u32_e64 s10, 0, v18
                                        ; implicit-def: $vgpr44
	s_delay_alu instid0(VALU_DEP_3) | instskip(NEXT) | instid1(VALU_DEP_1)
	v_dual_cndmask_b32 v17, 0, v17 :: v_dual_cndmask_b32 v16, 7, v16
	v_cmp_ne_u64_e32 vcc_lo, 0, v[16:17]
	s_or_b32 s10, s10, vcc_lo
	s_delay_alu instid0(SALU_CYCLE_1) | instskip(NEXT) | instid1(SALU_CYCLE_1)
	s_and_saveexec_b32 s41, s10
	s_xor_b32 s10, exec_lo, s41
; %bb.3511:                             ;   in Loop: Header=BB6_2621 Depth=2
	v_min_i32_e32 v17, 15, v18
	s_delay_alu instid0(VALU_DEP_1) | instskip(NEXT) | instid1(VALU_DEP_1)
	v_lshl_or_b32 v17, v17, 3, v31
                                        ; implicit-def: $vgpr31
	v_and_or_b32 v44, v16, 7, v17
; %bb.3512:                             ;   in Loop: Header=BB6_2621 Depth=2
	s_and_not1_saveexec_b32 s10, s10
; %bb.3513:                             ;   in Loop: Header=BB6_2621 Depth=2
	v_mov_b32_e32 v44, v31
; %bb.3514:                             ;   in Loop: Header=BB6_2621 Depth=2
	s_or_b32 exec_lo, exec_lo, s10
.LBB6_3515:                             ;   in Loop: Header=BB6_2621 Depth=2
	s_delay_alu instid0(SALU_CYCLE_1)
	s_or_b32 exec_lo, exec_lo, s40
                                        ; implicit-def: $vgpr31
.LBB6_3516:                             ;   in Loop: Header=BB6_2621 Depth=2
	s_and_not1_saveexec_b32 s10, s29
; %bb.3517:                             ;   in Loop: Header=BB6_2621 Depth=2
	v_or_b32_e32 v44, 0x7e, v31
; %bb.3518:                             ;   in Loop: Header=BB6_2621 Depth=2
	s_or_b32 exec_lo, exec_lo, s10
                                        ; implicit-def: $vgpr17
.LBB6_3519:                             ;   in Loop: Header=BB6_2621 Depth=2
	s_and_not1_saveexec_b32 s10, s28
; %bb.3520:                             ;   in Loop: Header=BB6_2621 Depth=2
	v_or_b32_e32 v44, 0x7f, v17
; %bb.3521:                             ;   in Loop: Header=BB6_2621 Depth=2
	s_or_b32 exec_lo, exec_lo, s10
	v_and_b32_e32 v18, 0xff, v43
	v_dual_mov_b32 v16, 0 :: v_dual_mov_b32 v17, 0
	s_mov_b32 s10, exec_lo
	s_delay_alu instid0(VALU_DEP_2)
	v_cmpx_ne_u16_e32 0, v18
	s_cbranch_execz .LBB6_3529
; %bb.3522:                             ;   in Loop: Header=BB6_2621 Depth=2
	v_bfrev_b32_e32 v17, 1
	s_mov_b32 s28, exec_lo
	v_cmpx_ne_u16_e32 0x80, v18
	s_cbranch_execz .LBB6_3528
; %bb.3523:                             ;   in Loop: Header=BB6_2621 Depth=2
	v_and_b32_e32 v19, 0x7f, v43
	v_mov_b32_e32 v17, 0x7f800001
	s_mov_b32 s29, exec_lo
	s_delay_alu instid0(VALU_DEP_2)
	v_cmpx_ne_u32_e32 0x7f, v19
	s_cbranch_execz .LBB6_3527
; %bb.3524:                             ;   in Loop: Header=BB6_2621 Depth=2
	v_dual_lshrrev_b32 v17, 3, v19 :: v_dual_bitop2_b32 v96, 7, v18 bitop3:0x40
	s_mov_b32 s40, exec_lo
	v_cmpx_gt_u32_e32 8, v19
; %bb.3525:                             ;   in Loop: Header=BB6_2621 Depth=2
	s_delay_alu instid0(VALU_DEP_2) | instskip(NEXT) | instid1(VALU_DEP_1)
	v_clz_i32_u32_e32 v17, v96
	v_min_u32_e32 v17, 32, v17
	s_delay_alu instid0(VALU_DEP_1) | instskip(NEXT) | instid1(VALU_DEP_1)
	v_subrev_nc_u32_e32 v18, 28, v17
	v_lshlrev_b64_e32 v[18:19], v18, v[96:97]
	s_delay_alu instid0(VALU_DEP_1)
	v_dual_sub_nc_u32 v17, 29, v17 :: v_dual_bitop2_b32 v96, 7, v18 bitop3:0x40
; %bb.3526:                             ;   in Loop: Header=BB6_2621 Depth=2
	s_or_b32 exec_lo, exec_lo, s40
	s_delay_alu instid0(VALU_DEP_1) | instskip(NEXT) | instid1(VALU_DEP_2)
	v_dual_lshlrev_b32 v18, 24, v43 :: v_dual_lshlrev_b32 v19, 20, v96
	v_lshl_add_u32 v17, v17, 23, 0x3c000000
	s_delay_alu instid0(VALU_DEP_2) | instskip(NEXT) | instid1(VALU_DEP_1)
	v_and_b32_e32 v18, 0x80000000, v18
	v_or3_b32 v17, v19, v18, v17
.LBB6_3527:                             ;   in Loop: Header=BB6_2621 Depth=2
	s_or_b32 exec_lo, exec_lo, s29
.LBB6_3528:                             ;   in Loop: Header=BB6_2621 Depth=2
	s_delay_alu instid0(SALU_CYCLE_1)
	s_or_b32 exec_lo, exec_lo, s28
.LBB6_3529:                             ;   in Loop: Header=BB6_2621 Depth=2
	s_delay_alu instid0(SALU_CYCLE_1) | instskip(SKIP_3) | instid1(VALU_DEP_1)
	s_or_b32 exec_lo, exec_lo, s10
	s_wait_loadcnt_dscnt 0x606
	v_and_b32_e32 v18, 0xff, v41
	s_mov_b32 s10, exec_lo
	v_cmpx_ne_u16_e32 0, v18
	s_cbranch_execz .LBB6_3537
; %bb.3530:                             ;   in Loop: Header=BB6_2621 Depth=2
	v_bfrev_b32_e32 v16, 1
	s_mov_b32 s28, exec_lo
	v_cmpx_ne_u16_e32 0x80, v18
	s_cbranch_execz .LBB6_3536
; %bb.3531:                             ;   in Loop: Header=BB6_2621 Depth=2
	v_and_b32_e32 v19, 0x7f, v41
	v_mov_b32_e32 v16, 0x7f800001
	s_mov_b32 s29, exec_lo
	s_delay_alu instid0(VALU_DEP_2)
	v_cmpx_ne_u32_e32 0x7f, v19
	s_cbranch_execz .LBB6_3535
; %bb.3532:                             ;   in Loop: Header=BB6_2621 Depth=2
	v_dual_lshrrev_b32 v16, 3, v19 :: v_dual_bitop2_b32 v96, 7, v18 bitop3:0x40
	s_mov_b32 s40, exec_lo
	v_cmpx_gt_u32_e32 8, v19
; %bb.3533:                             ;   in Loop: Header=BB6_2621 Depth=2
	s_delay_alu instid0(VALU_DEP_2) | instskip(NEXT) | instid1(VALU_DEP_1)
	v_clz_i32_u32_e32 v16, v96
	v_min_u32_e32 v16, 32, v16
	s_delay_alu instid0(VALU_DEP_1) | instskip(NEXT) | instid1(VALU_DEP_1)
	v_subrev_nc_u32_e32 v18, 28, v16
	v_lshlrev_b64_e32 v[18:19], v18, v[96:97]
	s_delay_alu instid0(VALU_DEP_1)
	v_dual_sub_nc_u32 v16, 29, v16 :: v_dual_bitop2_b32 v96, 7, v18 bitop3:0x40
; %bb.3534:                             ;   in Loop: Header=BB6_2621 Depth=2
	s_or_b32 exec_lo, exec_lo, s40
	s_delay_alu instid0(VALU_DEP_1) | instskip(NEXT) | instid1(VALU_DEP_2)
	v_dual_lshlrev_b32 v18, 24, v41 :: v_dual_lshlrev_b32 v19, 20, v96
	v_lshl_add_u32 v16, v16, 23, 0x3c000000
	s_delay_alu instid0(VALU_DEP_2) | instskip(NEXT) | instid1(VALU_DEP_1)
	v_and_b32_e32 v18, 0x80000000, v18
	v_or3_b32 v16, v19, v18, v16
.LBB6_3535:                             ;   in Loop: Header=BB6_2621 Depth=2
	s_or_b32 exec_lo, exec_lo, s29
.LBB6_3536:                             ;   in Loop: Header=BB6_2621 Depth=2
	s_delay_alu instid0(SALU_CYCLE_1)
	s_or_b32 exec_lo, exec_lo, s28
.LBB6_3537:                             ;   in Loop: Header=BB6_2621 Depth=2
	s_delay_alu instid0(SALU_CYCLE_1) | instskip(NEXT) | instid1(VALU_DEP_1)
	s_or_b32 exec_lo, exec_lo, s10
	v_mul_f32_e32 v16, v17, v16
                                        ; implicit-def: $vgpr41
	s_mov_b32 s10, exec_lo
	s_delay_alu instid0(VALU_DEP_1) | instskip(SKIP_1) | instid1(VALU_DEP_2)
	v_and_b32_e32 v96, 0x7f800000, v16
	v_lshrrev_b32_e32 v17, 24, v16
	v_cmpx_ne_u64_e32 0x7f800000, v[96:97]
	s_xor_b32 s28, exec_lo, s10
	s_cbranch_execz .LBB6_3555
; %bb.3538:                             ;   in Loop: Header=BB6_2621 Depth=2
	v_and_b32_e32 v96, 0x7fffffff, v16
	v_and_b32_e32 v31, 0x80, v17
                                        ; implicit-def: $vgpr41
	s_mov_b32 s10, exec_lo
	s_delay_alu instid0(VALU_DEP_2)
	v_cmpx_gt_u64_e32 0x43e00001, v[96:97]
	s_xor_b32 s29, exec_lo, s10
	s_cbranch_execz .LBB6_3552
; %bb.3539:                             ;   in Loop: Header=BB6_2621 Depth=2
	v_mov_b32_e32 v41, 0
	s_mov_b32 s40, exec_lo
	v_cmpx_ne_u32_e32 0, v16
	s_cbranch_execz .LBB6_3551
; %bb.3540:                             ;   in Loop: Header=BB6_2621 Depth=2
	v_bfe_u32 v54, v16, 23, 8
	v_and_b32_e32 v18, 0x7fffff, v16
	s_delay_alu instid0(VALU_DEP_2) | instskip(SKIP_1) | instid1(VALU_DEP_3)
	v_sub_nc_u32_e32 v17, 0x79, v54
	v_cmp_gt_u32_e32 vcc_lo, 0x7a, v54
	v_or_b32_e32 v19, 0x800000, v18
	s_delay_alu instid0(VALU_DEP_3) | instskip(SKIP_1) | instid1(VALU_DEP_2)
	v_cndmask_b32_e32 v17, 0, v17, vcc_lo
	v_cmp_eq_u32_e32 vcc_lo, 0, v54
	v_cndmask_b32_e64 v55, v17, 0x78, vcc_lo
	s_delay_alu instid0(VALU_DEP_1) | instskip(SKIP_1) | instid1(VALU_DEP_2)
	v_dual_cndmask_b32 v96, v19, v18, vcc_lo :: v_dual_add_nc_u32 v66, 19, v55
	v_add_nc_u32_e32 v16, 20, v55
	v_lshlrev_b64_e64 v[18:19], v66, 1
	s_delay_alu instid0(VALU_DEP_2) | instskip(NEXT) | instid1(VALU_DEP_1)
	v_lshlrev_b64_e64 v[16:17], v16, -1
	v_bfi_b32 v67, v17, 0, 0
	s_delay_alu instid0(VALU_DEP_2) | instskip(SKIP_1) | instid1(VALU_DEP_2)
	v_bfi_b32 v66, v16, 0, v96
	v_lshrrev_b64 v[16:17], v55, v[96:97]
	v_cmp_eq_u64_e64 s10, v[66:67], v[18:19]
	s_delay_alu instid0(VALU_DEP_2)
	v_mov_b64_e32 v[18:19], v[16:17]
	s_and_saveexec_b32 s41, s10
; %bb.3541:                             ;   in Loop: Header=BB6_2621 Depth=2
	v_bfe_u32 v96, v16, 20, 1
	s_delay_alu instid0(VALU_DEP_1) | instskip(NEXT) | instid1(VALU_DEP_1)
	v_add_nc_u64_e32 v[18:19], v[16:17], v[96:97]
	v_add_nc_u64_e32 v[18:19], -1, v[18:19]
; %bb.3542:                             ;   in Loop: Header=BB6_2621 Depth=2
	s_or_b32 exec_lo, exec_lo, s41
	v_add_nc_u32_e32 v17, 0xffffff81, v54
	v_lshrrev_b32_e32 v19, 23, v16
	s_mov_b32 s10, exec_lo
	s_delay_alu instid0(VALU_DEP_2) | instskip(NEXT) | instid1(VALU_DEP_1)
	v_cndmask_b32_e64 v17, v17, 0xffffff82, vcc_lo
	v_add3_u32 v19, v55, v17, v19
	v_and_b32_e32 v17, 0xfffff, v18
                                        ; implicit-def: $vgpr18
	s_delay_alu instid0(VALU_DEP_1) | instskip(NEXT) | instid1(VALU_DEP_1)
	v_dual_add_nc_u32 v54, 6, v19 :: v_dual_add_nc_u32 v96, v17, v16
                                        ; implicit-def: $vgpr16_vgpr17
	v_cmpx_ne_u32_e32 0, v54
	s_xor_b32 s10, exec_lo, s10
; %bb.3543:                             ;   in Loop: Header=BB6_2621 Depth=2
	s_delay_alu instid0(VALU_DEP_2) | instskip(SKIP_1) | instid1(VALU_DEP_1)
	v_cmp_lt_u64_e32 vcc_lo, 0xffffff, v[96:97]
	v_add_nc_u32_e32 v16, 7, v19
	v_cndmask_b32_e32 v18, v54, v16, vcc_lo
	v_cndmask_b32_e64 v16, 0, 1, vcc_lo
	s_delay_alu instid0(VALU_DEP_1)
	v_lshrrev_b64 v[16:17], v16, v[96:97]
; %bb.3544:                             ;   in Loop: Header=BB6_2621 Depth=2
	s_and_not1_saveexec_b32 s10, s10
; %bb.3545:                             ;   in Loop: Header=BB6_2621 Depth=2
	v_mov_b64_e32 v[16:17], v[96:97]
	v_bfe_u32 v18, v96, 23, 1
; %bb.3546:                             ;   in Loop: Header=BB6_2621 Depth=2
	s_or_b32 exec_lo, exec_lo, s10
	s_delay_alu instid0(VALU_DEP_2) | instskip(NEXT) | instid1(VALU_DEP_2)
	v_lshrrev_b64 v[16:17], 20, v[16:17]
	v_cmp_gt_i32_e32 vcc_lo, 16, v18
	v_cmp_ne_u32_e64 s10, 0, v18
                                        ; implicit-def: $vgpr41
	s_delay_alu instid0(VALU_DEP_3) | instskip(NEXT) | instid1(VALU_DEP_1)
	v_dual_cndmask_b32 v17, 0, v17 :: v_dual_cndmask_b32 v16, 7, v16
	v_cmp_ne_u64_e32 vcc_lo, 0, v[16:17]
	s_or_b32 s10, s10, vcc_lo
	s_delay_alu instid0(SALU_CYCLE_1) | instskip(NEXT) | instid1(SALU_CYCLE_1)
	s_and_saveexec_b32 s41, s10
	s_xor_b32 s10, exec_lo, s41
; %bb.3547:                             ;   in Loop: Header=BB6_2621 Depth=2
	v_min_i32_e32 v17, 15, v18
	s_delay_alu instid0(VALU_DEP_1) | instskip(NEXT) | instid1(VALU_DEP_1)
	v_lshl_or_b32 v17, v17, 3, v31
                                        ; implicit-def: $vgpr31
	v_and_or_b32 v41, v16, 7, v17
; %bb.3548:                             ;   in Loop: Header=BB6_2621 Depth=2
	s_and_not1_saveexec_b32 s10, s10
; %bb.3549:                             ;   in Loop: Header=BB6_2621 Depth=2
	v_mov_b32_e32 v41, v31
; %bb.3550:                             ;   in Loop: Header=BB6_2621 Depth=2
	s_or_b32 exec_lo, exec_lo, s10
.LBB6_3551:                             ;   in Loop: Header=BB6_2621 Depth=2
	s_delay_alu instid0(SALU_CYCLE_1)
	s_or_b32 exec_lo, exec_lo, s40
                                        ; implicit-def: $vgpr31
.LBB6_3552:                             ;   in Loop: Header=BB6_2621 Depth=2
	s_and_not1_saveexec_b32 s10, s29
; %bb.3553:                             ;   in Loop: Header=BB6_2621 Depth=2
	v_or_b32_e32 v41, 0x7e, v31
; %bb.3554:                             ;   in Loop: Header=BB6_2621 Depth=2
	s_or_b32 exec_lo, exec_lo, s10
                                        ; implicit-def: $vgpr17
.LBB6_3555:                             ;   in Loop: Header=BB6_2621 Depth=2
	s_and_not1_saveexec_b32 s10, s28
; %bb.3556:                             ;   in Loop: Header=BB6_2621 Depth=2
	v_or_b32_e32 v41, 0x7f, v17
; %bb.3557:                             ;   in Loop: Header=BB6_2621 Depth=2
	s_or_b32 exec_lo, exec_lo, s10
	v_and_b32_e32 v18, 0xff, v51
	v_dual_mov_b32 v16, 0 :: v_dual_mov_b32 v17, 0
	s_mov_b32 s10, exec_lo
	s_delay_alu instid0(VALU_DEP_2)
	v_cmpx_ne_u16_e32 0, v18
	s_cbranch_execz .LBB6_3565
; %bb.3558:                             ;   in Loop: Header=BB6_2621 Depth=2
	v_bfrev_b32_e32 v17, 1
	s_mov_b32 s28, exec_lo
	v_cmpx_ne_u16_e32 0x80, v18
	s_cbranch_execz .LBB6_3564
; %bb.3559:                             ;   in Loop: Header=BB6_2621 Depth=2
	v_and_b32_e32 v19, 0x7f, v51
	v_mov_b32_e32 v17, 0x7f800001
	s_mov_b32 s29, exec_lo
	s_delay_alu instid0(VALU_DEP_2)
	v_cmpx_ne_u32_e32 0x7f, v19
	s_cbranch_execz .LBB6_3563
; %bb.3560:                             ;   in Loop: Header=BB6_2621 Depth=2
	v_dual_lshrrev_b32 v17, 3, v19 :: v_dual_bitop2_b32 v96, 7, v18 bitop3:0x40
	s_mov_b32 s40, exec_lo
	v_cmpx_gt_u32_e32 8, v19
; %bb.3561:                             ;   in Loop: Header=BB6_2621 Depth=2
	s_delay_alu instid0(VALU_DEP_2) | instskip(NEXT) | instid1(VALU_DEP_1)
	v_clz_i32_u32_e32 v17, v96
	v_min_u32_e32 v17, 32, v17
	s_delay_alu instid0(VALU_DEP_1) | instskip(NEXT) | instid1(VALU_DEP_1)
	v_subrev_nc_u32_e32 v18, 28, v17
	v_lshlrev_b64_e32 v[18:19], v18, v[96:97]
	s_delay_alu instid0(VALU_DEP_1)
	v_dual_sub_nc_u32 v17, 29, v17 :: v_dual_bitop2_b32 v96, 7, v18 bitop3:0x40
; %bb.3562:                             ;   in Loop: Header=BB6_2621 Depth=2
	s_or_b32 exec_lo, exec_lo, s40
	s_delay_alu instid0(VALU_DEP_1) | instskip(NEXT) | instid1(VALU_DEP_2)
	v_dual_lshlrev_b32 v18, 24, v51 :: v_dual_lshlrev_b32 v19, 20, v96
	v_lshl_add_u32 v17, v17, 23, 0x3c000000
	s_delay_alu instid0(VALU_DEP_2) | instskip(NEXT) | instid1(VALU_DEP_1)
	v_and_b32_e32 v18, 0x80000000, v18
	v_or3_b32 v17, v19, v18, v17
.LBB6_3563:                             ;   in Loop: Header=BB6_2621 Depth=2
	s_or_b32 exec_lo, exec_lo, s29
.LBB6_3564:                             ;   in Loop: Header=BB6_2621 Depth=2
	s_delay_alu instid0(SALU_CYCLE_1)
	s_or_b32 exec_lo, exec_lo, s28
.LBB6_3565:                             ;   in Loop: Header=BB6_2621 Depth=2
	s_delay_alu instid0(SALU_CYCLE_1) | instskip(SKIP_3) | instid1(VALU_DEP_1)
	s_or_b32 exec_lo, exec_lo, s10
	s_wait_loadcnt_dscnt 0x505
	v_and_b32_e32 v18, 0xff, v50
	s_mov_b32 s10, exec_lo
	v_cmpx_ne_u16_e32 0, v18
	s_cbranch_execz .LBB6_3573
; %bb.3566:                             ;   in Loop: Header=BB6_2621 Depth=2
	v_bfrev_b32_e32 v16, 1
	s_mov_b32 s28, exec_lo
	v_cmpx_ne_u16_e32 0x80, v18
	s_cbranch_execz .LBB6_3572
; %bb.3567:                             ;   in Loop: Header=BB6_2621 Depth=2
	v_and_b32_e32 v19, 0x7f, v50
	v_mov_b32_e32 v16, 0x7f800001
	s_mov_b32 s29, exec_lo
	s_delay_alu instid0(VALU_DEP_2)
	v_cmpx_ne_u32_e32 0x7f, v19
	s_cbranch_execz .LBB6_3571
; %bb.3568:                             ;   in Loop: Header=BB6_2621 Depth=2
	v_dual_lshrrev_b32 v16, 3, v19 :: v_dual_bitop2_b32 v96, 7, v18 bitop3:0x40
	s_mov_b32 s40, exec_lo
	v_cmpx_gt_u32_e32 8, v19
; %bb.3569:                             ;   in Loop: Header=BB6_2621 Depth=2
	s_delay_alu instid0(VALU_DEP_2) | instskip(NEXT) | instid1(VALU_DEP_1)
	v_clz_i32_u32_e32 v16, v96
	v_min_u32_e32 v16, 32, v16
	s_delay_alu instid0(VALU_DEP_1) | instskip(NEXT) | instid1(VALU_DEP_1)
	v_subrev_nc_u32_e32 v18, 28, v16
	v_lshlrev_b64_e32 v[18:19], v18, v[96:97]
	s_delay_alu instid0(VALU_DEP_1)
	v_dual_sub_nc_u32 v16, 29, v16 :: v_dual_bitop2_b32 v96, 7, v18 bitop3:0x40
; %bb.3570:                             ;   in Loop: Header=BB6_2621 Depth=2
	s_or_b32 exec_lo, exec_lo, s40
	s_delay_alu instid0(VALU_DEP_1) | instskip(NEXT) | instid1(VALU_DEP_2)
	v_dual_lshlrev_b32 v18, 24, v50 :: v_dual_lshlrev_b32 v19, 20, v96
	v_lshl_add_u32 v16, v16, 23, 0x3c000000
	s_delay_alu instid0(VALU_DEP_2) | instskip(NEXT) | instid1(VALU_DEP_1)
	v_and_b32_e32 v18, 0x80000000, v18
	v_or3_b32 v16, v19, v18, v16
.LBB6_3571:                             ;   in Loop: Header=BB6_2621 Depth=2
	s_or_b32 exec_lo, exec_lo, s29
.LBB6_3572:                             ;   in Loop: Header=BB6_2621 Depth=2
	s_delay_alu instid0(SALU_CYCLE_1)
	s_or_b32 exec_lo, exec_lo, s28
.LBB6_3573:                             ;   in Loop: Header=BB6_2621 Depth=2
	s_delay_alu instid0(SALU_CYCLE_1) | instskip(NEXT) | instid1(VALU_DEP_1)
	s_or_b32 exec_lo, exec_lo, s10
	v_mul_f32_e32 v16, v17, v16
                                        ; implicit-def: $vgpr50
	s_mov_b32 s10, exec_lo
	s_delay_alu instid0(VALU_DEP_1) | instskip(SKIP_1) | instid1(VALU_DEP_2)
	v_and_b32_e32 v96, 0x7f800000, v16
	v_lshrrev_b32_e32 v17, 24, v16
	v_cmpx_ne_u64_e32 0x7f800000, v[96:97]
	s_xor_b32 s28, exec_lo, s10
	s_cbranch_execz .LBB6_3591
; %bb.3574:                             ;   in Loop: Header=BB6_2621 Depth=2
	v_and_b32_e32 v96, 0x7fffffff, v16
	v_and_b32_e32 v31, 0x80, v17
                                        ; implicit-def: $vgpr50
	s_mov_b32 s10, exec_lo
	s_delay_alu instid0(VALU_DEP_2)
	v_cmpx_gt_u64_e32 0x43e00001, v[96:97]
	s_xor_b32 s29, exec_lo, s10
	s_cbranch_execz .LBB6_3588
; %bb.3575:                             ;   in Loop: Header=BB6_2621 Depth=2
	v_mov_b32_e32 v50, 0
	s_mov_b32 s40, exec_lo
	v_cmpx_ne_u32_e32 0, v16
	s_cbranch_execz .LBB6_3587
; %bb.3576:                             ;   in Loop: Header=BB6_2621 Depth=2
	v_bfe_u32 v50, v16, 23, 8
	v_and_b32_e32 v18, 0x7fffff, v16
	s_delay_alu instid0(VALU_DEP_2) | instskip(SKIP_1) | instid1(VALU_DEP_3)
	v_sub_nc_u32_e32 v17, 0x79, v50
	v_cmp_gt_u32_e32 vcc_lo, 0x7a, v50
	v_or_b32_e32 v19, 0x800000, v18
	s_delay_alu instid0(VALU_DEP_3) | instskip(SKIP_1) | instid1(VALU_DEP_2)
	v_cndmask_b32_e32 v17, 0, v17, vcc_lo
	v_cmp_eq_u32_e32 vcc_lo, 0, v50
	v_cndmask_b32_e64 v51, v17, 0x78, vcc_lo
	s_delay_alu instid0(VALU_DEP_1) | instskip(SKIP_1) | instid1(VALU_DEP_2)
	v_dual_cndmask_b32 v96, v19, v18, vcc_lo :: v_dual_add_nc_u32 v54, 19, v51
	v_add_nc_u32_e32 v16, 20, v51
	v_lshlrev_b64_e64 v[18:19], v54, 1
	s_delay_alu instid0(VALU_DEP_2) | instskip(NEXT) | instid1(VALU_DEP_1)
	v_lshlrev_b64_e64 v[16:17], v16, -1
	v_bfi_b32 v55, v17, 0, 0
	s_delay_alu instid0(VALU_DEP_2) | instskip(SKIP_1) | instid1(VALU_DEP_2)
	v_bfi_b32 v54, v16, 0, v96
	v_lshrrev_b64 v[16:17], v51, v[96:97]
	v_cmp_eq_u64_e64 s10, v[54:55], v[18:19]
	s_delay_alu instid0(VALU_DEP_2)
	v_mov_b64_e32 v[18:19], v[16:17]
	s_and_saveexec_b32 s41, s10
; %bb.3577:                             ;   in Loop: Header=BB6_2621 Depth=2
	v_bfe_u32 v96, v16, 20, 1
	s_delay_alu instid0(VALU_DEP_1) | instskip(NEXT) | instid1(VALU_DEP_1)
	v_add_nc_u64_e32 v[18:19], v[16:17], v[96:97]
	v_add_nc_u64_e32 v[18:19], -1, v[18:19]
; %bb.3578:                             ;   in Loop: Header=BB6_2621 Depth=2
	s_or_b32 exec_lo, exec_lo, s41
	v_add_nc_u32_e32 v17, 0xffffff81, v50
	v_lshrrev_b32_e32 v19, 23, v16
	s_mov_b32 s10, exec_lo
	s_delay_alu instid0(VALU_DEP_2) | instskip(NEXT) | instid1(VALU_DEP_1)
	v_cndmask_b32_e64 v17, v17, 0xffffff82, vcc_lo
	v_add3_u32 v19, v51, v17, v19
	v_and_b32_e32 v17, 0xfffff, v18
                                        ; implicit-def: $vgpr18
	s_delay_alu instid0(VALU_DEP_1) | instskip(NEXT) | instid1(VALU_DEP_1)
	v_dual_add_nc_u32 v50, 6, v19 :: v_dual_add_nc_u32 v96, v17, v16
                                        ; implicit-def: $vgpr16_vgpr17
	v_cmpx_ne_u32_e32 0, v50
	s_xor_b32 s10, exec_lo, s10
; %bb.3579:                             ;   in Loop: Header=BB6_2621 Depth=2
	s_delay_alu instid0(VALU_DEP_2) | instskip(SKIP_1) | instid1(VALU_DEP_1)
	v_cmp_lt_u64_e32 vcc_lo, 0xffffff, v[96:97]
	v_add_nc_u32_e32 v16, 7, v19
	v_cndmask_b32_e32 v18, v50, v16, vcc_lo
	v_cndmask_b32_e64 v16, 0, 1, vcc_lo
	s_delay_alu instid0(VALU_DEP_1)
	v_lshrrev_b64 v[16:17], v16, v[96:97]
; %bb.3580:                             ;   in Loop: Header=BB6_2621 Depth=2
	s_and_not1_saveexec_b32 s10, s10
; %bb.3581:                             ;   in Loop: Header=BB6_2621 Depth=2
	v_mov_b64_e32 v[16:17], v[96:97]
	v_bfe_u32 v18, v96, 23, 1
; %bb.3582:                             ;   in Loop: Header=BB6_2621 Depth=2
	s_or_b32 exec_lo, exec_lo, s10
	s_delay_alu instid0(VALU_DEP_2) | instskip(NEXT) | instid1(VALU_DEP_2)
	v_lshrrev_b64 v[16:17], 20, v[16:17]
	v_cmp_gt_i32_e32 vcc_lo, 16, v18
	v_cmp_ne_u32_e64 s10, 0, v18
                                        ; implicit-def: $vgpr50
	s_delay_alu instid0(VALU_DEP_3) | instskip(NEXT) | instid1(VALU_DEP_1)
	v_dual_cndmask_b32 v17, 0, v17 :: v_dual_cndmask_b32 v16, 7, v16
	v_cmp_ne_u64_e32 vcc_lo, 0, v[16:17]
	s_or_b32 s10, s10, vcc_lo
	s_delay_alu instid0(SALU_CYCLE_1) | instskip(NEXT) | instid1(SALU_CYCLE_1)
	s_and_saveexec_b32 s41, s10
	s_xor_b32 s10, exec_lo, s41
; %bb.3583:                             ;   in Loop: Header=BB6_2621 Depth=2
	v_min_i32_e32 v17, 15, v18
	s_delay_alu instid0(VALU_DEP_1) | instskip(NEXT) | instid1(VALU_DEP_1)
	v_lshl_or_b32 v17, v17, 3, v31
                                        ; implicit-def: $vgpr31
	v_and_or_b32 v50, v16, 7, v17
; %bb.3584:                             ;   in Loop: Header=BB6_2621 Depth=2
	s_and_not1_saveexec_b32 s10, s10
; %bb.3585:                             ;   in Loop: Header=BB6_2621 Depth=2
	v_mov_b32_e32 v50, v31
; %bb.3586:                             ;   in Loop: Header=BB6_2621 Depth=2
	s_or_b32 exec_lo, exec_lo, s10
.LBB6_3587:                             ;   in Loop: Header=BB6_2621 Depth=2
	s_delay_alu instid0(SALU_CYCLE_1)
	s_or_b32 exec_lo, exec_lo, s40
                                        ; implicit-def: $vgpr31
.LBB6_3588:                             ;   in Loop: Header=BB6_2621 Depth=2
	s_and_not1_saveexec_b32 s10, s29
; %bb.3589:                             ;   in Loop: Header=BB6_2621 Depth=2
	v_or_b32_e32 v50, 0x7e, v31
; %bb.3590:                             ;   in Loop: Header=BB6_2621 Depth=2
	s_or_b32 exec_lo, exec_lo, s10
                                        ; implicit-def: $vgpr17
.LBB6_3591:                             ;   in Loop: Header=BB6_2621 Depth=2
	s_and_not1_saveexec_b32 s10, s28
; %bb.3592:                             ;   in Loop: Header=BB6_2621 Depth=2
	v_or_b32_e32 v50, 0x7f, v17
; %bb.3593:                             ;   in Loop: Header=BB6_2621 Depth=2
	s_or_b32 exec_lo, exec_lo, s10
	v_and_b32_e32 v18, 0xff, v48
	v_dual_mov_b32 v16, 0 :: v_dual_mov_b32 v17, 0
	s_mov_b32 s10, exec_lo
	s_delay_alu instid0(VALU_DEP_2)
	v_cmpx_ne_u16_e32 0, v18
	s_cbranch_execz .LBB6_3601
; %bb.3594:                             ;   in Loop: Header=BB6_2621 Depth=2
	v_bfrev_b32_e32 v17, 1
	s_mov_b32 s28, exec_lo
	v_cmpx_ne_u16_e32 0x80, v18
	s_cbranch_execz .LBB6_3600
; %bb.3595:                             ;   in Loop: Header=BB6_2621 Depth=2
	v_and_b32_e32 v19, 0x7f, v48
	v_mov_b32_e32 v17, 0x7f800001
	s_mov_b32 s29, exec_lo
	s_delay_alu instid0(VALU_DEP_2)
	v_cmpx_ne_u32_e32 0x7f, v19
	s_cbranch_execz .LBB6_3599
; %bb.3596:                             ;   in Loop: Header=BB6_2621 Depth=2
	v_dual_lshrrev_b32 v17, 3, v19 :: v_dual_bitop2_b32 v96, 7, v18 bitop3:0x40
	s_mov_b32 s40, exec_lo
	v_cmpx_gt_u32_e32 8, v19
; %bb.3597:                             ;   in Loop: Header=BB6_2621 Depth=2
	s_delay_alu instid0(VALU_DEP_2) | instskip(NEXT) | instid1(VALU_DEP_1)
	v_clz_i32_u32_e32 v17, v96
	v_min_u32_e32 v17, 32, v17
	s_delay_alu instid0(VALU_DEP_1) | instskip(NEXT) | instid1(VALU_DEP_1)
	v_subrev_nc_u32_e32 v18, 28, v17
	v_lshlrev_b64_e32 v[18:19], v18, v[96:97]
	s_delay_alu instid0(VALU_DEP_1)
	v_dual_sub_nc_u32 v17, 29, v17 :: v_dual_bitop2_b32 v96, 7, v18 bitop3:0x40
; %bb.3598:                             ;   in Loop: Header=BB6_2621 Depth=2
	s_or_b32 exec_lo, exec_lo, s40
	v_lshlrev_b32_e32 v18, 24, v48
	s_delay_alu instid0(VALU_DEP_2) | instskip(NEXT) | instid1(VALU_DEP_3)
	v_lshlrev_b32_e32 v19, 20, v96
	v_lshl_add_u32 v17, v17, 23, 0x3c000000
	s_delay_alu instid0(VALU_DEP_3) | instskip(NEXT) | instid1(VALU_DEP_1)
	v_and_b32_e32 v18, 0x80000000, v18
	v_or3_b32 v17, v19, v18, v17
.LBB6_3599:                             ;   in Loop: Header=BB6_2621 Depth=2
	s_or_b32 exec_lo, exec_lo, s29
.LBB6_3600:                             ;   in Loop: Header=BB6_2621 Depth=2
	s_delay_alu instid0(SALU_CYCLE_1)
	s_or_b32 exec_lo, exec_lo, s28
.LBB6_3601:                             ;   in Loop: Header=BB6_2621 Depth=2
	s_delay_alu instid0(SALU_CYCLE_1) | instskip(SKIP_3) | instid1(VALU_DEP_1)
	s_or_b32 exec_lo, exec_lo, s10
	s_wait_loadcnt_dscnt 0x404
	v_and_b32_e32 v18, 0xff, v39
	s_mov_b32 s10, exec_lo
	v_cmpx_ne_u16_e32 0, v18
	s_cbranch_execz .LBB6_3609
; %bb.3602:                             ;   in Loop: Header=BB6_2621 Depth=2
	v_bfrev_b32_e32 v16, 1
	s_mov_b32 s28, exec_lo
	v_cmpx_ne_u16_e32 0x80, v18
	s_cbranch_execz .LBB6_3608
; %bb.3603:                             ;   in Loop: Header=BB6_2621 Depth=2
	v_and_b32_e32 v19, 0x7f, v39
	v_mov_b32_e32 v16, 0x7f800001
	s_mov_b32 s29, exec_lo
	s_delay_alu instid0(VALU_DEP_2)
	v_cmpx_ne_u32_e32 0x7f, v19
	s_cbranch_execz .LBB6_3607
; %bb.3604:                             ;   in Loop: Header=BB6_2621 Depth=2
	v_dual_lshrrev_b32 v16, 3, v19 :: v_dual_bitop2_b32 v96, 7, v18 bitop3:0x40
	s_mov_b32 s40, exec_lo
	v_cmpx_gt_u32_e32 8, v19
; %bb.3605:                             ;   in Loop: Header=BB6_2621 Depth=2
	s_delay_alu instid0(VALU_DEP_2) | instskip(NEXT) | instid1(VALU_DEP_1)
	v_clz_i32_u32_e32 v16, v96
	v_min_u32_e32 v16, 32, v16
	s_delay_alu instid0(VALU_DEP_1) | instskip(NEXT) | instid1(VALU_DEP_1)
	v_subrev_nc_u32_e32 v18, 28, v16
	v_lshlrev_b64_e32 v[18:19], v18, v[96:97]
	s_delay_alu instid0(VALU_DEP_1)
	v_dual_sub_nc_u32 v16, 29, v16 :: v_dual_bitop2_b32 v96, 7, v18 bitop3:0x40
; %bb.3606:                             ;   in Loop: Header=BB6_2621 Depth=2
	s_or_b32 exec_lo, exec_lo, s40
	s_delay_alu instid0(VALU_DEP_1) | instskip(NEXT) | instid1(VALU_DEP_2)
	v_dual_lshlrev_b32 v18, 24, v39 :: v_dual_lshlrev_b32 v19, 20, v96
	v_lshl_add_u32 v16, v16, 23, 0x3c000000
	s_delay_alu instid0(VALU_DEP_2) | instskip(NEXT) | instid1(VALU_DEP_1)
	v_and_b32_e32 v18, 0x80000000, v18
	v_or3_b32 v16, v19, v18, v16
.LBB6_3607:                             ;   in Loop: Header=BB6_2621 Depth=2
	s_or_b32 exec_lo, exec_lo, s29
.LBB6_3608:                             ;   in Loop: Header=BB6_2621 Depth=2
	s_delay_alu instid0(SALU_CYCLE_1)
	s_or_b32 exec_lo, exec_lo, s28
.LBB6_3609:                             ;   in Loop: Header=BB6_2621 Depth=2
	s_delay_alu instid0(SALU_CYCLE_1) | instskip(NEXT) | instid1(VALU_DEP_1)
	s_or_b32 exec_lo, exec_lo, s10
	v_mul_f32_e32 v16, v17, v16
                                        ; implicit-def: $vgpr39
	s_mov_b32 s10, exec_lo
	s_delay_alu instid0(VALU_DEP_1) | instskip(SKIP_1) | instid1(VALU_DEP_2)
	v_and_b32_e32 v96, 0x7f800000, v16
	v_lshrrev_b32_e32 v17, 24, v16
	v_cmpx_ne_u64_e32 0x7f800000, v[96:97]
	s_xor_b32 s28, exec_lo, s10
	s_cbranch_execz .LBB6_3627
; %bb.3610:                             ;   in Loop: Header=BB6_2621 Depth=2
	v_and_b32_e32 v96, 0x7fffffff, v16
	v_and_b32_e32 v31, 0x80, v17
                                        ; implicit-def: $vgpr39
	s_mov_b32 s10, exec_lo
	s_delay_alu instid0(VALU_DEP_2)
	v_cmpx_gt_u64_e32 0x43e00001, v[96:97]
	s_xor_b32 s29, exec_lo, s10
	s_cbranch_execz .LBB6_3624
; %bb.3611:                             ;   in Loop: Header=BB6_2621 Depth=2
	v_mov_b32_e32 v39, 0
	s_mov_b32 s40, exec_lo
	v_cmpx_ne_u32_e32 0, v16
	s_cbranch_execz .LBB6_3623
; %bb.3612:                             ;   in Loop: Header=BB6_2621 Depth=2
	v_bfe_u32 v39, v16, 23, 8
	v_and_b32_e32 v18, 0x7fffff, v16
	s_delay_alu instid0(VALU_DEP_2) | instskip(NEXT) | instid1(VALU_DEP_2)
	v_cmp_gt_u32_e32 vcc_lo, 0x7a, v39
	v_or_b32_e32 v19, 0x800000, v18
	v_sub_nc_u32_e32 v17, 0x79, v39
	s_delay_alu instid0(VALU_DEP_1) | instskip(SKIP_1) | instid1(VALU_DEP_2)
	v_cndmask_b32_e32 v17, 0, v17, vcc_lo
	v_cmp_eq_u32_e32 vcc_lo, 0, v39
	v_cndmask_b32_e64 v48, v17, 0x78, vcc_lo
	s_delay_alu instid0(VALU_DEP_1) | instskip(SKIP_1) | instid1(VALU_DEP_2)
	v_dual_cndmask_b32 v96, v19, v18, vcc_lo :: v_dual_add_nc_u32 v16, 20, v48
	v_add_nc_u32_e32 v51, 19, v48
	v_lshlrev_b64_e64 v[16:17], v16, -1
	s_delay_alu instid0(VALU_DEP_2) | instskip(NEXT) | instid1(VALU_DEP_2)
	v_lshlrev_b64_e64 v[18:19], v51, 1
	v_bfi_b32 v55, v17, 0, 0
	s_delay_alu instid0(VALU_DEP_3) | instskip(SKIP_1) | instid1(VALU_DEP_2)
	v_bfi_b32 v54, v16, 0, v96
	v_lshrrev_b64 v[16:17], v48, v[96:97]
	v_cmp_eq_u64_e64 s10, v[54:55], v[18:19]
	s_delay_alu instid0(VALU_DEP_2)
	v_mov_b64_e32 v[18:19], v[16:17]
	s_and_saveexec_b32 s41, s10
; %bb.3613:                             ;   in Loop: Header=BB6_2621 Depth=2
	v_bfe_u32 v96, v16, 20, 1
	s_delay_alu instid0(VALU_DEP_1) | instskip(NEXT) | instid1(VALU_DEP_1)
	v_add_nc_u64_e32 v[18:19], v[16:17], v[96:97]
	v_add_nc_u64_e32 v[18:19], -1, v[18:19]
; %bb.3614:                             ;   in Loop: Header=BB6_2621 Depth=2
	s_or_b32 exec_lo, exec_lo, s41
	v_add_nc_u32_e32 v17, 0xffffff81, v39
	v_lshrrev_b32_e32 v19, 23, v16
	s_mov_b32 s10, exec_lo
	s_delay_alu instid0(VALU_DEP_2) | instskip(NEXT) | instid1(VALU_DEP_1)
	v_cndmask_b32_e64 v17, v17, 0xffffff82, vcc_lo
	v_add3_u32 v19, v48, v17, v19
	v_and_b32_e32 v17, 0xfffff, v18
                                        ; implicit-def: $vgpr18
	s_delay_alu instid0(VALU_DEP_1) | instskip(NEXT) | instid1(VALU_DEP_1)
	v_dual_add_nc_u32 v39, 6, v19 :: v_dual_add_nc_u32 v96, v17, v16
                                        ; implicit-def: $vgpr16_vgpr17
	v_cmpx_ne_u32_e32 0, v39
	s_xor_b32 s10, exec_lo, s10
; %bb.3615:                             ;   in Loop: Header=BB6_2621 Depth=2
	s_delay_alu instid0(VALU_DEP_2) | instskip(SKIP_1) | instid1(VALU_DEP_1)
	v_cmp_lt_u64_e32 vcc_lo, 0xffffff, v[96:97]
	v_add_nc_u32_e32 v16, 7, v19
	v_cndmask_b32_e32 v18, v39, v16, vcc_lo
	v_cndmask_b32_e64 v16, 0, 1, vcc_lo
	s_delay_alu instid0(VALU_DEP_1)
	v_lshrrev_b64 v[16:17], v16, v[96:97]
; %bb.3616:                             ;   in Loop: Header=BB6_2621 Depth=2
	s_and_not1_saveexec_b32 s10, s10
; %bb.3617:                             ;   in Loop: Header=BB6_2621 Depth=2
	v_mov_b64_e32 v[16:17], v[96:97]
	v_bfe_u32 v18, v96, 23, 1
; %bb.3618:                             ;   in Loop: Header=BB6_2621 Depth=2
	s_or_b32 exec_lo, exec_lo, s10
	s_delay_alu instid0(VALU_DEP_2) | instskip(NEXT) | instid1(VALU_DEP_2)
	v_lshrrev_b64 v[16:17], 20, v[16:17]
	v_cmp_gt_i32_e32 vcc_lo, 16, v18
	v_cmp_ne_u32_e64 s10, 0, v18
                                        ; implicit-def: $vgpr39
	s_delay_alu instid0(VALU_DEP_3) | instskip(NEXT) | instid1(VALU_DEP_1)
	v_dual_cndmask_b32 v17, 0, v17 :: v_dual_cndmask_b32 v16, 7, v16
	v_cmp_ne_u64_e32 vcc_lo, 0, v[16:17]
	s_or_b32 s10, s10, vcc_lo
	s_delay_alu instid0(SALU_CYCLE_1) | instskip(NEXT) | instid1(SALU_CYCLE_1)
	s_and_saveexec_b32 s41, s10
	s_xor_b32 s10, exec_lo, s41
; %bb.3619:                             ;   in Loop: Header=BB6_2621 Depth=2
	v_min_i32_e32 v17, 15, v18
	s_delay_alu instid0(VALU_DEP_1) | instskip(NEXT) | instid1(VALU_DEP_1)
	v_lshl_or_b32 v17, v17, 3, v31
                                        ; implicit-def: $vgpr31
	v_and_or_b32 v39, v16, 7, v17
; %bb.3620:                             ;   in Loop: Header=BB6_2621 Depth=2
	s_and_not1_saveexec_b32 s10, s10
; %bb.3621:                             ;   in Loop: Header=BB6_2621 Depth=2
	v_mov_b32_e32 v39, v31
; %bb.3622:                             ;   in Loop: Header=BB6_2621 Depth=2
	s_or_b32 exec_lo, exec_lo, s10
.LBB6_3623:                             ;   in Loop: Header=BB6_2621 Depth=2
	s_delay_alu instid0(SALU_CYCLE_1)
	s_or_b32 exec_lo, exec_lo, s40
                                        ; implicit-def: $vgpr31
.LBB6_3624:                             ;   in Loop: Header=BB6_2621 Depth=2
	s_and_not1_saveexec_b32 s10, s29
; %bb.3625:                             ;   in Loop: Header=BB6_2621 Depth=2
	v_or_b32_e32 v39, 0x7e, v31
; %bb.3626:                             ;   in Loop: Header=BB6_2621 Depth=2
	s_or_b32 exec_lo, exec_lo, s10
                                        ; implicit-def: $vgpr17
.LBB6_3627:                             ;   in Loop: Header=BB6_2621 Depth=2
	s_and_not1_saveexec_b32 s10, s28
; %bb.3628:                             ;   in Loop: Header=BB6_2621 Depth=2
	v_or_b32_e32 v39, 0x7f, v17
; %bb.3629:                             ;   in Loop: Header=BB6_2621 Depth=2
	s_or_b32 exec_lo, exec_lo, s10
	v_and_b32_e32 v18, 0xff, v37
	v_dual_mov_b32 v16, 0 :: v_dual_mov_b32 v17, 0
	s_mov_b32 s10, exec_lo
	s_delay_alu instid0(VALU_DEP_2)
	v_cmpx_ne_u16_e32 0, v18
	s_cbranch_execz .LBB6_3637
; %bb.3630:                             ;   in Loop: Header=BB6_2621 Depth=2
	v_bfrev_b32_e32 v17, 1
	s_mov_b32 s28, exec_lo
	v_cmpx_ne_u16_e32 0x80, v18
	s_cbranch_execz .LBB6_3636
; %bb.3631:                             ;   in Loop: Header=BB6_2621 Depth=2
	v_and_b32_e32 v19, 0x7f, v37
	v_mov_b32_e32 v17, 0x7f800001
	s_mov_b32 s29, exec_lo
	s_delay_alu instid0(VALU_DEP_2)
	v_cmpx_ne_u32_e32 0x7f, v19
	s_cbranch_execz .LBB6_3635
; %bb.3632:                             ;   in Loop: Header=BB6_2621 Depth=2
	v_dual_lshrrev_b32 v17, 3, v19 :: v_dual_bitop2_b32 v96, 7, v18 bitop3:0x40
	s_mov_b32 s40, exec_lo
	v_cmpx_gt_u32_e32 8, v19
; %bb.3633:                             ;   in Loop: Header=BB6_2621 Depth=2
	s_delay_alu instid0(VALU_DEP_2) | instskip(NEXT) | instid1(VALU_DEP_1)
	v_clz_i32_u32_e32 v17, v96
	v_min_u32_e32 v17, 32, v17
	s_delay_alu instid0(VALU_DEP_1) | instskip(NEXT) | instid1(VALU_DEP_1)
	v_subrev_nc_u32_e32 v18, 28, v17
	v_lshlrev_b64_e32 v[18:19], v18, v[96:97]
	s_delay_alu instid0(VALU_DEP_1)
	v_dual_sub_nc_u32 v17, 29, v17 :: v_dual_bitop2_b32 v96, 7, v18 bitop3:0x40
; %bb.3634:                             ;   in Loop: Header=BB6_2621 Depth=2
	s_or_b32 exec_lo, exec_lo, s40
	s_delay_alu instid0(VALU_DEP_1) | instskip(NEXT) | instid1(VALU_DEP_2)
	v_dual_lshlrev_b32 v18, 24, v37 :: v_dual_lshlrev_b32 v19, 20, v96
	v_lshl_add_u32 v17, v17, 23, 0x3c000000
	s_delay_alu instid0(VALU_DEP_2) | instskip(NEXT) | instid1(VALU_DEP_1)
	v_and_b32_e32 v18, 0x80000000, v18
	v_or3_b32 v17, v19, v18, v17
.LBB6_3635:                             ;   in Loop: Header=BB6_2621 Depth=2
	s_or_b32 exec_lo, exec_lo, s29
.LBB6_3636:                             ;   in Loop: Header=BB6_2621 Depth=2
	s_delay_alu instid0(SALU_CYCLE_1)
	s_or_b32 exec_lo, exec_lo, s28
.LBB6_3637:                             ;   in Loop: Header=BB6_2621 Depth=2
	s_delay_alu instid0(SALU_CYCLE_1) | instskip(SKIP_3) | instid1(VALU_DEP_1)
	s_or_b32 exec_lo, exec_lo, s10
	s_wait_loadcnt_dscnt 0x303
	v_and_b32_e32 v18, 0xff, v36
	s_mov_b32 s10, exec_lo
	v_cmpx_ne_u16_e32 0, v18
	s_cbranch_execz .LBB6_3645
; %bb.3638:                             ;   in Loop: Header=BB6_2621 Depth=2
	v_bfrev_b32_e32 v16, 1
	s_mov_b32 s28, exec_lo
	v_cmpx_ne_u16_e32 0x80, v18
	s_cbranch_execz .LBB6_3644
; %bb.3639:                             ;   in Loop: Header=BB6_2621 Depth=2
	v_and_b32_e32 v19, 0x7f, v36
	v_mov_b32_e32 v16, 0x7f800001
	s_mov_b32 s29, exec_lo
	s_delay_alu instid0(VALU_DEP_2)
	v_cmpx_ne_u32_e32 0x7f, v19
	s_cbranch_execz .LBB6_3643
; %bb.3640:                             ;   in Loop: Header=BB6_2621 Depth=2
	v_dual_lshrrev_b32 v16, 3, v19 :: v_dual_bitop2_b32 v96, 7, v18 bitop3:0x40
	s_mov_b32 s40, exec_lo
	v_cmpx_gt_u32_e32 8, v19
; %bb.3641:                             ;   in Loop: Header=BB6_2621 Depth=2
	s_delay_alu instid0(VALU_DEP_2) | instskip(NEXT) | instid1(VALU_DEP_1)
	v_clz_i32_u32_e32 v16, v96
	v_min_u32_e32 v16, 32, v16
	s_delay_alu instid0(VALU_DEP_1) | instskip(NEXT) | instid1(VALU_DEP_1)
	v_subrev_nc_u32_e32 v18, 28, v16
	v_lshlrev_b64_e32 v[18:19], v18, v[96:97]
	s_delay_alu instid0(VALU_DEP_1)
	v_dual_sub_nc_u32 v16, 29, v16 :: v_dual_bitop2_b32 v96, 7, v18 bitop3:0x40
; %bb.3642:                             ;   in Loop: Header=BB6_2621 Depth=2
	s_or_b32 exec_lo, exec_lo, s40
	v_lshlrev_b32_e32 v18, 24, v36
	s_delay_alu instid0(VALU_DEP_2) | instskip(NEXT) | instid1(VALU_DEP_3)
	v_lshlrev_b32_e32 v19, 20, v96
	v_lshl_add_u32 v16, v16, 23, 0x3c000000
	s_delay_alu instid0(VALU_DEP_3) | instskip(NEXT) | instid1(VALU_DEP_1)
	v_and_b32_e32 v18, 0x80000000, v18
	v_or3_b32 v16, v19, v18, v16
.LBB6_3643:                             ;   in Loop: Header=BB6_2621 Depth=2
	s_or_b32 exec_lo, exec_lo, s29
.LBB6_3644:                             ;   in Loop: Header=BB6_2621 Depth=2
	s_delay_alu instid0(SALU_CYCLE_1)
	s_or_b32 exec_lo, exec_lo, s28
.LBB6_3645:                             ;   in Loop: Header=BB6_2621 Depth=2
	s_delay_alu instid0(SALU_CYCLE_1) | instskip(NEXT) | instid1(VALU_DEP_1)
	s_or_b32 exec_lo, exec_lo, s10
	v_mul_f32_e32 v16, v17, v16
                                        ; implicit-def: $vgpr36
	s_mov_b32 s10, exec_lo
	s_delay_alu instid0(VALU_DEP_1) | instskip(SKIP_1) | instid1(VALU_DEP_2)
	v_and_b32_e32 v96, 0x7f800000, v16
	v_lshrrev_b32_e32 v17, 24, v16
	v_cmpx_ne_u64_e32 0x7f800000, v[96:97]
	s_xor_b32 s28, exec_lo, s10
	s_cbranch_execz .LBB6_3663
; %bb.3646:                             ;   in Loop: Header=BB6_2621 Depth=2
	v_and_b32_e32 v96, 0x7fffffff, v16
	v_and_b32_e32 v31, 0x80, v17
                                        ; implicit-def: $vgpr36
	s_mov_b32 s10, exec_lo
	s_delay_alu instid0(VALU_DEP_2)
	v_cmpx_gt_u64_e32 0x43e00001, v[96:97]
	s_xor_b32 s29, exec_lo, s10
	s_cbranch_execz .LBB6_3660
; %bb.3647:                             ;   in Loop: Header=BB6_2621 Depth=2
	v_mov_b32_e32 v36, 0
	s_mov_b32 s40, exec_lo
	v_cmpx_ne_u32_e32 0, v16
	s_cbranch_execz .LBB6_3659
; %bb.3648:                             ;   in Loop: Header=BB6_2621 Depth=2
	v_bfe_u32 v36, v16, 23, 8
	v_and_b32_e32 v18, 0x7fffff, v16
	s_delay_alu instid0(VALU_DEP_2) | instskip(NEXT) | instid1(VALU_DEP_2)
	v_cmp_gt_u32_e32 vcc_lo, 0x7a, v36
	v_or_b32_e32 v19, 0x800000, v18
	v_sub_nc_u32_e32 v17, 0x79, v36
	s_delay_alu instid0(VALU_DEP_1) | instskip(SKIP_1) | instid1(VALU_DEP_2)
	v_cndmask_b32_e32 v17, 0, v17, vcc_lo
	v_cmp_eq_u32_e32 vcc_lo, 0, v36
	v_cndmask_b32_e64 v37, v17, 0x78, vcc_lo
	s_delay_alu instid0(VALU_DEP_1) | instskip(SKIP_1) | instid1(VALU_DEP_2)
	v_dual_cndmask_b32 v96, v19, v18, vcc_lo :: v_dual_add_nc_u32 v16, 20, v37
	v_add_nc_u32_e32 v48, 19, v37
	v_lshlrev_b64_e64 v[16:17], v16, -1
	s_delay_alu instid0(VALU_DEP_2) | instskip(NEXT) | instid1(VALU_DEP_2)
	v_lshlrev_b64_e64 v[18:19], v48, 1
	v_bfi_b32 v55, v17, 0, 0
	s_delay_alu instid0(VALU_DEP_3) | instskip(SKIP_1) | instid1(VALU_DEP_2)
	v_bfi_b32 v54, v16, 0, v96
	v_lshrrev_b64 v[16:17], v37, v[96:97]
	v_cmp_eq_u64_e64 s10, v[54:55], v[18:19]
	s_delay_alu instid0(VALU_DEP_2)
	v_mov_b64_e32 v[18:19], v[16:17]
	s_and_saveexec_b32 s41, s10
; %bb.3649:                             ;   in Loop: Header=BB6_2621 Depth=2
	v_bfe_u32 v96, v16, 20, 1
	s_delay_alu instid0(VALU_DEP_1) | instskip(NEXT) | instid1(VALU_DEP_1)
	v_add_nc_u64_e32 v[18:19], v[16:17], v[96:97]
	v_add_nc_u64_e32 v[18:19], -1, v[18:19]
; %bb.3650:                             ;   in Loop: Header=BB6_2621 Depth=2
	s_or_b32 exec_lo, exec_lo, s41
	v_add_nc_u32_e32 v17, 0xffffff81, v36
	v_lshrrev_b32_e32 v19, 23, v16
	s_mov_b32 s10, exec_lo
	s_delay_alu instid0(VALU_DEP_2) | instskip(NEXT) | instid1(VALU_DEP_1)
	v_cndmask_b32_e64 v17, v17, 0xffffff82, vcc_lo
	v_add3_u32 v19, v37, v17, v19
	v_and_b32_e32 v17, 0xfffff, v18
                                        ; implicit-def: $vgpr18
	s_delay_alu instid0(VALU_DEP_1) | instskip(NEXT) | instid1(VALU_DEP_1)
	v_dual_add_nc_u32 v36, 6, v19 :: v_dual_add_nc_u32 v96, v17, v16
                                        ; implicit-def: $vgpr16_vgpr17
	v_cmpx_ne_u32_e32 0, v36
	s_xor_b32 s10, exec_lo, s10
; %bb.3651:                             ;   in Loop: Header=BB6_2621 Depth=2
	s_delay_alu instid0(VALU_DEP_2) | instskip(SKIP_1) | instid1(VALU_DEP_1)
	v_cmp_lt_u64_e32 vcc_lo, 0xffffff, v[96:97]
	v_add_nc_u32_e32 v16, 7, v19
	v_cndmask_b32_e32 v18, v36, v16, vcc_lo
	v_cndmask_b32_e64 v16, 0, 1, vcc_lo
	s_delay_alu instid0(VALU_DEP_1)
	v_lshrrev_b64 v[16:17], v16, v[96:97]
; %bb.3652:                             ;   in Loop: Header=BB6_2621 Depth=2
	s_and_not1_saveexec_b32 s10, s10
; %bb.3653:                             ;   in Loop: Header=BB6_2621 Depth=2
	v_mov_b64_e32 v[16:17], v[96:97]
	v_bfe_u32 v18, v96, 23, 1
; %bb.3654:                             ;   in Loop: Header=BB6_2621 Depth=2
	s_or_b32 exec_lo, exec_lo, s10
	s_delay_alu instid0(VALU_DEP_2) | instskip(NEXT) | instid1(VALU_DEP_2)
	v_lshrrev_b64 v[16:17], 20, v[16:17]
	v_cmp_gt_i32_e32 vcc_lo, 16, v18
	v_cmp_ne_u32_e64 s10, 0, v18
                                        ; implicit-def: $vgpr36
	s_delay_alu instid0(VALU_DEP_3) | instskip(NEXT) | instid1(VALU_DEP_1)
	v_dual_cndmask_b32 v17, 0, v17 :: v_dual_cndmask_b32 v16, 7, v16
	v_cmp_ne_u64_e32 vcc_lo, 0, v[16:17]
	s_or_b32 s10, s10, vcc_lo
	s_delay_alu instid0(SALU_CYCLE_1) | instskip(NEXT) | instid1(SALU_CYCLE_1)
	s_and_saveexec_b32 s41, s10
	s_xor_b32 s10, exec_lo, s41
; %bb.3655:                             ;   in Loop: Header=BB6_2621 Depth=2
	v_min_i32_e32 v17, 15, v18
	s_delay_alu instid0(VALU_DEP_1) | instskip(NEXT) | instid1(VALU_DEP_1)
	v_lshl_or_b32 v17, v17, 3, v31
                                        ; implicit-def: $vgpr31
	v_and_or_b32 v36, v16, 7, v17
; %bb.3656:                             ;   in Loop: Header=BB6_2621 Depth=2
	s_and_not1_saveexec_b32 s10, s10
; %bb.3657:                             ;   in Loop: Header=BB6_2621 Depth=2
	v_mov_b32_e32 v36, v31
; %bb.3658:                             ;   in Loop: Header=BB6_2621 Depth=2
	s_or_b32 exec_lo, exec_lo, s10
.LBB6_3659:                             ;   in Loop: Header=BB6_2621 Depth=2
	s_delay_alu instid0(SALU_CYCLE_1)
	s_or_b32 exec_lo, exec_lo, s40
                                        ; implicit-def: $vgpr31
.LBB6_3660:                             ;   in Loop: Header=BB6_2621 Depth=2
	s_and_not1_saveexec_b32 s10, s29
; %bb.3661:                             ;   in Loop: Header=BB6_2621 Depth=2
	v_or_b32_e32 v36, 0x7e, v31
; %bb.3662:                             ;   in Loop: Header=BB6_2621 Depth=2
	s_or_b32 exec_lo, exec_lo, s10
                                        ; implicit-def: $vgpr17
.LBB6_3663:                             ;   in Loop: Header=BB6_2621 Depth=2
	s_and_not1_saveexec_b32 s10, s28
; %bb.3664:                             ;   in Loop: Header=BB6_2621 Depth=2
	v_or_b32_e32 v36, 0x7f, v17
; %bb.3665:                             ;   in Loop: Header=BB6_2621 Depth=2
	s_or_b32 exec_lo, exec_lo, s10
	v_and_b32_e32 v18, 0xff, v34
	v_dual_mov_b32 v16, 0 :: v_dual_mov_b32 v17, 0
	s_mov_b32 s10, exec_lo
	s_delay_alu instid0(VALU_DEP_2)
	v_cmpx_ne_u16_e32 0, v18
	s_cbranch_execz .LBB6_3673
; %bb.3666:                             ;   in Loop: Header=BB6_2621 Depth=2
	v_bfrev_b32_e32 v17, 1
	s_mov_b32 s28, exec_lo
	v_cmpx_ne_u16_e32 0x80, v18
	s_cbranch_execz .LBB6_3672
; %bb.3667:                             ;   in Loop: Header=BB6_2621 Depth=2
	v_and_b32_e32 v19, 0x7f, v34
	v_mov_b32_e32 v17, 0x7f800001
	s_mov_b32 s29, exec_lo
	s_delay_alu instid0(VALU_DEP_2)
	v_cmpx_ne_u32_e32 0x7f, v19
	s_cbranch_execz .LBB6_3671
; %bb.3668:                             ;   in Loop: Header=BB6_2621 Depth=2
	v_dual_lshrrev_b32 v17, 3, v19 :: v_dual_bitop2_b32 v96, 7, v18 bitop3:0x40
	s_mov_b32 s40, exec_lo
	v_cmpx_gt_u32_e32 8, v19
; %bb.3669:                             ;   in Loop: Header=BB6_2621 Depth=2
	s_delay_alu instid0(VALU_DEP_2) | instskip(NEXT) | instid1(VALU_DEP_1)
	v_clz_i32_u32_e32 v17, v96
	v_min_u32_e32 v17, 32, v17
	s_delay_alu instid0(VALU_DEP_1) | instskip(NEXT) | instid1(VALU_DEP_1)
	v_subrev_nc_u32_e32 v18, 28, v17
	v_lshlrev_b64_e32 v[18:19], v18, v[96:97]
	s_delay_alu instid0(VALU_DEP_1)
	v_dual_sub_nc_u32 v17, 29, v17 :: v_dual_bitop2_b32 v96, 7, v18 bitop3:0x40
; %bb.3670:                             ;   in Loop: Header=BB6_2621 Depth=2
	s_or_b32 exec_lo, exec_lo, s40
	s_delay_alu instid0(VALU_DEP_1) | instskip(NEXT) | instid1(VALU_DEP_2)
	v_dual_lshlrev_b32 v18, 24, v34 :: v_dual_lshlrev_b32 v19, 20, v96
	v_lshl_add_u32 v17, v17, 23, 0x3c000000
	s_delay_alu instid0(VALU_DEP_2) | instskip(NEXT) | instid1(VALU_DEP_1)
	v_and_b32_e32 v18, 0x80000000, v18
	v_or3_b32 v17, v19, v18, v17
.LBB6_3671:                             ;   in Loop: Header=BB6_2621 Depth=2
	s_or_b32 exec_lo, exec_lo, s29
.LBB6_3672:                             ;   in Loop: Header=BB6_2621 Depth=2
	s_delay_alu instid0(SALU_CYCLE_1)
	s_or_b32 exec_lo, exec_lo, s28
.LBB6_3673:                             ;   in Loop: Header=BB6_2621 Depth=2
	s_delay_alu instid0(SALU_CYCLE_1) | instskip(SKIP_3) | instid1(VALU_DEP_1)
	s_or_b32 exec_lo, exec_lo, s10
	s_wait_loadcnt_dscnt 0x202
	v_and_b32_e32 v18, 0xff, v33
	s_mov_b32 s10, exec_lo
	v_cmpx_ne_u16_e32 0, v18
	s_cbranch_execz .LBB6_3681
; %bb.3674:                             ;   in Loop: Header=BB6_2621 Depth=2
	v_bfrev_b32_e32 v16, 1
	s_mov_b32 s28, exec_lo
	v_cmpx_ne_u16_e32 0x80, v18
	s_cbranch_execz .LBB6_3680
; %bb.3675:                             ;   in Loop: Header=BB6_2621 Depth=2
	v_and_b32_e32 v19, 0x7f, v33
	v_mov_b32_e32 v16, 0x7f800001
	s_mov_b32 s29, exec_lo
	s_delay_alu instid0(VALU_DEP_2)
	v_cmpx_ne_u32_e32 0x7f, v19
	s_cbranch_execz .LBB6_3679
; %bb.3676:                             ;   in Loop: Header=BB6_2621 Depth=2
	v_dual_lshrrev_b32 v16, 3, v19 :: v_dual_bitop2_b32 v96, 7, v18 bitop3:0x40
	s_mov_b32 s40, exec_lo
	v_cmpx_gt_u32_e32 8, v19
; %bb.3677:                             ;   in Loop: Header=BB6_2621 Depth=2
	s_delay_alu instid0(VALU_DEP_2) | instskip(NEXT) | instid1(VALU_DEP_1)
	v_clz_i32_u32_e32 v16, v96
	v_min_u32_e32 v16, 32, v16
	s_delay_alu instid0(VALU_DEP_1) | instskip(NEXT) | instid1(VALU_DEP_1)
	v_subrev_nc_u32_e32 v18, 28, v16
	v_lshlrev_b64_e32 v[18:19], v18, v[96:97]
	s_delay_alu instid0(VALU_DEP_1)
	v_dual_sub_nc_u32 v16, 29, v16 :: v_dual_bitop2_b32 v96, 7, v18 bitop3:0x40
; %bb.3678:                             ;   in Loop: Header=BB6_2621 Depth=2
	s_or_b32 exec_lo, exec_lo, s40
	s_delay_alu instid0(VALU_DEP_1) | instskip(NEXT) | instid1(VALU_DEP_2)
	v_dual_lshlrev_b32 v18, 24, v33 :: v_dual_lshlrev_b32 v19, 20, v96
	v_lshl_add_u32 v16, v16, 23, 0x3c000000
	s_delay_alu instid0(VALU_DEP_2) | instskip(NEXT) | instid1(VALU_DEP_1)
	v_and_b32_e32 v18, 0x80000000, v18
	v_or3_b32 v16, v19, v18, v16
.LBB6_3679:                             ;   in Loop: Header=BB6_2621 Depth=2
	s_or_b32 exec_lo, exec_lo, s29
.LBB6_3680:                             ;   in Loop: Header=BB6_2621 Depth=2
	s_delay_alu instid0(SALU_CYCLE_1)
	s_or_b32 exec_lo, exec_lo, s28
.LBB6_3681:                             ;   in Loop: Header=BB6_2621 Depth=2
	s_delay_alu instid0(SALU_CYCLE_1) | instskip(NEXT) | instid1(VALU_DEP_1)
	s_or_b32 exec_lo, exec_lo, s10
	v_mul_f32_e32 v16, v17, v16
                                        ; implicit-def: $vgpr33
	s_mov_b32 s10, exec_lo
	s_delay_alu instid0(VALU_DEP_1) | instskip(SKIP_1) | instid1(VALU_DEP_2)
	v_and_b32_e32 v96, 0x7f800000, v16
	v_lshrrev_b32_e32 v17, 24, v16
	v_cmpx_ne_u64_e32 0x7f800000, v[96:97]
	s_xor_b32 s28, exec_lo, s10
	s_cbranch_execz .LBB6_3699
; %bb.3682:                             ;   in Loop: Header=BB6_2621 Depth=2
	v_and_b32_e32 v96, 0x7fffffff, v16
	v_and_b32_e32 v31, 0x80, v17
                                        ; implicit-def: $vgpr33
	s_mov_b32 s10, exec_lo
	s_delay_alu instid0(VALU_DEP_2)
	v_cmpx_gt_u64_e32 0x43e00001, v[96:97]
	s_xor_b32 s29, exec_lo, s10
	s_cbranch_execz .LBB6_3696
; %bb.3683:                             ;   in Loop: Header=BB6_2621 Depth=2
	v_mov_b32_e32 v33, 0
	s_mov_b32 s40, exec_lo
	v_cmpx_ne_u32_e32 0, v16
	s_cbranch_execz .LBB6_3695
; %bb.3684:                             ;   in Loop: Header=BB6_2621 Depth=2
	v_bfe_u32 v33, v16, 23, 8
	v_and_b32_e32 v18, 0x7fffff, v16
	s_delay_alu instid0(VALU_DEP_2) | instskip(NEXT) | instid1(VALU_DEP_2)
	v_cmp_gt_u32_e32 vcc_lo, 0x7a, v33
	v_or_b32_e32 v19, 0x800000, v18
	v_sub_nc_u32_e32 v17, 0x79, v33
	s_delay_alu instid0(VALU_DEP_1) | instskip(SKIP_1) | instid1(VALU_DEP_2)
	v_cndmask_b32_e32 v17, 0, v17, vcc_lo
	v_cmp_eq_u32_e32 vcc_lo, 0, v33
	v_cndmask_b32_e64 v34, v17, 0x78, vcc_lo
	v_cndmask_b32_e32 v96, v19, v18, vcc_lo
	s_delay_alu instid0(VALU_DEP_2) | instskip(NEXT) | instid1(VALU_DEP_1)
	v_dual_add_nc_u32 v16, 20, v34 :: v_dual_add_nc_u32 v37, 19, v34
	v_lshlrev_b64_e64 v[16:17], v16, -1
	s_delay_alu instid0(VALU_DEP_2) | instskip(NEXT) | instid1(VALU_DEP_2)
	v_lshlrev_b64_e64 v[18:19], v37, 1
	v_bfi_b32 v55, v17, 0, 0
	s_delay_alu instid0(VALU_DEP_3) | instskip(SKIP_1) | instid1(VALU_DEP_2)
	v_bfi_b32 v54, v16, 0, v96
	v_lshrrev_b64 v[16:17], v34, v[96:97]
	v_cmp_eq_u64_e64 s10, v[54:55], v[18:19]
	s_delay_alu instid0(VALU_DEP_2)
	v_mov_b64_e32 v[18:19], v[16:17]
	s_and_saveexec_b32 s41, s10
; %bb.3685:                             ;   in Loop: Header=BB6_2621 Depth=2
	v_bfe_u32 v96, v16, 20, 1
	s_delay_alu instid0(VALU_DEP_1) | instskip(NEXT) | instid1(VALU_DEP_1)
	v_add_nc_u64_e32 v[18:19], v[16:17], v[96:97]
	v_add_nc_u64_e32 v[18:19], -1, v[18:19]
; %bb.3686:                             ;   in Loop: Header=BB6_2621 Depth=2
	s_or_b32 exec_lo, exec_lo, s41
	v_add_nc_u32_e32 v17, 0xffffff81, v33
	v_lshrrev_b32_e32 v19, 23, v16
	s_mov_b32 s10, exec_lo
	s_delay_alu instid0(VALU_DEP_2) | instskip(NEXT) | instid1(VALU_DEP_1)
	v_cndmask_b32_e64 v17, v17, 0xffffff82, vcc_lo
	v_add3_u32 v19, v34, v17, v19
	v_and_b32_e32 v17, 0xfffff, v18
                                        ; implicit-def: $vgpr18
	s_delay_alu instid0(VALU_DEP_1) | instskip(NEXT) | instid1(VALU_DEP_1)
	v_dual_add_nc_u32 v33, 6, v19 :: v_dual_add_nc_u32 v96, v17, v16
                                        ; implicit-def: $vgpr16_vgpr17
	v_cmpx_ne_u32_e32 0, v33
	s_xor_b32 s10, exec_lo, s10
; %bb.3687:                             ;   in Loop: Header=BB6_2621 Depth=2
	s_delay_alu instid0(VALU_DEP_2) | instskip(SKIP_1) | instid1(VALU_DEP_1)
	v_cmp_lt_u64_e32 vcc_lo, 0xffffff, v[96:97]
	v_add_nc_u32_e32 v16, 7, v19
	v_cndmask_b32_e32 v18, v33, v16, vcc_lo
	v_cndmask_b32_e64 v16, 0, 1, vcc_lo
	s_delay_alu instid0(VALU_DEP_1)
	v_lshrrev_b64 v[16:17], v16, v[96:97]
; %bb.3688:                             ;   in Loop: Header=BB6_2621 Depth=2
	s_and_not1_saveexec_b32 s10, s10
; %bb.3689:                             ;   in Loop: Header=BB6_2621 Depth=2
	v_mov_b64_e32 v[16:17], v[96:97]
	v_bfe_u32 v18, v96, 23, 1
; %bb.3690:                             ;   in Loop: Header=BB6_2621 Depth=2
	s_or_b32 exec_lo, exec_lo, s10
	s_delay_alu instid0(VALU_DEP_2) | instskip(NEXT) | instid1(VALU_DEP_2)
	v_lshrrev_b64 v[16:17], 20, v[16:17]
	v_cmp_gt_i32_e32 vcc_lo, 16, v18
	v_cmp_ne_u32_e64 s10, 0, v18
                                        ; implicit-def: $vgpr33
	s_delay_alu instid0(VALU_DEP_3) | instskip(NEXT) | instid1(VALU_DEP_1)
	v_dual_cndmask_b32 v17, 0, v17 :: v_dual_cndmask_b32 v16, 7, v16
	v_cmp_ne_u64_e32 vcc_lo, 0, v[16:17]
	s_or_b32 s10, s10, vcc_lo
	s_delay_alu instid0(SALU_CYCLE_1) | instskip(NEXT) | instid1(SALU_CYCLE_1)
	s_and_saveexec_b32 s41, s10
	s_xor_b32 s10, exec_lo, s41
; %bb.3691:                             ;   in Loop: Header=BB6_2621 Depth=2
	v_min_i32_e32 v17, 15, v18
	s_delay_alu instid0(VALU_DEP_1) | instskip(NEXT) | instid1(VALU_DEP_1)
	v_lshl_or_b32 v17, v17, 3, v31
                                        ; implicit-def: $vgpr31
	v_and_or_b32 v33, v16, 7, v17
; %bb.3692:                             ;   in Loop: Header=BB6_2621 Depth=2
	s_and_not1_saveexec_b32 s10, s10
; %bb.3693:                             ;   in Loop: Header=BB6_2621 Depth=2
	v_mov_b32_e32 v33, v31
; %bb.3694:                             ;   in Loop: Header=BB6_2621 Depth=2
	s_or_b32 exec_lo, exec_lo, s10
.LBB6_3695:                             ;   in Loop: Header=BB6_2621 Depth=2
	s_delay_alu instid0(SALU_CYCLE_1)
	s_or_b32 exec_lo, exec_lo, s40
                                        ; implicit-def: $vgpr31
.LBB6_3696:                             ;   in Loop: Header=BB6_2621 Depth=2
	s_and_not1_saveexec_b32 s10, s29
; %bb.3697:                             ;   in Loop: Header=BB6_2621 Depth=2
	v_or_b32_e32 v33, 0x7e, v31
; %bb.3698:                             ;   in Loop: Header=BB6_2621 Depth=2
	s_or_b32 exec_lo, exec_lo, s10
                                        ; implicit-def: $vgpr17
.LBB6_3699:                             ;   in Loop: Header=BB6_2621 Depth=2
	s_and_not1_saveexec_b32 s10, s28
; %bb.3700:                             ;   in Loop: Header=BB6_2621 Depth=2
	v_or_b32_e32 v33, 0x7f, v17
; %bb.3701:                             ;   in Loop: Header=BB6_2621 Depth=2
	s_or_b32 exec_lo, exec_lo, s10
	v_and_b32_e32 v18, 0xff, v29
	v_dual_mov_b32 v16, 0 :: v_dual_mov_b32 v17, 0
	s_mov_b32 s10, exec_lo
	s_delay_alu instid0(VALU_DEP_2)
	v_cmpx_ne_u16_e32 0, v18
	s_cbranch_execz .LBB6_3709
; %bb.3702:                             ;   in Loop: Header=BB6_2621 Depth=2
	v_bfrev_b32_e32 v17, 1
	s_mov_b32 s28, exec_lo
	v_cmpx_ne_u16_e32 0x80, v18
	s_cbranch_execz .LBB6_3708
; %bb.3703:                             ;   in Loop: Header=BB6_2621 Depth=2
	v_and_b32_e32 v19, 0x7f, v29
	v_mov_b32_e32 v17, 0x7f800001
	s_mov_b32 s29, exec_lo
	s_delay_alu instid0(VALU_DEP_2)
	v_cmpx_ne_u32_e32 0x7f, v19
	s_cbranch_execz .LBB6_3707
; %bb.3704:                             ;   in Loop: Header=BB6_2621 Depth=2
	v_dual_lshrrev_b32 v17, 3, v19 :: v_dual_bitop2_b32 v96, 7, v18 bitop3:0x40
	s_mov_b32 s40, exec_lo
	v_cmpx_gt_u32_e32 8, v19
; %bb.3705:                             ;   in Loop: Header=BB6_2621 Depth=2
	s_delay_alu instid0(VALU_DEP_2) | instskip(NEXT) | instid1(VALU_DEP_1)
	v_clz_i32_u32_e32 v17, v96
	v_min_u32_e32 v17, 32, v17
	s_delay_alu instid0(VALU_DEP_1) | instskip(NEXT) | instid1(VALU_DEP_1)
	v_subrev_nc_u32_e32 v18, 28, v17
	v_lshlrev_b64_e32 v[18:19], v18, v[96:97]
	s_delay_alu instid0(VALU_DEP_1)
	v_dual_sub_nc_u32 v17, 29, v17 :: v_dual_bitop2_b32 v96, 7, v18 bitop3:0x40
; %bb.3706:                             ;   in Loop: Header=BB6_2621 Depth=2
	s_or_b32 exec_lo, exec_lo, s40
	s_delay_alu instid0(VALU_DEP_1) | instskip(NEXT) | instid1(VALU_DEP_2)
	v_dual_lshlrev_b32 v18, 24, v29 :: v_dual_lshlrev_b32 v19, 20, v96
	v_lshl_add_u32 v17, v17, 23, 0x3c000000
	s_delay_alu instid0(VALU_DEP_2) | instskip(NEXT) | instid1(VALU_DEP_1)
	v_and_b32_e32 v18, 0x80000000, v18
	v_or3_b32 v17, v19, v18, v17
.LBB6_3707:                             ;   in Loop: Header=BB6_2621 Depth=2
	s_or_b32 exec_lo, exec_lo, s29
.LBB6_3708:                             ;   in Loop: Header=BB6_2621 Depth=2
	s_delay_alu instid0(SALU_CYCLE_1)
	s_or_b32 exec_lo, exec_lo, s28
.LBB6_3709:                             ;   in Loop: Header=BB6_2621 Depth=2
	s_delay_alu instid0(SALU_CYCLE_1) | instskip(SKIP_3) | instid1(VALU_DEP_1)
	s_or_b32 exec_lo, exec_lo, s10
	s_wait_loadcnt_dscnt 0x101
	v_and_b32_e32 v18, 0xff, v28
	s_mov_b32 s10, exec_lo
	v_cmpx_ne_u16_e32 0, v18
	s_cbranch_execz .LBB6_3717
; %bb.3710:                             ;   in Loop: Header=BB6_2621 Depth=2
	v_bfrev_b32_e32 v16, 1
	s_mov_b32 s28, exec_lo
	v_cmpx_ne_u16_e32 0x80, v18
	s_cbranch_execz .LBB6_3716
; %bb.3711:                             ;   in Loop: Header=BB6_2621 Depth=2
	v_and_b32_e32 v19, 0x7f, v28
	v_mov_b32_e32 v16, 0x7f800001
	s_mov_b32 s29, exec_lo
	s_delay_alu instid0(VALU_DEP_2)
	v_cmpx_ne_u32_e32 0x7f, v19
	s_cbranch_execz .LBB6_3715
; %bb.3712:                             ;   in Loop: Header=BB6_2621 Depth=2
	v_dual_lshrrev_b32 v16, 3, v19 :: v_dual_bitop2_b32 v96, 7, v18 bitop3:0x40
	s_mov_b32 s40, exec_lo
	v_cmpx_gt_u32_e32 8, v19
; %bb.3713:                             ;   in Loop: Header=BB6_2621 Depth=2
	s_delay_alu instid0(VALU_DEP_2) | instskip(NEXT) | instid1(VALU_DEP_1)
	v_clz_i32_u32_e32 v16, v96
	v_min_u32_e32 v16, 32, v16
	s_delay_alu instid0(VALU_DEP_1) | instskip(NEXT) | instid1(VALU_DEP_1)
	v_subrev_nc_u32_e32 v18, 28, v16
	v_lshlrev_b64_e32 v[18:19], v18, v[96:97]
	s_delay_alu instid0(VALU_DEP_1)
	v_dual_sub_nc_u32 v16, 29, v16 :: v_dual_bitop2_b32 v96, 7, v18 bitop3:0x40
; %bb.3714:                             ;   in Loop: Header=BB6_2621 Depth=2
	s_or_b32 exec_lo, exec_lo, s40
	v_lshlrev_b32_e32 v18, 24, v28
	s_delay_alu instid0(VALU_DEP_2) | instskip(NEXT) | instid1(VALU_DEP_3)
	v_lshlrev_b32_e32 v19, 20, v96
	v_lshl_add_u32 v16, v16, 23, 0x3c000000
	s_delay_alu instid0(VALU_DEP_3) | instskip(NEXT) | instid1(VALU_DEP_1)
	v_and_b32_e32 v18, 0x80000000, v18
	v_or3_b32 v16, v19, v18, v16
.LBB6_3715:                             ;   in Loop: Header=BB6_2621 Depth=2
	s_or_b32 exec_lo, exec_lo, s29
.LBB6_3716:                             ;   in Loop: Header=BB6_2621 Depth=2
	s_delay_alu instid0(SALU_CYCLE_1)
	s_or_b32 exec_lo, exec_lo, s28
.LBB6_3717:                             ;   in Loop: Header=BB6_2621 Depth=2
	s_delay_alu instid0(SALU_CYCLE_1) | instskip(NEXT) | instid1(VALU_DEP_1)
	s_or_b32 exec_lo, exec_lo, s10
	v_mul_f32_e32 v16, v17, v16
                                        ; implicit-def: $vgpr28
	s_mov_b32 s10, exec_lo
	s_delay_alu instid0(VALU_DEP_1) | instskip(SKIP_1) | instid1(VALU_DEP_2)
	v_and_b32_e32 v96, 0x7f800000, v16
	v_lshrrev_b32_e32 v17, 24, v16
	v_cmpx_ne_u64_e32 0x7f800000, v[96:97]
	s_xor_b32 s28, exec_lo, s10
	s_cbranch_execz .LBB6_3735
; %bb.3718:                             ;   in Loop: Header=BB6_2621 Depth=2
	v_and_b32_e32 v96, 0x7fffffff, v16
	v_and_b32_e32 v29, 0x80, v17
                                        ; implicit-def: $vgpr28
	s_mov_b32 s10, exec_lo
	s_delay_alu instid0(VALU_DEP_2)
	v_cmpx_gt_u64_e32 0x43e00001, v[96:97]
	s_xor_b32 s29, exec_lo, s10
	s_cbranch_execz .LBB6_3732
; %bb.3719:                             ;   in Loop: Header=BB6_2621 Depth=2
	v_mov_b32_e32 v28, 0
	s_mov_b32 s40, exec_lo
	v_cmpx_ne_u32_e32 0, v16
	s_cbranch_execz .LBB6_3731
; %bb.3720:                             ;   in Loop: Header=BB6_2621 Depth=2
	v_bfe_u32 v28, v16, 23, 8
	v_and_b32_e32 v18, 0x7fffff, v16
	s_delay_alu instid0(VALU_DEP_2) | instskip(NEXT) | instid1(VALU_DEP_2)
	v_cmp_gt_u32_e32 vcc_lo, 0x7a, v28
	v_or_b32_e32 v19, 0x800000, v18
	v_sub_nc_u32_e32 v17, 0x79, v28
	s_delay_alu instid0(VALU_DEP_1) | instskip(SKIP_1) | instid1(VALU_DEP_2)
	v_cndmask_b32_e32 v17, 0, v17, vcc_lo
	v_cmp_eq_u32_e32 vcc_lo, 0, v28
	v_cndmask_b32_e64 v31, v17, 0x78, vcc_lo
	s_delay_alu instid0(VALU_DEP_1) | instskip(SKIP_1) | instid1(VALU_DEP_2)
	v_dual_cndmask_b32 v96, v19, v18, vcc_lo :: v_dual_add_nc_u32 v16, 20, v31
	v_add_nc_u32_e32 v34, 19, v31
	v_lshlrev_b64_e64 v[16:17], v16, -1
	s_delay_alu instid0(VALU_DEP_2) | instskip(NEXT) | instid1(VALU_DEP_2)
	v_lshlrev_b64_e64 v[18:19], v34, 1
	v_bfi_b32 v55, v17, 0, 0
	s_delay_alu instid0(VALU_DEP_3) | instskip(SKIP_1) | instid1(VALU_DEP_2)
	v_bfi_b32 v54, v16, 0, v96
	v_lshrrev_b64 v[16:17], v31, v[96:97]
	v_cmp_eq_u64_e64 s10, v[54:55], v[18:19]
	s_delay_alu instid0(VALU_DEP_2)
	v_mov_b64_e32 v[18:19], v[16:17]
	s_and_saveexec_b32 s41, s10
; %bb.3721:                             ;   in Loop: Header=BB6_2621 Depth=2
	v_bfe_u32 v96, v16, 20, 1
	s_delay_alu instid0(VALU_DEP_1) | instskip(NEXT) | instid1(VALU_DEP_1)
	v_add_nc_u64_e32 v[18:19], v[16:17], v[96:97]
	v_add_nc_u64_e32 v[18:19], -1, v[18:19]
; %bb.3722:                             ;   in Loop: Header=BB6_2621 Depth=2
	s_or_b32 exec_lo, exec_lo, s41
	v_add_nc_u32_e32 v17, 0xffffff81, v28
	v_lshrrev_b32_e32 v19, 23, v16
	s_mov_b32 s10, exec_lo
	s_delay_alu instid0(VALU_DEP_2) | instskip(NEXT) | instid1(VALU_DEP_1)
	v_cndmask_b32_e64 v17, v17, 0xffffff82, vcc_lo
	v_add3_u32 v19, v31, v17, v19
	v_and_b32_e32 v17, 0xfffff, v18
                                        ; implicit-def: $vgpr18
	s_delay_alu instid0(VALU_DEP_1) | instskip(NEXT) | instid1(VALU_DEP_1)
	v_dual_add_nc_u32 v28, 6, v19 :: v_dual_add_nc_u32 v96, v17, v16
                                        ; implicit-def: $vgpr16_vgpr17
	v_cmpx_ne_u32_e32 0, v28
	s_xor_b32 s10, exec_lo, s10
; %bb.3723:                             ;   in Loop: Header=BB6_2621 Depth=2
	s_delay_alu instid0(VALU_DEP_2) | instskip(SKIP_1) | instid1(VALU_DEP_1)
	v_cmp_lt_u64_e32 vcc_lo, 0xffffff, v[96:97]
	v_add_nc_u32_e32 v16, 7, v19
	v_cndmask_b32_e32 v18, v28, v16, vcc_lo
	v_cndmask_b32_e64 v16, 0, 1, vcc_lo
	s_delay_alu instid0(VALU_DEP_1)
	v_lshrrev_b64 v[16:17], v16, v[96:97]
; %bb.3724:                             ;   in Loop: Header=BB6_2621 Depth=2
	s_and_not1_saveexec_b32 s10, s10
; %bb.3725:                             ;   in Loop: Header=BB6_2621 Depth=2
	v_mov_b64_e32 v[16:17], v[96:97]
	v_bfe_u32 v18, v96, 23, 1
; %bb.3726:                             ;   in Loop: Header=BB6_2621 Depth=2
	s_or_b32 exec_lo, exec_lo, s10
	s_delay_alu instid0(VALU_DEP_2) | instskip(NEXT) | instid1(VALU_DEP_2)
	v_lshrrev_b64 v[16:17], 20, v[16:17]
	v_cmp_gt_i32_e32 vcc_lo, 16, v18
	v_cmp_ne_u32_e64 s10, 0, v18
                                        ; implicit-def: $vgpr28
	s_delay_alu instid0(VALU_DEP_3) | instskip(NEXT) | instid1(VALU_DEP_1)
	v_dual_cndmask_b32 v17, 0, v17 :: v_dual_cndmask_b32 v16, 7, v16
	v_cmp_ne_u64_e32 vcc_lo, 0, v[16:17]
	s_or_b32 s10, s10, vcc_lo
	s_delay_alu instid0(SALU_CYCLE_1) | instskip(NEXT) | instid1(SALU_CYCLE_1)
	s_and_saveexec_b32 s41, s10
	s_xor_b32 s10, exec_lo, s41
; %bb.3727:                             ;   in Loop: Header=BB6_2621 Depth=2
	v_min_i32_e32 v17, 15, v18
	s_delay_alu instid0(VALU_DEP_1) | instskip(NEXT) | instid1(VALU_DEP_1)
	v_lshl_or_b32 v17, v17, 3, v29
                                        ; implicit-def: $vgpr29
	v_and_or_b32 v28, v16, 7, v17
; %bb.3728:                             ;   in Loop: Header=BB6_2621 Depth=2
	s_and_not1_saveexec_b32 s10, s10
; %bb.3729:                             ;   in Loop: Header=BB6_2621 Depth=2
	v_mov_b32_e32 v28, v29
; %bb.3730:                             ;   in Loop: Header=BB6_2621 Depth=2
	s_or_b32 exec_lo, exec_lo, s10
.LBB6_3731:                             ;   in Loop: Header=BB6_2621 Depth=2
	s_delay_alu instid0(SALU_CYCLE_1)
	s_or_b32 exec_lo, exec_lo, s40
                                        ; implicit-def: $vgpr29
.LBB6_3732:                             ;   in Loop: Header=BB6_2621 Depth=2
	s_and_not1_saveexec_b32 s10, s29
; %bb.3733:                             ;   in Loop: Header=BB6_2621 Depth=2
	v_or_b32_e32 v28, 0x7e, v29
; %bb.3734:                             ;   in Loop: Header=BB6_2621 Depth=2
	s_or_b32 exec_lo, exec_lo, s10
                                        ; implicit-def: $vgpr17
.LBB6_3735:                             ;   in Loop: Header=BB6_2621 Depth=2
	s_and_not1_saveexec_b32 s10, s28
; %bb.3736:                             ;   in Loop: Header=BB6_2621 Depth=2
	v_or_b32_e32 v28, 0x7f, v17
; %bb.3737:                             ;   in Loop: Header=BB6_2621 Depth=2
	s_or_b32 exec_lo, exec_lo, s10
	v_and_b32_e32 v18, 0xff, v26
	v_dual_mov_b32 v16, 0 :: v_dual_mov_b32 v17, 0
	s_mov_b32 s10, exec_lo
	s_delay_alu instid0(VALU_DEP_2)
	v_cmpx_ne_u16_e32 0, v18
	s_cbranch_execz .LBB6_3745
; %bb.3738:                             ;   in Loop: Header=BB6_2621 Depth=2
	v_bfrev_b32_e32 v17, 1
	s_mov_b32 s28, exec_lo
	v_cmpx_ne_u16_e32 0x80, v18
	s_cbranch_execz .LBB6_3744
; %bb.3739:                             ;   in Loop: Header=BB6_2621 Depth=2
	v_and_b32_e32 v19, 0x7f, v26
	v_mov_b32_e32 v17, 0x7f800001
	s_mov_b32 s29, exec_lo
	s_delay_alu instid0(VALU_DEP_2)
	v_cmpx_ne_u32_e32 0x7f, v19
	s_cbranch_execz .LBB6_3743
; %bb.3740:                             ;   in Loop: Header=BB6_2621 Depth=2
	v_dual_lshrrev_b32 v17, 3, v19 :: v_dual_bitop2_b32 v96, 7, v18 bitop3:0x40
	s_mov_b32 s40, exec_lo
	v_cmpx_gt_u32_e32 8, v19
; %bb.3741:                             ;   in Loop: Header=BB6_2621 Depth=2
	s_delay_alu instid0(VALU_DEP_2) | instskip(NEXT) | instid1(VALU_DEP_1)
	v_clz_i32_u32_e32 v17, v96
	v_min_u32_e32 v17, 32, v17
	s_delay_alu instid0(VALU_DEP_1) | instskip(NEXT) | instid1(VALU_DEP_1)
	v_subrev_nc_u32_e32 v18, 28, v17
	v_lshlrev_b64_e32 v[18:19], v18, v[96:97]
	s_delay_alu instid0(VALU_DEP_1)
	v_dual_sub_nc_u32 v17, 29, v17 :: v_dual_bitop2_b32 v96, 7, v18 bitop3:0x40
; %bb.3742:                             ;   in Loop: Header=BB6_2621 Depth=2
	s_or_b32 exec_lo, exec_lo, s40
	s_delay_alu instid0(VALU_DEP_1) | instskip(NEXT) | instid1(VALU_DEP_2)
	v_dual_lshlrev_b32 v18, 24, v26 :: v_dual_lshlrev_b32 v19, 20, v96
	v_lshl_add_u32 v17, v17, 23, 0x3c000000
	s_delay_alu instid0(VALU_DEP_2) | instskip(NEXT) | instid1(VALU_DEP_1)
	v_and_b32_e32 v18, 0x80000000, v18
	v_or3_b32 v17, v19, v18, v17
.LBB6_3743:                             ;   in Loop: Header=BB6_2621 Depth=2
	s_or_b32 exec_lo, exec_lo, s29
.LBB6_3744:                             ;   in Loop: Header=BB6_2621 Depth=2
	s_delay_alu instid0(SALU_CYCLE_1)
	s_or_b32 exec_lo, exec_lo, s28
.LBB6_3745:                             ;   in Loop: Header=BB6_2621 Depth=2
	s_delay_alu instid0(SALU_CYCLE_1) | instskip(SKIP_3) | instid1(VALU_DEP_1)
	s_or_b32 exec_lo, exec_lo, s10
	s_wait_loadcnt_dscnt 0x0
	v_and_b32_e32 v18, 0xff, v25
	s_mov_b32 s10, exec_lo
	v_cmpx_ne_u16_e32 0, v18
	s_cbranch_execz .LBB6_3753
; %bb.3746:                             ;   in Loop: Header=BB6_2621 Depth=2
	v_bfrev_b32_e32 v16, 1
	s_mov_b32 s28, exec_lo
	v_cmpx_ne_u16_e32 0x80, v18
	s_cbranch_execz .LBB6_3752
; %bb.3747:                             ;   in Loop: Header=BB6_2621 Depth=2
	v_and_b32_e32 v19, 0x7f, v25
	v_mov_b32_e32 v16, 0x7f800001
	s_mov_b32 s29, exec_lo
	s_delay_alu instid0(VALU_DEP_2)
	v_cmpx_ne_u32_e32 0x7f, v19
	s_cbranch_execz .LBB6_3751
; %bb.3748:                             ;   in Loop: Header=BB6_2621 Depth=2
	v_dual_lshrrev_b32 v16, 3, v19 :: v_dual_bitop2_b32 v96, 7, v18 bitop3:0x40
	s_mov_b32 s40, exec_lo
	v_cmpx_gt_u32_e32 8, v19
; %bb.3749:                             ;   in Loop: Header=BB6_2621 Depth=2
	s_delay_alu instid0(VALU_DEP_2) | instskip(NEXT) | instid1(VALU_DEP_1)
	v_clz_i32_u32_e32 v16, v96
	v_min_u32_e32 v16, 32, v16
	s_delay_alu instid0(VALU_DEP_1) | instskip(NEXT) | instid1(VALU_DEP_1)
	v_subrev_nc_u32_e32 v18, 28, v16
	v_lshlrev_b64_e32 v[18:19], v18, v[96:97]
	s_delay_alu instid0(VALU_DEP_1)
	v_dual_sub_nc_u32 v16, 29, v16 :: v_dual_bitop2_b32 v96, 7, v18 bitop3:0x40
; %bb.3750:                             ;   in Loop: Header=BB6_2621 Depth=2
	s_or_b32 exec_lo, exec_lo, s40
	s_delay_alu instid0(VALU_DEP_1) | instskip(NEXT) | instid1(VALU_DEP_2)
	v_dual_lshlrev_b32 v18, 24, v25 :: v_dual_lshlrev_b32 v19, 20, v96
	v_lshl_add_u32 v16, v16, 23, 0x3c000000
	s_delay_alu instid0(VALU_DEP_2) | instskip(NEXT) | instid1(VALU_DEP_1)
	v_and_b32_e32 v18, 0x80000000, v18
	v_or3_b32 v16, v19, v18, v16
.LBB6_3751:                             ;   in Loop: Header=BB6_2621 Depth=2
	s_or_b32 exec_lo, exec_lo, s29
.LBB6_3752:                             ;   in Loop: Header=BB6_2621 Depth=2
	s_delay_alu instid0(SALU_CYCLE_1)
	s_or_b32 exec_lo, exec_lo, s28
.LBB6_3753:                             ;   in Loop: Header=BB6_2621 Depth=2
	s_delay_alu instid0(SALU_CYCLE_1) | instskip(NEXT) | instid1(VALU_DEP_1)
	s_or_b32 exec_lo, exec_lo, s10
	v_mul_f32_e32 v16, v17, v16
                                        ; implicit-def: $vgpr17
	s_mov_b32 s10, exec_lo
	s_delay_alu instid0(VALU_DEP_1) | instskip(SKIP_1) | instid1(VALU_DEP_2)
	v_and_b32_e32 v96, 0x7f800000, v16
	v_lshrrev_b32_e32 v18, 24, v16
	v_cmpx_ne_u64_e32 0x7f800000, v[96:97]
	s_xor_b32 s28, exec_lo, s10
	s_cbranch_execz .LBB6_3771
; %bb.3754:                             ;   in Loop: Header=BB6_2621 Depth=2
	v_and_b32_e32 v96, 0x7fffffff, v16
	v_and_b32_e32 v25, 0x80, v18
                                        ; implicit-def: $vgpr17
	s_mov_b32 s10, exec_lo
	s_delay_alu instid0(VALU_DEP_2)
	v_cmpx_gt_u64_e32 0x43e00001, v[96:97]
	s_xor_b32 s29, exec_lo, s10
	s_cbranch_execz .LBB6_3768
; %bb.3755:                             ;   in Loop: Header=BB6_2621 Depth=2
	v_mov_b32_e32 v17, 0
	s_mov_b32 s40, exec_lo
	v_cmpx_ne_u32_e32 0, v16
	s_cbranch_execz .LBB6_3767
; %bb.3756:                             ;   in Loop: Header=BB6_2621 Depth=2
	v_bfe_u32 v26, v16, 23, 8
	v_and_b32_e32 v18, 0x7fffff, v16
	s_delay_alu instid0(VALU_DEP_2) | instskip(SKIP_1) | instid1(VALU_DEP_3)
	v_sub_nc_u32_e32 v17, 0x79, v26
	v_cmp_gt_u32_e32 vcc_lo, 0x7a, v26
	v_or_b32_e32 v19, 0x800000, v18
	s_delay_alu instid0(VALU_DEP_3) | instskip(SKIP_1) | instid1(VALU_DEP_3)
	v_cndmask_b32_e32 v17, 0, v17, vcc_lo
	v_cmp_eq_u32_e32 vcc_lo, 0, v26
	v_cndmask_b32_e32 v96, v19, v18, vcc_lo
	s_delay_alu instid0(VALU_DEP_3) | instskip(NEXT) | instid1(VALU_DEP_1)
	v_cndmask_b32_e64 v29, v17, 0x78, vcc_lo
	v_dual_add_nc_u32 v16, 20, v29 :: v_dual_add_nc_u32 v31, 19, v29
	s_delay_alu instid0(VALU_DEP_1) | instskip(NEXT) | instid1(VALU_DEP_2)
	v_lshlrev_b64_e64 v[16:17], v16, -1
	v_lshlrev_b64_e64 v[18:19], v31, 1
	s_delay_alu instid0(VALU_DEP_2) | instskip(NEXT) | instid1(VALU_DEP_3)
	v_bfi_b32 v55, v17, 0, 0
	v_bfi_b32 v54, v16, 0, v96
	v_lshrrev_b64 v[16:17], v29, v[96:97]
	s_delay_alu instid0(VALU_DEP_2) | instskip(NEXT) | instid1(VALU_DEP_2)
	v_cmp_eq_u64_e64 s10, v[54:55], v[18:19]
	v_mov_b64_e32 v[18:19], v[16:17]
	s_and_saveexec_b32 s41, s10
; %bb.3757:                             ;   in Loop: Header=BB6_2621 Depth=2
	v_bfe_u32 v96, v16, 20, 1
	s_delay_alu instid0(VALU_DEP_1) | instskip(NEXT) | instid1(VALU_DEP_1)
	v_add_nc_u64_e32 v[18:19], v[16:17], v[96:97]
	v_add_nc_u64_e32 v[18:19], -1, v[18:19]
; %bb.3758:                             ;   in Loop: Header=BB6_2621 Depth=2
	s_or_b32 exec_lo, exec_lo, s41
	v_add_nc_u32_e32 v17, 0xffffff81, v26
	v_lshrrev_b32_e32 v19, 23, v16
	s_mov_b32 s10, exec_lo
	s_delay_alu instid0(VALU_DEP_2) | instskip(NEXT) | instid1(VALU_DEP_1)
	v_cndmask_b32_e64 v17, v17, 0xffffff82, vcc_lo
	v_add3_u32 v19, v29, v17, v19
	v_and_b32_e32 v17, 0xfffff, v18
                                        ; implicit-def: $vgpr18
	s_delay_alu instid0(VALU_DEP_1) | instskip(NEXT) | instid1(VALU_DEP_1)
	v_dual_add_nc_u32 v26, 6, v19 :: v_dual_add_nc_u32 v96, v17, v16
                                        ; implicit-def: $vgpr16_vgpr17
	v_cmpx_ne_u32_e32 0, v26
	s_xor_b32 s10, exec_lo, s10
; %bb.3759:                             ;   in Loop: Header=BB6_2621 Depth=2
	s_delay_alu instid0(VALU_DEP_2) | instskip(SKIP_1) | instid1(VALU_DEP_1)
	v_cmp_lt_u64_e32 vcc_lo, 0xffffff, v[96:97]
	v_add_nc_u32_e32 v16, 7, v19
	v_cndmask_b32_e32 v18, v26, v16, vcc_lo
	v_cndmask_b32_e64 v16, 0, 1, vcc_lo
	s_delay_alu instid0(VALU_DEP_1)
	v_lshrrev_b64 v[16:17], v16, v[96:97]
; %bb.3760:                             ;   in Loop: Header=BB6_2621 Depth=2
	s_and_not1_saveexec_b32 s10, s10
; %bb.3761:                             ;   in Loop: Header=BB6_2621 Depth=2
	v_mov_b64_e32 v[16:17], v[96:97]
	v_bfe_u32 v18, v96, 23, 1
; %bb.3762:                             ;   in Loop: Header=BB6_2621 Depth=2
	s_or_b32 exec_lo, exec_lo, s10
	s_delay_alu instid0(VALU_DEP_2) | instskip(NEXT) | instid1(VALU_DEP_2)
	v_lshrrev_b64 v[16:17], 20, v[16:17]
	v_cmp_gt_i32_e32 vcc_lo, 16, v18
	v_cmp_ne_u32_e64 s10, 0, v18
	s_delay_alu instid0(VALU_DEP_3) | instskip(NEXT) | instid1(VALU_DEP_1)
	v_dual_cndmask_b32 v17, 0, v17 :: v_dual_cndmask_b32 v16, 7, v16
	v_cmp_ne_u64_e32 vcc_lo, 0, v[16:17]
                                        ; implicit-def: $vgpr17
	s_or_b32 s10, s10, vcc_lo
	s_delay_alu instid0(SALU_CYCLE_1) | instskip(NEXT) | instid1(SALU_CYCLE_1)
	s_and_saveexec_b32 s41, s10
	s_xor_b32 s10, exec_lo, s41
; %bb.3763:                             ;   in Loop: Header=BB6_2621 Depth=2
	v_min_i32_e32 v17, 15, v18
	s_delay_alu instid0(VALU_DEP_1) | instskip(NEXT) | instid1(VALU_DEP_1)
	v_lshl_or_b32 v17, v17, 3, v25
                                        ; implicit-def: $vgpr25
	v_and_or_b32 v17, v16, 7, v17
; %bb.3764:                             ;   in Loop: Header=BB6_2621 Depth=2
	s_and_not1_saveexec_b32 s10, s10
; %bb.3765:                             ;   in Loop: Header=BB6_2621 Depth=2
	v_mov_b32_e32 v17, v25
; %bb.3766:                             ;   in Loop: Header=BB6_2621 Depth=2
	s_or_b32 exec_lo, exec_lo, s10
.LBB6_3767:                             ;   in Loop: Header=BB6_2621 Depth=2
	s_delay_alu instid0(SALU_CYCLE_1)
	s_or_b32 exec_lo, exec_lo, s40
                                        ; implicit-def: $vgpr25
.LBB6_3768:                             ;   in Loop: Header=BB6_2621 Depth=2
	s_and_not1_saveexec_b32 s10, s29
; %bb.3769:                             ;   in Loop: Header=BB6_2621 Depth=2
	v_or_b32_e32 v17, 0x7e, v25
; %bb.3770:                             ;   in Loop: Header=BB6_2621 Depth=2
	s_or_b32 exec_lo, exec_lo, s10
                                        ; implicit-def: $vgpr18
.LBB6_3771:                             ;   in Loop: Header=BB6_2621 Depth=2
	s_and_not1_saveexec_b32 s10, s28
	s_cbranch_execz .LBB6_2620
; %bb.3772:                             ;   in Loop: Header=BB6_2621 Depth=2
	v_or_b32_e32 v17, 0x7f, v18
	s_branch .LBB6_2620
.LBB6_3773:                             ;   in Loop: Header=BB6_49 Depth=1
	s_or_b32 exec_lo, exec_lo, s27
	scratch_load_b32 v112, off, s33 offset:220 ; 4-byte Folded Reload
	v_dual_mov_b32 v113, 1 :: v_dual_mov_b32 v46, 0x90
.LBB6_3774:                             ;   in Loop: Header=BB6_49 Depth=1
	s_wait_xcnt 0x0
	s_or_b32 exec_lo, exec_lo, s12
	v_and_b32_e32 v3, 0xfffffc00, v21
	s_delay_alu instid0(VALU_DEP_1)
	v_cmp_ne_u32_e32 vcc_lo, v21, v3
	s_and_b32 exec_lo, exec_lo, vcc_lo
	s_cbranch_execz .LBB6_3814
; %bb.3775:                             ;   in Loop: Header=BB6_49 Depth=1
	v_dual_add_nc_u32 v2, v22, v24 :: v_dual_lshlrev_b32 v10, 5, v23
	s_delay_alu instid0(VALU_DEP_1) | instskip(NEXT) | instid1(VALU_DEP_1)
	v_and_b32_e32 v2, 0xffffffe0, v2
	v_sub_nc_u32_e32 v2, v22, v2
	s_delay_alu instid0(VALU_DEP_1) | instskip(SKIP_1) | instid1(VALU_DEP_1)
	v_sub_nc_u32_e32 v10, v2, v10
	v_and_b32_e32 v2, 0x3ff, v21
	v_sub_nc_u32_e32 v2, v2, v10
	s_delay_alu instid0(VALU_DEP_1)
	v_cmp_lt_i32_e32 vcc_lo, 0, v2
	s_and_b32 exec_lo, exec_lo, vcc_lo
	s_cbranch_execz .LBB6_3814
; %bb.3776:                             ;   in Loop: Header=BB6_49 Depth=1
	s_trap 2
	ds_load_b128 v[12:15], v0
	ds_load_b64 v[16:17], v0
	v_add3_u32 v18, v3, v20, v10
	s_mov_b32 s12, 0
	s_delay_alu instid0(VALU_DEP_1) | instskip(SKIP_1) | instid1(VALU_DEP_1)
	v_ashrrev_i32_e32 v19, 31, v18
	s_wait_dscnt 0x1
	v_add_nc_u64_e32 v[10:11], v[12:13], v[18:19]
	v_add_nc_u64_e32 v[12:13], v[14:15], v[18:19]
	s_wait_dscnt 0x0
	v_add_nc_u64_e32 v[14:15], v[16:17], v[18:19]
	s_branch .LBB6_3778
.LBB6_3777:                             ;   in Loop: Header=BB6_3778 Depth=2
	s_or_b32 exec_lo, exec_lo, s10
	v_sub_nc_u32_e32 v2, v2, v98
	flat_store_b8 v[14:15], v17 th:TH_STORE_NT
	v_add_nc_u64_e32 v[10:11], v[10:11], v[98:99]
	v_add_nc_u64_e32 v[12:13], v[12:13], v[98:99]
	s_wait_xcnt 0x0
	v_add_nc_u64_e32 v[14:15], v[14:15], v[98:99]
	v_cmp_gt_i32_e32 vcc_lo, 1, v2
	s_or_b32 s12, vcc_lo, s12
	s_delay_alu instid0(SALU_CYCLE_1)
	s_and_not1_b32 exec_lo, exec_lo, s12
	s_cbranch_execz .LBB6_3814
.LBB6_3778:                             ;   Parent Loop BB6_49 Depth=1
                                        ; =>  This Inner Loop Header: Depth=2
	flat_load_u8 v18, v[10:11] th:TH_LOAD_NT
	flat_load_u8 v3, v[12:13] th:TH_LOAD_NT
	v_dual_mov_b32 v16, 0 :: v_dual_mov_b32 v17, 0
	s_mov_b32 s10, exec_lo
	s_wait_loadcnt_dscnt 0x101
	s_wait_xcnt 0x0
	v_cmpx_ne_u16_e32 0, v18
	s_cbranch_execz .LBB6_3786
; %bb.3779:                             ;   in Loop: Header=BB6_3778 Depth=2
	v_bfrev_b32_e32 v17, 1
	s_mov_b32 s27, exec_lo
	v_cmpx_ne_u16_e32 0x80, v18
	s_cbranch_execz .LBB6_3785
; %bb.3780:                             ;   in Loop: Header=BB6_3778 Depth=2
	v_and_b32_e32 v20, 0xffff, v18
	v_mov_b32_e32 v17, 0x7f800001
	s_mov_b32 s28, exec_lo
	s_delay_alu instid0(VALU_DEP_2) | instskip(NEXT) | instid1(VALU_DEP_1)
	v_and_b32_e32 v19, 0x7f, v20
	v_cmpx_ne_u32_e32 0x7f, v19
	s_cbranch_execz .LBB6_3784
; %bb.3781:                             ;   in Loop: Header=BB6_3778 Depth=2
	v_dual_lshrrev_b32 v17, 3, v19 :: v_dual_bitop2_b32 v96, 7, v20 bitop3:0x40
	s_mov_b32 s29, exec_lo
	v_cmpx_gt_u32_e32 8, v19
; %bb.3782:                             ;   in Loop: Header=BB6_3778 Depth=2
	s_delay_alu instid0(VALU_DEP_2) | instskip(NEXT) | instid1(VALU_DEP_1)
	v_clz_i32_u32_e32 v17, v96
	v_min_u32_e32 v17, 32, v17
	s_delay_alu instid0(VALU_DEP_1) | instskip(NEXT) | instid1(VALU_DEP_1)
	v_subrev_nc_u32_e32 v19, 28, v17
	v_lshlrev_b64_e32 v[20:21], v19, v[96:97]
	s_delay_alu instid0(VALU_DEP_1)
	v_dual_sub_nc_u32 v17, 29, v17 :: v_dual_bitop2_b32 v96, 7, v20 bitop3:0x40
; %bb.3783:                             ;   in Loop: Header=BB6_3778 Depth=2
	s_or_b32 exec_lo, exec_lo, s29
	s_delay_alu instid0(VALU_DEP_1) | instskip(NEXT) | instid1(VALU_DEP_2)
	v_dual_lshlrev_b32 v18, 24, v18 :: v_dual_lshlrev_b32 v19, 20, v96
	v_lshl_add_u32 v17, v17, 23, 0x3c000000
	s_delay_alu instid0(VALU_DEP_2) | instskip(NEXT) | instid1(VALU_DEP_1)
	v_and_b32_e32 v18, 0x80000000, v18
	v_or3_b32 v17, v19, v18, v17
.LBB6_3784:                             ;   in Loop: Header=BB6_3778 Depth=2
	s_or_b32 exec_lo, exec_lo, s28
.LBB6_3785:                             ;   in Loop: Header=BB6_3778 Depth=2
	s_delay_alu instid0(SALU_CYCLE_1)
	s_or_b32 exec_lo, exec_lo, s27
.LBB6_3786:                             ;   in Loop: Header=BB6_3778 Depth=2
	s_delay_alu instid0(SALU_CYCLE_1) | instskip(SKIP_3) | instid1(VALU_DEP_1)
	s_or_b32 exec_lo, exec_lo, s10
	s_wait_loadcnt_dscnt 0x0
	v_and_b32_e32 v18, 0xff, v3
	s_mov_b32 s10, exec_lo
	v_cmpx_ne_u16_e32 0, v18
	s_cbranch_execz .LBB6_3794
; %bb.3787:                             ;   in Loop: Header=BB6_3778 Depth=2
	v_bfrev_b32_e32 v16, 1
	s_mov_b32 s27, exec_lo
	v_cmpx_ne_u16_e32 0x80, v18
	s_cbranch_execz .LBB6_3793
; %bb.3788:                             ;   in Loop: Header=BB6_3778 Depth=2
	v_and_b32_e32 v19, 0x7f, v3
	v_mov_b32_e32 v16, 0x7f800001
	s_mov_b32 s28, exec_lo
	s_delay_alu instid0(VALU_DEP_2)
	v_cmpx_ne_u32_e32 0x7f, v19
	s_cbranch_execz .LBB6_3792
; %bb.3789:                             ;   in Loop: Header=BB6_3778 Depth=2
	v_dual_lshrrev_b32 v16, 3, v19 :: v_dual_bitop2_b32 v96, 7, v18 bitop3:0x40
	s_mov_b32 s29, exec_lo
	v_cmpx_gt_u32_e32 8, v19
; %bb.3790:                             ;   in Loop: Header=BB6_3778 Depth=2
	s_delay_alu instid0(VALU_DEP_2) | instskip(NEXT) | instid1(VALU_DEP_1)
	v_clz_i32_u32_e32 v16, v96
	v_min_u32_e32 v16, 32, v16
	s_delay_alu instid0(VALU_DEP_1) | instskip(NEXT) | instid1(VALU_DEP_1)
	v_subrev_nc_u32_e32 v18, 28, v16
	v_lshlrev_b64_e32 v[18:19], v18, v[96:97]
	s_delay_alu instid0(VALU_DEP_1)
	v_dual_sub_nc_u32 v16, 29, v16 :: v_dual_bitop2_b32 v96, 7, v18 bitop3:0x40
; %bb.3791:                             ;   in Loop: Header=BB6_3778 Depth=2
	s_or_b32 exec_lo, exec_lo, s29
	s_delay_alu instid0(VALU_DEP_1) | instskip(NEXT) | instid1(VALU_DEP_2)
	v_dual_lshlrev_b32 v3, 24, v3 :: v_dual_lshlrev_b32 v18, 20, v96
	v_lshl_add_u32 v16, v16, 23, 0x3c000000
	s_delay_alu instid0(VALU_DEP_2) | instskip(NEXT) | instid1(VALU_DEP_1)
	v_and_b32_e32 v3, 0x80000000, v3
	v_or3_b32 v16, v18, v3, v16
.LBB6_3792:                             ;   in Loop: Header=BB6_3778 Depth=2
	s_or_b32 exec_lo, exec_lo, s28
.LBB6_3793:                             ;   in Loop: Header=BB6_3778 Depth=2
	s_delay_alu instid0(SALU_CYCLE_1)
	s_or_b32 exec_lo, exec_lo, s27
.LBB6_3794:                             ;   in Loop: Header=BB6_3778 Depth=2
	s_delay_alu instid0(SALU_CYCLE_1) | instskip(NEXT) | instid1(VALU_DEP_1)
	s_or_b32 exec_lo, exec_lo, s10
	v_mul_f32_e32 v16, v17, v16
                                        ; implicit-def: $vgpr17
	s_mov_b32 s10, exec_lo
	s_delay_alu instid0(VALU_DEP_1) | instskip(SKIP_1) | instid1(VALU_DEP_2)
	v_and_b32_e32 v96, 0x7f800000, v16
	v_lshrrev_b32_e32 v3, 24, v16
	v_cmpx_ne_u64_e32 0x7f800000, v[96:97]
	s_xor_b32 s27, exec_lo, s10
	s_cbranch_execz .LBB6_3812
; %bb.3795:                             ;   in Loop: Header=BB6_3778 Depth=2
	v_and_b32_e32 v96, 0x7fffffff, v16
	v_and_b32_e32 v3, 0x80, v3
                                        ; implicit-def: $vgpr17
	s_mov_b32 s10, exec_lo
	s_delay_alu instid0(VALU_DEP_2)
	v_cmpx_gt_u64_e32 0x43e00001, v[96:97]
	s_xor_b32 s28, exec_lo, s10
	s_cbranch_execz .LBB6_3809
; %bb.3796:                             ;   in Loop: Header=BB6_3778 Depth=2
	v_mov_b32_e32 v17, 0
	s_mov_b32 s29, exec_lo
	v_cmpx_ne_u32_e32 0, v16
	s_cbranch_execz .LBB6_3808
; %bb.3797:                             ;   in Loop: Header=BB6_3778 Depth=2
	v_bfe_u32 v20, v16, 23, 8
	v_and_b32_e32 v18, 0x7fffff, v16
	s_delay_alu instid0(VALU_DEP_2) | instskip(NEXT) | instid1(VALU_DEP_2)
	v_cmp_gt_u32_e32 vcc_lo, 0x7a, v20
	v_or_b32_e32 v19, 0x800000, v18
	v_sub_nc_u32_e32 v17, 0x79, v20
	s_delay_alu instid0(VALU_DEP_1) | instskip(SKIP_1) | instid1(VALU_DEP_2)
	v_cndmask_b32_e32 v17, 0, v17, vcc_lo
	v_cmp_eq_u32_e32 vcc_lo, 0, v20
	v_cndmask_b32_e64 v21, v17, 0x78, vcc_lo
	s_delay_alu instid0(VALU_DEP_1) | instskip(SKIP_1) | instid1(VALU_DEP_2)
	v_dual_cndmask_b32 v96, v19, v18, vcc_lo :: v_dual_add_nc_u32 v16, 20, v21
	v_add_nc_u32_e32 v22, 19, v21
	v_lshlrev_b64_e64 v[16:17], v16, -1
	s_delay_alu instid0(VALU_DEP_2) | instskip(NEXT) | instid1(VALU_DEP_2)
	v_lshlrev_b64_e64 v[18:19], v22, 1
	v_bfi_b32 v23, v17, 0, 0
	s_delay_alu instid0(VALU_DEP_3) | instskip(SKIP_1) | instid1(VALU_DEP_2)
	v_bfi_b32 v22, v16, 0, v96
	v_lshrrev_b64 v[16:17], v21, v[96:97]
	v_cmp_eq_u64_e64 s10, v[22:23], v[18:19]
	s_delay_alu instid0(VALU_DEP_2)
	v_mov_b64_e32 v[18:19], v[16:17]
	s_and_saveexec_b32 s40, s10
; %bb.3798:                             ;   in Loop: Header=BB6_3778 Depth=2
	v_bfe_u32 v96, v16, 20, 1
	s_delay_alu instid0(VALU_DEP_1) | instskip(NEXT) | instid1(VALU_DEP_1)
	v_add_nc_u64_e32 v[18:19], v[16:17], v[96:97]
	v_add_nc_u64_e32 v[18:19], -1, v[18:19]
; %bb.3799:                             ;   in Loop: Header=BB6_3778 Depth=2
	s_or_b32 exec_lo, exec_lo, s40
	v_add_nc_u32_e32 v17, 0xffffff81, v20
	v_lshrrev_b32_e32 v19, 23, v16
	s_mov_b32 s10, exec_lo
	s_delay_alu instid0(VALU_DEP_2) | instskip(NEXT) | instid1(VALU_DEP_1)
	v_cndmask_b32_e64 v17, v17, 0xffffff82, vcc_lo
	v_add3_u32 v19, v21, v17, v19
	v_and_b32_e32 v17, 0xfffff, v18
                                        ; implicit-def: $vgpr18
	s_delay_alu instid0(VALU_DEP_1) | instskip(NEXT) | instid1(VALU_DEP_1)
	v_dual_add_nc_u32 v20, 6, v19 :: v_dual_add_nc_u32 v96, v17, v16
                                        ; implicit-def: $vgpr16_vgpr17
	v_cmpx_ne_u32_e32 0, v20
	s_xor_b32 s10, exec_lo, s10
; %bb.3800:                             ;   in Loop: Header=BB6_3778 Depth=2
	s_delay_alu instid0(VALU_DEP_2) | instskip(SKIP_1) | instid1(VALU_DEP_1)
	v_cmp_lt_u64_e32 vcc_lo, 0xffffff, v[96:97]
	v_add_nc_u32_e32 v16, 7, v19
	v_cndmask_b32_e32 v18, v20, v16, vcc_lo
	v_cndmask_b32_e64 v16, 0, 1, vcc_lo
	s_delay_alu instid0(VALU_DEP_1)
	v_lshrrev_b64 v[16:17], v16, v[96:97]
; %bb.3801:                             ;   in Loop: Header=BB6_3778 Depth=2
	s_and_not1_saveexec_b32 s10, s10
; %bb.3802:                             ;   in Loop: Header=BB6_3778 Depth=2
	v_mov_b64_e32 v[16:17], v[96:97]
	v_bfe_u32 v18, v96, 23, 1
; %bb.3803:                             ;   in Loop: Header=BB6_3778 Depth=2
	s_or_b32 exec_lo, exec_lo, s10
	s_delay_alu instid0(VALU_DEP_2) | instskip(NEXT) | instid1(VALU_DEP_2)
	v_lshrrev_b64 v[16:17], 20, v[16:17]
	v_cmp_gt_i32_e32 vcc_lo, 16, v18
	v_cmp_ne_u32_e64 s10, 0, v18
	s_delay_alu instid0(VALU_DEP_3) | instskip(NEXT) | instid1(VALU_DEP_1)
	v_dual_cndmask_b32 v17, 0, v17 :: v_dual_cndmask_b32 v16, 7, v16
	v_cmp_ne_u64_e32 vcc_lo, 0, v[16:17]
                                        ; implicit-def: $vgpr17
	s_or_b32 s10, s10, vcc_lo
	s_delay_alu instid0(SALU_CYCLE_1) | instskip(NEXT) | instid1(SALU_CYCLE_1)
	s_and_saveexec_b32 s40, s10
	s_xor_b32 s10, exec_lo, s40
; %bb.3804:                             ;   in Loop: Header=BB6_3778 Depth=2
	v_min_i32_e32 v17, 15, v18
	s_delay_alu instid0(VALU_DEP_1) | instskip(NEXT) | instid1(VALU_DEP_1)
	v_lshl_or_b32 v3, v17, 3, v3
	v_and_or_b32 v17, v16, 7, v3
                                        ; implicit-def: $vgpr3
; %bb.3805:                             ;   in Loop: Header=BB6_3778 Depth=2
	s_and_not1_saveexec_b32 s10, s10
; %bb.3806:                             ;   in Loop: Header=BB6_3778 Depth=2
	v_mov_b32_e32 v17, v3
; %bb.3807:                             ;   in Loop: Header=BB6_3778 Depth=2
	s_or_b32 exec_lo, exec_lo, s10
.LBB6_3808:                             ;   in Loop: Header=BB6_3778 Depth=2
	s_delay_alu instid0(SALU_CYCLE_1)
	s_or_b32 exec_lo, exec_lo, s29
                                        ; implicit-def: $vgpr3
.LBB6_3809:                             ;   in Loop: Header=BB6_3778 Depth=2
	s_and_not1_saveexec_b32 s10, s28
; %bb.3810:                             ;   in Loop: Header=BB6_3778 Depth=2
	v_or_b32_e32 v17, 0x7e, v3
; %bb.3811:                             ;   in Loop: Header=BB6_3778 Depth=2
	s_or_b32 exec_lo, exec_lo, s10
                                        ; implicit-def: $vgpr3
.LBB6_3812:                             ;   in Loop: Header=BB6_3778 Depth=2
	s_and_not1_saveexec_b32 s10, s27
	s_cbranch_execz .LBB6_3777
; %bb.3813:                             ;   in Loop: Header=BB6_3778 Depth=2
	v_or_b32_e32 v17, 0x7f, v3
	s_branch .LBB6_3777
.LBB6_3814:                             ;   in Loop: Header=BB6_49 Depth=1
	s_or_b32 exec_lo, exec_lo, s11
	v_cmp_ne_u32_e64 s10, 0, v119
	s_and_saveexec_b32 s11, s2
	s_cbranch_execz .LBB6_3833
.LBB6_3815:                             ;   in Loop: Header=BB6_49 Depth=1
	s_and_saveexec_b32 s12, s3
	s_delay_alu instid0(SALU_CYCLE_1)
	s_xor_b32 s12, exec_lo, s12
	s_cbranch_execz .LBB6_3830
; %bb.3816:                             ;   in Loop: Header=BB6_49 Depth=1
	s_and_saveexec_b32 s27, s4
	s_cbranch_execz .LBB6_3829
; %bb.3817:                             ;   in Loop: Header=BB6_49 Depth=1
	s_mov_b32 s29, exec_lo
	s_mov_b32 s28, exec_lo
	v_mbcnt_lo_u32_b32 v2, s29, 0
	global_wb scope:SCOPE_DEV
	s_wait_storecnt 0x0
	s_wait_loadcnt_dscnt 0x0
	global_inv scope:SCOPE_DEV
	v_cmpx_eq_u32_e32 0, v2
	s_cbranch_execz .LBB6_3819
; %bb.3818:                             ;   in Loop: Header=BB6_49 Depth=1
	s_bcnt1_i32_b32 s29, s29
	s_delay_alu instid0(SALU_CYCLE_1)
	v_mov_b32_e32 v96, s29
	s_wait_loadcnt 0x0
	ds_add_u64 v0, v[96:97]
	s_trap 2
.LBB6_3819:                             ;   in Loop: Header=BB6_49 Depth=1
	s_or_b32 exec_lo, exec_lo, s28
	s_trap 2
	ds_load_b64 v[2:3], v0
	s_wait_dscnt 0x0
	v_add_nc_u64_e32 v[80:81], v[80:81], v[86:87]
	s_mov_b32 s28, exec_lo
	s_delay_alu instid0(VALU_DEP_1)
	v_cmpx_lt_u64_e64 v[2:3], v[80:81]
	s_cbranch_execz .LBB6_3828
; %bb.3820:                             ;   in Loop: Header=BB6_49 Depth=1
	s_mov_b32 s29, 0
	s_mov_b32 s42, 0
                                        ; implicit-def: $sgpr40
                                        ; implicit-def: $sgpr41
	s_branch .LBB6_3822
.LBB6_3821:                             ;   in Loop: Header=BB6_3822 Depth=2
	s_or_b32 exec_lo, exec_lo, s44
	s_delay_alu instid0(SALU_CYCLE_1) | instskip(NEXT) | instid1(SALU_CYCLE_1)
	s_and_b32 s43, exec_lo, s45
	s_or_b32 s29, s43, s29
	s_and_not1_b32 s40, s40, exec_lo
	s_and_b32 s43, s41, exec_lo
	s_delay_alu instid0(SALU_CYCLE_1)
	s_or_b32 s40, s40, s43
	s_and_not1_b32 exec_lo, exec_lo, s29
	s_cbranch_execz .LBB6_3826
.LBB6_3822:                             ;   Parent Loop BB6_49 Depth=1
                                        ; =>  This Inner Loop Header: Depth=2
	s_add_co_i32 s42, s42, 1
	s_delay_alu instid0(SALU_CYCLE_1) | instskip(SKIP_1) | instid1(SALU_CYCLE_1)
	s_cmp_lg_u32 s42, 0x2710
	s_cselect_b32 s43, -1, 0
	s_and_b32 vcc_lo, exec_lo, s43
	s_cbranch_vccz .LBB6_3824
; %bb.3823:                             ;   in Loop: Header=BB6_3822 Depth=2
	s_mov_b32 s45, -1
	s_or_b32 s41, s41, exec_lo
	s_and_saveexec_b32 s44, s43
	s_cbranch_execz .LBB6_3821
	s_branch .LBB6_3825
.LBB6_3824:                             ;   in Loop: Header=BB6_3822 Depth=2
	s_trap 2
	ds_load_b64 v[2:3], v0
	s_and_not1_b32 s43, s43, exec_lo
	s_mov_b32 s42, 0
	s_wait_loadcnt_dscnt 0x0
	flat_load_b32 v2, v[2:3] scope:SCOPE_SYS
	s_wait_loadcnt_dscnt 0x0
	global_inv scope:SCOPE_SYS
	v_cmp_eq_u32_e32 vcc_lo, 0, v2
	s_and_b32 s44, vcc_lo, exec_lo
	s_delay_alu instid0(SALU_CYCLE_1)
	s_or_b32 s43, s43, s44
	s_mov_b32 s45, -1
	s_or_b32 s41, s41, exec_lo
	s_and_saveexec_b32 s44, s43
	s_cbranch_execz .LBB6_3821
.LBB6_3825:                             ;   in Loop: Header=BB6_3822 Depth=2
	s_sleep 1
	s_trap 2
	ds_load_b64 v[2:3], v0
	s_wait_dscnt 0x0
	s_and_not1_b32 s41, s41, exec_lo
	v_cmp_ge_u64_e32 vcc_lo, v[2:3], v[80:81]
	s_or_not1_b32 s45, vcc_lo, exec_lo
	s_branch .LBB6_3821
.LBB6_3826:                             ;   in Loop: Header=BB6_49 Depth=1
	s_or_b32 exec_lo, exec_lo, s29
	s_and_saveexec_b32 s29, s40
	s_delay_alu instid0(SALU_CYCLE_1)
	s_xor_b32 s29, exec_lo, s29
	s_cbranch_execz .LBB6_3828
; %bb.3827:                             ;   in Loop: Header=BB6_49 Depth=1
	ds_store_b32 v0, v113
	s_trap 2
.LBB6_3828:                             ;   in Loop: Header=BB6_49 Depth=1
	s_or_b32 exec_lo, exec_lo, s28
	;;#ASMSTART
	s_wakeup
	;;#ASMEND
.LBB6_3829:                             ;   in Loop: Header=BB6_49 Depth=1
	s_or_b32 exec_lo, exec_lo, s27
.LBB6_3830:                             ;   in Loop: Header=BB6_49 Depth=1
	s_and_not1_saveexec_b32 s12, s12
	s_cbranch_execz .LBB6_3832
; %bb.3831:                             ;   in Loop: Header=BB6_49 Depth=1
	global_wb scope:SCOPE_DEV
	s_wait_storecnt 0x0
	s_wait_loadcnt_dscnt 0x0
	global_inv scope:SCOPE_DEV
	s_barrier_signal -1
	s_barrier_wait -1
.LBB6_3832:                             ;   in Loop: Header=BB6_49 Depth=1
	s_or_b32 exec_lo, exec_lo, s12
.LBB6_3833:                             ;   in Loop: Header=BB6_49 Depth=1
	s_delay_alu instid0(SALU_CYCLE_1) | instskip(SKIP_1) | instid1(VALU_DEP_1)
	s_or_b32 exec_lo, exec_lo, s11
	v_and_b32_e32 v2, 16, v30
	v_cmp_ne_u32_e32 vcc_lo, 0, v2
	s_and_b32 s11, vcc_lo, s10
	s_delay_alu instid0(SALU_CYCLE_1)
	s_and_saveexec_b32 s10, s11
	s_cbranch_execz .LBB6_3835
; %bb.3834:                             ;   in Loop: Header=BB6_49 Depth=1
	global_wb scope:SCOPE_SYS
	s_wait_storecnt 0x0
	s_wait_loadcnt_dscnt 0x0
	global_inv scope:SCOPE_SYS
.LBB6_3835:                             ;   in Loop: Header=BB6_49 Depth=1
	s_or_b32 exec_lo, exec_lo, s10
	v_cmp_ne_u32_e32 vcc_lo, 0, v2
	s_xor_b32 s10, s7, -1
	s_delay_alu instid0(SALU_CYCLE_1) | instskip(NEXT) | instid1(SALU_CYCLE_1)
	s_and_b32 s11, vcc_lo, s10
	s_and_saveexec_b32 s10, s11
	s_cbranch_execz .LBB6_3837
; %bb.3836:                             ;   in Loop: Header=BB6_49 Depth=1
	global_wb scope:SCOPE_SYS
	s_wait_storecnt 0x0
	s_wait_loadcnt_dscnt 0x0
	flat_store_b32 v[84:85], v113 scope:SCOPE_SYS
.LBB6_3837:                             ;   in Loop: Header=BB6_49 Depth=1
	s_wait_xcnt 0x0
	s_or_b32 exec_lo, exec_lo, s10
	v_and_b32_e32 v2, 48, v30
	s_mov_b32 s10, exec_lo
	s_delay_alu instid0(VALU_DEP_1)
	v_cmpx_ne_u32_e32 0, v2
	s_cbranch_execz .LBB6_3839
; %bb.3838:                             ;   in Loop: Header=BB6_49 Depth=1
	v_add_nc_u64_e32 v[8:9], 1, v[8:9]
	global_wb scope:SCOPE_SYS
	s_wait_storecnt 0x0
	s_wait_loadcnt_dscnt 0x0
	flat_store_b64 v[64:65], v[8:9] scope:SCOPE_SYS
.LBB6_3839:                             ;   in Loop: Header=BB6_49 Depth=1
	s_wait_xcnt 0x0
	s_or_b32 exec_lo, exec_lo, s10
	v_mov_b32_e32 v2, v40
.LBB6_3840:                             ;   in Loop: Header=BB6_49 Depth=1
	s_or_b32 exec_lo, exec_lo, s26
	s_and_saveexec_b32 s11, s25
	s_cbranch_execz .LBB6_48
; %bb.3841:                             ;   in Loop: Header=BB6_49 Depth=1
	s_delay_alu instid0(VALU_DEP_1) | instskip(SKIP_2) | instid1(VALU_DEP_2)
	v_sub_nc_u32_e32 v2, v118, v2
	v_and_b32_e32 v3, 12, v30
	s_mov_b32 s12, exec_lo
	v_min_i32_e32 v10, v40, v2
	s_delay_alu instid0(VALU_DEP_2)
	v_cmpx_ne_u32_e32 0, v3
	s_cbranch_execz .LBB6_3867
; %bb.3842:                             ;   in Loop: Header=BB6_49 Depth=1
	v_and_b32_e32 v96, 8, v30
	v_add_nc_u64_e32 v[12:13], 1, v[8:9]
	s_mov_b32 s25, exec_lo
	s_wait_loadcnt 0x0
	s_delay_alu instid0(VALU_DEP_2) | instskip(NEXT) | instid1(VALU_DEP_1)
	v_add_nc_u64_e32 v[2:3], v[70:71], v[96:97]
	v_cmpx_lt_u64_e64 v[2:3], v[12:13]
	s_cbranch_execz .LBB6_3854
; %bb.3843:                             ;   in Loop: Header=BB6_49 Depth=1
	v_and_b32_e32 v2, 64, v30
	s_mov_b32 s26, 0
	s_mov_b32 s40, 0
                                        ; implicit-def: $sgpr27
                                        ; implicit-def: $sgpr28
                                        ; implicit-def: $sgpr29
	s_delay_alu instid0(VALU_DEP_1)
	v_cmp_eq_u32_e32 vcc_lo, 0, v2
	s_branch .LBB6_3847
.LBB6_3844:                             ;   in Loop: Header=BB6_3847 Depth=2
	s_wait_loadcnt_dscnt 0x0
	v_add_nc_u64_e32 v[14:15], v[70:71], v[96:97]
	s_or_b32 s43, s43, exec_lo
	s_delay_alu instid0(VALU_DEP_1)
	v_cmp_ge_u64_e64 s10, v[14:15], v[12:13]
	s_or_not1_b32 s42, s10, exec_lo
.LBB6_3845:                             ;   in Loop: Header=BB6_3847 Depth=2
	s_or_b32 exec_lo, exec_lo, s45
	s_delay_alu instid0(SALU_CYCLE_1)
	s_and_not1_b32 s10, s29, exec_lo
	s_and_b32 s29, s43, exec_lo
	s_and_not1_b32 s28, s28, exec_lo
	s_and_b32 s42, s42, exec_lo
	s_or_b32 s29, s10, s29
	s_or_b32 s28, s28, s42
.LBB6_3846:                             ;   in Loop: Header=BB6_3847 Depth=2
	s_or_b32 exec_lo, exec_lo, s41
	s_delay_alu instid0(SALU_CYCLE_1) | instskip(NEXT) | instid1(SALU_CYCLE_1)
	s_and_b32 s10, exec_lo, s28
	s_or_b32 s26, s10, s26
	s_and_not1_b32 s10, s27, exec_lo
	s_and_b32 s27, s29, exec_lo
	s_delay_alu instid0(SALU_CYCLE_1)
	s_or_b32 s27, s10, s27
	s_and_not1_b32 exec_lo, exec_lo, s26
	s_cbranch_execz .LBB6_3851
.LBB6_3847:                             ;   Parent Loop BB6_49 Depth=1
                                        ; =>  This Inner Loop Header: Depth=2
	s_sleep 1
	s_wait_loadcnt_dscnt 0x0
	flat_load_b64 v[70:71], v[64:65] scope:SCOPE_SYS
	s_or_b32 s29, s29, exec_lo
	s_or_b32 s28, s28, exec_lo
                                        ; implicit-def: $vgpr2
	s_wait_xcnt 0x0
	s_and_saveexec_b32 s41, vcc_lo
	s_cbranch_execz .LBB6_3846
; %bb.3848:                             ;   in Loop: Header=BB6_3847 Depth=2
	s_cmp_lt_i32 s40, 0x270f
	s_mov_b32 s42, -1
	s_cselect_b32 s44, -1, 0
	s_cmp_gt_i32 s40, 0x270e
	s_cbranch_scc0 .LBB6_3850
; %bb.3849:                             ;   in Loop: Header=BB6_3847 Depth=2
	s_trap 2
	ds_load_b64 v[2:3], v0
	s_and_not1_b32 s40, s44, exec_lo
	s_mov_b32 s43, 0
	s_wait_storecnt 0x0
	s_wait_loadcnt_dscnt 0x0
	flat_load_b32 v2, v[2:3] scope:SCOPE_SYS
	s_wait_loadcnt_dscnt 0x0
	global_inv scope:SCOPE_SYS
	v_cmp_eq_u32_e64 s10, 0, v2
	s_and_b32 s10, s10, exec_lo
	s_delay_alu instid0(SALU_CYCLE_1)
	s_or_b32 s44, s40, s10
	s_mov_b32 s40, 0
	s_and_saveexec_b32 s45, s44
	s_cbranch_execz .LBB6_3845
	s_branch .LBB6_3844
.LBB6_3850:                             ;   in Loop: Header=BB6_3847 Depth=2
	s_add_co_i32 s40, s40, 1
	s_mov_b32 s43, -1
                                        ; implicit-def: $vgpr2
	s_and_saveexec_b32 s45, s44
	s_cbranch_execz .LBB6_3845
	s_branch .LBB6_3844
.LBB6_3851:                             ;   in Loop: Header=BB6_49 Depth=1
	s_or_b32 exec_lo, exec_lo, s26
	s_xor_b32 s10, s27, -1
	s_delay_alu instid0(SALU_CYCLE_1) | instskip(NEXT) | instid1(SALU_CYCLE_1)
	s_and_saveexec_b32 s26, s10
	s_xor_b32 s10, exec_lo, s26
	s_cbranch_execz .LBB6_3853
; %bb.3852:                             ;   in Loop: Header=BB6_49 Depth=1
	v_or_b32_e32 v30, 64, v30
	s_wait_storecnt 0x0
	s_wait_loadcnt_dscnt 0x0
	ds_store_b32 v0, v2
	s_trap 2
.LBB6_3853:                             ;   in Loop: Header=BB6_49 Depth=1
	s_or_b32 exec_lo, exec_lo, s10
.LBB6_3854:                             ;   in Loop: Header=BB6_49 Depth=1
	s_delay_alu instid0(SALU_CYCLE_1) | instskip(SKIP_4) | instid1(VALU_DEP_2)
	s_or_b32 exec_lo, exec_lo, s25
	v_and_b32_e32 v2, 0x108, v30
	v_and_b32_e32 v8, 7, v8
	s_mov_b32 s10, exec_lo
	;;#ASMSTART
	s_wakeup
	;;#ASMEND
	v_cmpx_ne_u32_e32 0x108, v2
	s_xor_b32 s10, exec_lo, s10
; %bb.3855:                             ;   in Loop: Header=BB6_49 Depth=1
	v_mov_b32_e32 v9, v97
; %bb.3856:                             ;   in Loop: Header=BB6_49 Depth=1
	s_and_not1_saveexec_b32 s10, s10
	s_cbranch_execz .LBB6_3858
; %bb.3857:                             ;   in Loop: Header=BB6_49 Depth=1
	v_mad_nc_u64_u32 v[2:3], v8, 24, v[6:7]
	v_dual_ashrrev_i32 v11, 31, v10 :: v_dual_mov_b32 v9, v97
	flat_store_b64 v[2:3], v[10:11] offset:8
.LBB6_3858:                             ;   in Loop: Header=BB6_49 Depth=1
	s_wait_xcnt 0x0
	s_or_b32 exec_lo, exec_lo, s10
	v_and_b32_e32 v2, 0x100, v30
	s_mov_b32 s10, -1
	s_mov_b32 s25, exec_lo
                                        ; implicit-def: $vgpr14_vgpr15
	s_delay_alu instid0(VALU_DEP_1)
	v_cmpx_ne_u32_e32 0, v2
	s_cbranch_execz .LBB6_3862
; %bb.3859:                             ;   in Loop: Header=BB6_49 Depth=1
	v_mad_nc_u64_u32 v[16:17], v8, 24, v[6:7]
	s_mov_b32 s26, exec_lo
                                        ; implicit-def: $vgpr14_vgpr15
	s_delay_alu instid0(VALU_DEP_1)
	v_mad_u32 v17, v9, 24, v17
	flat_load_b32 v2, v[16:17]
	s_wait_loadcnt_dscnt 0x0
	v_cmp_ne_u32_e32 vcc_lo, 1, v2
	s_wait_xcnt 0x0
	v_cmpx_eq_u32_e32 1, v2
	s_cbranch_execz .LBB6_3861
; %bb.3860:                             ;   in Loop: Header=BB6_49 Depth=1
	flat_load_b32 v14, v[16:17] offset:4 scope:SCOPE_SYS
	s_wait_loadcnt_dscnt 0x0
	v_ashrrev_i32_e32 v15, 31, v14
.LBB6_3861:                             ;   in Loop: Header=BB6_49 Depth=1
	s_wait_xcnt 0x0
	s_or_b32 exec_lo, exec_lo, s26
	s_delay_alu instid0(SALU_CYCLE_1)
	s_or_not1_b32 s10, vcc_lo, exec_lo
.LBB6_3862:                             ;   in Loop: Header=BB6_49 Depth=1
	s_or_b32 exec_lo, exec_lo, s25
	s_and_saveexec_b32 s25, s10
	s_cbranch_execz .LBB6_3864
; %bb.3863:                             ;   in Loop: Header=BB6_49 Depth=1
	scratch_load_b64 v[2:3], off, s33 offset:188 ; 8-byte Folded Reload
	s_wait_loadcnt 0x0
	v_mul_u64_e32 v[14:15], v[8:9], v[2:3]
.LBB6_3864:                             ;   in Loop: Header=BB6_49 Depth=1
	s_wait_xcnt 0x0
	s_or_b32 exec_lo, exec_lo, s25
	v_cmp_eq_u32_e32 vcc_lo, 0, v96
	s_delay_alu instid0(VALU_DEP_2) | instskip(SKIP_3) | instid1(VALU_DEP_1)
	v_add_nc_u64_e32 v[2:3], v[68:69], v[14:15]
	v_and_b32_e32 v9, 0x2000, v30
	s_mov_b32 s10, exec_lo
	v_cndmask_b32_e32 v8, 0xc8, v46, vcc_lo
	v_add_nc_u32_e32 v8, v0, v8
	ds_store_b64 v8, v[2:3] offset:584
	v_cmpx_ne_u32_e32 0, v9
	s_cbranch_execz .LBB6_3866
; %bb.3865:                             ;   in Loop: Header=BB6_49 Depth=1
	ds_load_b64 v[2:3], v0 offset:872
	s_wait_dscnt 0x0
	v_add_nc_u64_e32 v[2:3], 1, v[2:3]
	ds_store_b64 v0, v[2:3] offset:872
.LBB6_3866:                             ;   in Loop: Header=BB6_49 Depth=1
	s_or_b32 exec_lo, exec_lo, s10
	v_mov_b64_e32 v[8:9], v[12:13]
.LBB6_3867:                             ;   in Loop: Header=BB6_49 Depth=1
	s_or_b32 exec_lo, exec_lo, s12
	s_and_saveexec_b32 s10, s2
	s_cbranch_execz .LBB6_3886
; %bb.3868:                             ;   in Loop: Header=BB6_49 Depth=1
	s_and_saveexec_b32 s12, s3
	s_delay_alu instid0(SALU_CYCLE_1)
	s_xor_b32 s12, exec_lo, s12
	s_cbranch_execz .LBB6_3883
; %bb.3869:                             ;   in Loop: Header=BB6_49 Depth=1
	s_and_saveexec_b32 s25, s4
	s_cbranch_execz .LBB6_3882
; %bb.3870:                             ;   in Loop: Header=BB6_49 Depth=1
	s_mov_b32 s27, exec_lo
	s_mov_b32 s26, exec_lo
	v_mbcnt_lo_u32_b32 v2, s27, 0
	global_wb scope:SCOPE_DEV
	s_wait_storecnt 0x0
	s_wait_loadcnt_dscnt 0x0
	global_inv scope:SCOPE_DEV
	v_cmpx_eq_u32_e32 0, v2
	s_cbranch_execz .LBB6_3872
; %bb.3871:                             ;   in Loop: Header=BB6_49 Depth=1
	s_bcnt1_i32_b32 s27, s27
	s_delay_alu instid0(SALU_CYCLE_1)
	v_mov_b32_e32 v96, s27
	s_wait_loadcnt 0x0
	ds_add_u64 v0, v[96:97]
	s_trap 2
.LBB6_3872:                             ;   in Loop: Header=BB6_49 Depth=1
	s_or_b32 exec_lo, exec_lo, s26
	s_trap 2
	ds_load_b64 v[2:3], v0
	s_wait_dscnt 0x0
	v_add_nc_u64_e32 v[80:81], v[80:81], v[86:87]
	s_mov_b32 s26, exec_lo
	s_delay_alu instid0(VALU_DEP_1)
	v_cmpx_lt_u64_e64 v[2:3], v[80:81]
	s_cbranch_execz .LBB6_3881
; %bb.3873:                             ;   in Loop: Header=BB6_49 Depth=1
	s_mov_b32 s27, 0
	s_mov_b32 s40, 0
                                        ; implicit-def: $sgpr28
                                        ; implicit-def: $sgpr29
	s_branch .LBB6_3875
.LBB6_3874:                             ;   in Loop: Header=BB6_3875 Depth=2
	s_or_b32 exec_lo, exec_lo, s42
	s_delay_alu instid0(SALU_CYCLE_1) | instskip(NEXT) | instid1(SALU_CYCLE_1)
	s_and_b32 s41, exec_lo, s43
	s_or_b32 s27, s41, s27
	s_and_not1_b32 s28, s28, exec_lo
	s_and_b32 s41, s29, exec_lo
	s_delay_alu instid0(SALU_CYCLE_1)
	s_or_b32 s28, s28, s41
	s_and_not1_b32 exec_lo, exec_lo, s27
	s_cbranch_execz .LBB6_3879
.LBB6_3875:                             ;   Parent Loop BB6_49 Depth=1
                                        ; =>  This Inner Loop Header: Depth=2
	s_add_co_i32 s40, s40, 1
	s_delay_alu instid0(SALU_CYCLE_1) | instskip(SKIP_1) | instid1(SALU_CYCLE_1)
	s_cmp_lg_u32 s40, 0x2710
	s_cselect_b32 s41, -1, 0
	s_and_b32 vcc_lo, exec_lo, s41
	s_cbranch_vccz .LBB6_3877
; %bb.3876:                             ;   in Loop: Header=BB6_3875 Depth=2
	s_mov_b32 s43, -1
	s_or_b32 s29, s29, exec_lo
	s_and_saveexec_b32 s42, s41
	s_cbranch_execz .LBB6_3874
	s_branch .LBB6_3878
.LBB6_3877:                             ;   in Loop: Header=BB6_3875 Depth=2
	s_trap 2
	ds_load_b64 v[2:3], v0
	s_and_not1_b32 s41, s41, exec_lo
	s_mov_b32 s40, 0
	s_wait_loadcnt_dscnt 0x0
	flat_load_b32 v2, v[2:3] scope:SCOPE_SYS
	s_wait_loadcnt_dscnt 0x0
	global_inv scope:SCOPE_SYS
	v_cmp_eq_u32_e32 vcc_lo, 0, v2
	s_and_b32 s42, vcc_lo, exec_lo
	s_delay_alu instid0(SALU_CYCLE_1)
	s_or_b32 s41, s41, s42
	s_mov_b32 s43, -1
	s_or_b32 s29, s29, exec_lo
	s_and_saveexec_b32 s42, s41
	s_cbranch_execz .LBB6_3874
.LBB6_3878:                             ;   in Loop: Header=BB6_3875 Depth=2
	s_sleep 1
	s_trap 2
	ds_load_b64 v[2:3], v0
	s_wait_dscnt 0x0
	s_and_not1_b32 s29, s29, exec_lo
	v_cmp_ge_u64_e32 vcc_lo, v[2:3], v[80:81]
	s_or_not1_b32 s43, vcc_lo, exec_lo
	s_branch .LBB6_3874
.LBB6_3879:                             ;   in Loop: Header=BB6_49 Depth=1
	s_or_b32 exec_lo, exec_lo, s27
	s_and_saveexec_b32 s27, s28
	s_delay_alu instid0(SALU_CYCLE_1)
	s_xor_b32 s27, exec_lo, s27
	s_cbranch_execz .LBB6_3881
; %bb.3880:                             ;   in Loop: Header=BB6_49 Depth=1
	ds_store_b32 v0, v113
	s_trap 2
.LBB6_3881:                             ;   in Loop: Header=BB6_49 Depth=1
	s_or_b32 exec_lo, exec_lo, s26
	;;#ASMSTART
	s_wakeup
	;;#ASMEND
.LBB6_3882:                             ;   in Loop: Header=BB6_49 Depth=1
	s_or_b32 exec_lo, exec_lo, s25
.LBB6_3883:                             ;   in Loop: Header=BB6_49 Depth=1
	s_and_not1_saveexec_b32 s12, s12
	s_cbranch_execz .LBB6_3885
; %bb.3884:                             ;   in Loop: Header=BB6_49 Depth=1
	global_wb scope:SCOPE_DEV
	s_wait_storecnt 0x0
	s_wait_loadcnt_dscnt 0x0
	global_inv scope:SCOPE_DEV
	s_barrier_signal -1
	s_barrier_wait -1
.LBB6_3885:                             ;   in Loop: Header=BB6_49 Depth=1
	s_or_b32 exec_lo, exec_lo, s12
.LBB6_3886:                             ;   in Loop: Header=BB6_49 Depth=1
	s_delay_alu instid0(SALU_CYCLE_1)
	s_or_b32 exec_lo, exec_lo, s10
	s_trap 2
	ds_load_b32 v2, v0
	v_cmp_lt_i32_e32 vcc_lo, 0, v10
	s_wait_dscnt 0x0
	v_readfirstlane_b32 s10, v2
	v_and_b32_e32 v2, 16, v30
	s_cmp_eq_u32 s10, 0
	s_delay_alu instid0(VALU_DEP_1) | instskip(SKIP_1) | instid1(SALU_CYCLE_1)
	v_cmp_ne_u32_e64 s10, 0, v2
	s_cselect_b32 s12, -1, 0
	s_and_b32 s12, vcc_lo, s12
	s_delay_alu instid0(SALU_CYCLE_1) | instskip(NEXT) | instid1(SALU_CYCLE_1)
	s_and_b32 s12, s10, s12
	s_and_saveexec_b32 s10, s12
	s_cbranch_execz .LBB6_3888
; %bb.3887:                             ;   in Loop: Header=BB6_49 Depth=1
	global_wb scope:SCOPE_SYS
	s_wait_loadcnt 0x0
	s_wait_storecnt 0x0
	global_inv scope:SCOPE_SYS
.LBB6_3888:                             ;   in Loop: Header=BB6_49 Depth=1
	s_or_b32 exec_lo, exec_lo, s10
	v_cmp_ne_u32_e32 vcc_lo, 0, v2
	s_xor_b32 s10, s7, -1
	s_delay_alu instid0(SALU_CYCLE_1) | instskip(NEXT) | instid1(SALU_CYCLE_1)
	s_and_b32 s12, vcc_lo, s10
	s_and_saveexec_b32 s10, s12
	s_cbranch_execz .LBB6_3890
; %bb.3889:                             ;   in Loop: Header=BB6_49 Depth=1
	global_wb scope:SCOPE_SYS
	s_wait_loadcnt 0x0
	s_wait_storecnt 0x0
	flat_store_b32 v[84:85], v113 scope:SCOPE_SYS
.LBB6_3890:                             ;   in Loop: Header=BB6_49 Depth=1
	s_wait_xcnt 0x0
	s_or_b32 exec_lo, exec_lo, s10
	v_and_b32_e32 v2, 48, v30
	s_mov_b32 s10, exec_lo
	s_delay_alu instid0(VALU_DEP_1)
	v_cmpx_ne_u32_e32 0, v2
	s_cbranch_execz .LBB6_47
; %bb.3891:                             ;   in Loop: Header=BB6_49 Depth=1
	v_add_nc_u64_e32 v[8:9], 1, v[8:9]
	global_wb scope:SCOPE_SYS
	s_wait_storecnt 0x0
	s_wait_loadcnt_dscnt 0x0
	flat_store_b64 v[64:65], v[8:9] scope:SCOPE_SYS
	s_branch .LBB6_47
.LBB6_3892:
	s_or_b32 exec_lo, exec_lo, s22
	s_clause 0x2
	scratch_load_b32 v66, off, s33 offset:196
	scratch_load_b64 v[86:87], off, s33 offset:208
	scratch_load_b32 v10, off, s33 offset:216
.LBB6_3893:
	s_wait_xcnt 0x0
	s_or_b32 exec_lo, exec_lo, s21
                                        ; implicit-def: $vgpr0
                                        ; implicit-def: $vgpr52_vgpr53
                                        ; implicit-def: $vgpr4_vgpr5
	scratch_store_b64 off, v[0:1], s33 offset:188 ; 8-byte Folded Spill
                                        ; implicit-def: $vgpr70_vgpr71
                                        ; implicit-def: $vgpr68_vgpr69
                                        ; implicit-def: $vgpr64_vgpr65
                                        ; implicit-def: $vgpr0
                                        ; implicit-def: $vgpr15
                                        ; implicit-def: $vgpr82_vgpr83
.LBB6_3894:
	s_wait_xcnt 0x0
	s_and_not1_saveexec_b32 s16, s13
	s_cbranch_execz .LBB6_7732
; %bb.3895:
	v_mov_b64_e32 v[80:81], 0
	s_mov_b32 s17, exec_lo
	v_cmpx_ne_u64_e32 0, v[4:5]
	s_cbranch_execz .LBB6_7731
; %bb.3896:
	scratch_load_b64 v[12:13], off, s33 offset:188 ; 8-byte Folded Reload
	s_wait_loadcnt 0x3
	v_dual_ashrrev_i32 v2, 31, v0 :: v_dual_bitop2_b32 v3, 31, v66 bitop3:0x40
	s_wait_loadcnt 0x1
	v_cmp_ne_u32_e64 s3, v1, v10
	s_ashr_i32 s4, s19, 31
	v_cmp_eq_u32_e32 vcc_lo, 32, v1
	s_lshr_b32 s4, s4, 24
	v_mov_b64_e32 v[114:115], 0
	s_add_co_i32 s7, s19, s4
	v_cmp_eq_u32_e64 s4, 0, v3
	v_mov_b64_e32 v[80:81], 0
	v_cmp_ge_i32_e64 s1, v0, v1
	v_cmp_ne_u32_e64 s2, 32, v1
	v_and_b32_e32 v96, 0x1fe0, v1
	v_bfrev_b32_e32 v63, 1
	s_mov_b64 s[12:13], 0xffffffffffffff
	s_mov_b64 s[14:15], 0x100000000000000
	s_ashr_i32 s22, s7, 8
	s_mov_b32 s21, 0
	s_xor_b32 s23, vcc_lo, -1
	v_lshrrev_b32_e32 v2, 27, v2
	s_clause 0x1
	scratch_store_b32 off, v10, s33 offset:216
	scratch_store_b32 off, v66, s33 offset:196
	v_dual_lshrrev_b32 v84, 5, v1 :: v_dual_add_nc_u32 v2, v0, v2
	s_delay_alu instid0(VALU_DEP_1) | instskip(SKIP_1) | instid1(VALU_DEP_2)
	v_dual_lshlrev_b32 v98, 11, v84 :: v_dual_lshlrev_b32 v100, 9, v84
	s_wait_xcnt 0x1
	v_and_b32_e32 v10, 0xffffffe0, v2
	v_dual_ashrrev_i32 v60, 5, v2 :: v_dual_lshlrev_b32 v112, 10, v84
	s_delay_alu instid0(VALU_DEP_2) | instskip(NEXT) | instid1(VALU_DEP_1)
	v_sub_nc_u32_e32 v3, v0, v10
	v_cmp_le_i32_e64 s5, v3, v15
	scratch_store_b32 off, v3, s33 offset:220 ; 4-byte Folded Spill
	v_cmp_gt_i32_e64 s6, 1, v3
	s_wait_loadcnt 0x0
	v_ashrrev_i32_e32 v13, 31, v12
	s_clause 0x1
	scratch_store_b64 off, v[12:13], s33 offset:188
	scratch_store_b64 off, v[86:87], s33 offset:208
	s_wait_xcnt 0x0
	v_dual_mov_b32 v87, 0 :: v_dual_lshlrev_b32 v2, 11, v60
	s_delay_alu instid0(VALU_DEP_1) | instskip(NEXT) | instid1(VALU_DEP_2)
	v_dual_mov_b32 v99, v87 :: v_dual_mov_b32 v85, v87
	v_lshl_add_u32 v2, v3, 4, v2
	v_dual_mov_b32 v101, v87 :: v_dual_mov_b32 v113, v87
	s_delay_alu instid0(VALU_DEP_2)
	v_dual_mov_b32 v97, v87 :: v_dual_ashrrev_i32 v3, 31, v2
	scratch_store_b64 off, v[2:3], s33 offset:224 ; 8-byte Folded Spill
	s_trap 2
	s_branch .LBB6_3899
.LBB6_3897:                             ;   in Loop: Header=BB6_3899 Depth=1
	s_wait_xcnt 0x0
	s_or_b32 exec_lo, exec_lo, s7
.LBB6_3898:                             ;   in Loop: Header=BB6_3899 Depth=1
	s_delay_alu instid0(SALU_CYCLE_1) | instskip(SKIP_1) | instid1(VALU_DEP_1)
	s_or_b32 exec_lo, exec_lo, s10
	v_add_nc_u64_e32 v[114:115], v[114:115], v[82:83]
	v_cmp_ge_u64_e32 vcc_lo, v[114:115], v[4:5]
	s_or_b32 s21, vcc_lo, s21
	s_delay_alu instid0(SALU_CYCLE_1)
	s_and_not1_b32 exec_lo, exec_lo, s21
	s_cbranch_execz .LBB6_7730
.LBB6_3899:                             ; =>This Loop Header: Depth=1
                                        ;     Child Loop BB6_3908 Depth 2
                                        ;     Child Loop BB6_3932 Depth 2
	;; [unrolled: 1-line block ×10, first 2 shown]
	s_wait_xcnt 0x0
	v_sub_nc_u64_e32 v[2:3], v[4:5], v[114:115]
	s_delay_alu instid0(VALU_DEP_1) | instskip(NEXT) | instid1(VALU_DEP_1)
	v_min_u64 v[116:117], v[82:83], v[2:3]
	v_add_nc_u32_e32 v2, 15, v116
	s_delay_alu instid0(VALU_DEP_2) | instskip(NEXT) | instid1(VALU_DEP_2)
	v_cmp_eq_u64_e32 vcc_lo, 0, v[116:117]
	v_and_b32_e32 v2, 0x7ffffff0, v2
	s_or_b32 s24, s1, vcc_lo
	s_delay_alu instid0(SALU_CYCLE_1) | instskip(NEXT) | instid1(VALU_DEP_1)
	s_xor_b32 s7, s24, -1
	v_dual_mov_b32 v2, v87 :: v_dual_max_i32 v117, s22, v2
	s_and_saveexec_b32 s25, s7
	s_cbranch_execz .LBB6_7684
; %bb.3900:                             ;   in Loop: Header=BB6_3899 Depth=1
	s_and_saveexec_b32 s7, s0
	s_cbranch_execz .LBB6_3902
; %bb.3901:                             ;   in Loop: Header=BB6_3899 Depth=1
	s_trap 2
	ds_load_b64 v[2:3], v0
	ds_load_2addr_b64 v[10:13], v0 offset1:1
	v_add_nc_u64_e32 v[14:15], v[114:115], v[52:53]
	s_wait_dscnt 0x1
	s_delay_alu instid0(VALU_DEP_1) | instskip(SKIP_4) | instid1(VALU_DEP_4)
	v_add_nc_u64_e32 v[16:17], v[2:3], v[14:15]
	v_cmp_ne_u64_e32 vcc_lo, 0, v[2:3]
	s_wait_dscnt 0x0
	v_add_nc_u64_e32 v[2:3], v[10:11], v[14:15]
	v_add_nc_u64_e32 v[10:11], v[12:13], v[14:15]
	v_dual_cndmask_b32 v13, 0, v17 :: v_dual_cndmask_b32 v12, 0, v16
	ds_store_b64 v0, v[2:3]
	ds_store_b64 v0, v[10:11]
	;; [unrolled: 1-line block ×3, first 2 shown]
.LBB6_3902:                             ;   in Loop: Header=BB6_3899 Depth=1
	s_or_b32 exec_lo, exec_lo, s7
	v_and_b32_e32 v2, 4, v30
	s_mov_b32 s10, exec_lo
	s_delay_alu instid0(VALU_DEP_1)
	v_cmpx_ne_u32_e32 0, v2
	s_cbranch_execz .LBB6_3924
; %bb.3903:                             ;   in Loop: Header=BB6_3899 Depth=1
	v_add_nc_u64_e32 v[10:11], 1, v[8:9]
	s_mov_b32 s11, exec_lo
	s_wait_loadcnt 0x0
	s_delay_alu instid0(VALU_DEP_1)
	v_cmpx_lt_u64_e64 v[70:71], v[10:11]
	s_cbranch_execz .LBB6_3915
; %bb.3904:                             ;   in Loop: Header=BB6_3899 Depth=1
	v_and_b32_e32 v2, 64, v30
	s_mov_b32 s26, 0
	s_mov_b32 s40, 0
                                        ; implicit-def: $sgpr27
                                        ; implicit-def: $sgpr28
                                        ; implicit-def: $sgpr29
	s_delay_alu instid0(VALU_DEP_1)
	v_cmp_eq_u32_e32 vcc_lo, 0, v2
	s_branch .LBB6_3908
.LBB6_3905:                             ;   in Loop: Header=BB6_3908 Depth=2
	s_wait_loadcnt_dscnt 0x0
	v_cmp_ge_u64_e64 s7, v[70:71], v[10:11]
	s_or_b32 s43, s43, exec_lo
	s_or_not1_b32 s42, s7, exec_lo
.LBB6_3906:                             ;   in Loop: Header=BB6_3908 Depth=2
	s_or_b32 exec_lo, exec_lo, s45
	s_delay_alu instid0(SALU_CYCLE_1)
	s_and_not1_b32 s7, s29, exec_lo
	s_and_b32 s29, s43, exec_lo
	s_and_not1_b32 s28, s28, exec_lo
	s_and_b32 s42, s42, exec_lo
	s_or_b32 s29, s7, s29
	s_or_b32 s28, s28, s42
.LBB6_3907:                             ;   in Loop: Header=BB6_3908 Depth=2
	s_or_b32 exec_lo, exec_lo, s41
	s_delay_alu instid0(SALU_CYCLE_1) | instskip(NEXT) | instid1(SALU_CYCLE_1)
	s_and_b32 s7, exec_lo, s28
	s_or_b32 s26, s7, s26
	s_and_not1_b32 s7, s27, exec_lo
	s_and_b32 s27, s29, exec_lo
	s_delay_alu instid0(SALU_CYCLE_1)
	s_or_b32 s27, s7, s27
	s_and_not1_b32 exec_lo, exec_lo, s26
	s_cbranch_execz .LBB6_3912
.LBB6_3908:                             ;   Parent Loop BB6_3899 Depth=1
                                        ; =>  This Inner Loop Header: Depth=2
	s_sleep 1
	s_wait_loadcnt_dscnt 0x0
	flat_load_b64 v[70:71], v[64:65] scope:SCOPE_SYS
	s_or_b32 s29, s29, exec_lo
	s_or_b32 s28, s28, exec_lo
                                        ; implicit-def: $vgpr2
	s_wait_xcnt 0x0
	s_and_saveexec_b32 s41, vcc_lo
	s_cbranch_execz .LBB6_3907
; %bb.3909:                             ;   in Loop: Header=BB6_3908 Depth=2
	s_cmp_lt_i32 s40, 0x270f
	s_mov_b32 s42, -1
	s_cselect_b32 s44, -1, 0
	s_cmp_gt_i32 s40, 0x270e
	s_cbranch_scc0 .LBB6_3911
; %bb.3910:                             ;   in Loop: Header=BB6_3908 Depth=2
	s_trap 2
	ds_load_b64 v[2:3], v0
	s_and_not1_b32 s40, s44, exec_lo
	s_mov_b32 s43, 0
	s_wait_storecnt 0x0
	s_wait_loadcnt_dscnt 0x0
	flat_load_b32 v2, v[2:3] scope:SCOPE_SYS
	s_wait_loadcnt_dscnt 0x0
	global_inv scope:SCOPE_SYS
	v_cmp_eq_u32_e64 s7, 0, v2
	s_and_b32 s7, s7, exec_lo
	s_delay_alu instid0(SALU_CYCLE_1)
	s_or_b32 s44, s40, s7
	s_mov_b32 s40, 0
	s_and_saveexec_b32 s45, s44
	s_cbranch_execz .LBB6_3906
	s_branch .LBB6_3905
.LBB6_3911:                             ;   in Loop: Header=BB6_3908 Depth=2
	s_add_co_i32 s40, s40, 1
	s_mov_b32 s43, -1
                                        ; implicit-def: $vgpr2
	s_and_saveexec_b32 s45, s44
	s_cbranch_execz .LBB6_3906
	s_branch .LBB6_3905
.LBB6_3912:                             ;   in Loop: Header=BB6_3899 Depth=1
	s_or_b32 exec_lo, exec_lo, s26
	s_xor_b32 s7, s27, -1
	s_delay_alu instid0(SALU_CYCLE_1) | instskip(NEXT) | instid1(SALU_CYCLE_1)
	s_and_saveexec_b32 s26, s7
	s_xor_b32 s7, exec_lo, s26
	s_cbranch_execz .LBB6_3914
; %bb.3913:                             ;   in Loop: Header=BB6_3899 Depth=1
	v_or_b32_e32 v30, 64, v30
	s_wait_storecnt 0x0
	s_wait_loadcnt_dscnt 0x0
	ds_store_b32 v0, v2
	s_trap 2
.LBB6_3914:                             ;   in Loop: Header=BB6_3899 Depth=1
	s_or_b32 exec_lo, exec_lo, s7
.LBB6_3915:                             ;   in Loop: Header=BB6_3899 Depth=1
	s_delay_alu instid0(SALU_CYCLE_1)
	s_or_b32 exec_lo, exec_lo, s11
	v_and_b32_e32 v2, 0x100, v30
	v_and_b32_e32 v86, 7, v8
	s_mov_b32 s7, -1
	s_mov_b32 s11, exec_lo
	;;#ASMSTART
	s_wakeup
	;;#ASMEND
                                        ; implicit-def: $vgpr8_vgpr9
	v_cmpx_ne_u32_e32 0, v2
	s_cbranch_execz .LBB6_3919
; %bb.3916:                             ;   in Loop: Header=BB6_3899 Depth=1
	v_mad_nc_u64_u32 v[12:13], v86, 24, v[6:7]
	s_mov_b32 s26, exec_lo
                                        ; implicit-def: $vgpr8_vgpr9
	flat_load_b32 v2, v[12:13]
	s_wait_loadcnt_dscnt 0x0
	v_cmp_ne_u32_e32 vcc_lo, 1, v2
	s_wait_xcnt 0x0
	v_cmpx_eq_u32_e32 1, v2
	s_cbranch_execz .LBB6_3918
; %bb.3917:                             ;   in Loop: Header=BB6_3899 Depth=1
	flat_load_b32 v8, v[12:13] offset:4 scope:SCOPE_SYS
	s_wait_loadcnt_dscnt 0x0
	v_ashrrev_i32_e32 v9, 31, v8
.LBB6_3918:                             ;   in Loop: Header=BB6_3899 Depth=1
	s_wait_xcnt 0x0
	s_or_b32 exec_lo, exec_lo, s26
	s_delay_alu instid0(SALU_CYCLE_1)
	s_or_not1_b32 s7, vcc_lo, exec_lo
.LBB6_3919:                             ;   in Loop: Header=BB6_3899 Depth=1
	s_or_b32 exec_lo, exec_lo, s11
	s_and_saveexec_b32 s11, s7
	s_cbranch_execz .LBB6_3921
; %bb.3920:                             ;   in Loop: Header=BB6_3899 Depth=1
	scratch_load_b64 v[2:3], off, s33 offset:188 ; 8-byte Folded Reload
	s_wait_loadcnt 0x0
	v_mul_u64_e32 v[8:9], v[86:87], v[2:3]
.LBB6_3921:                             ;   in Loop: Header=BB6_3899 Depth=1
	s_wait_xcnt 0x0
	s_or_b32 exec_lo, exec_lo, s11
	s_delay_alu instid0(VALU_DEP_1)
	v_add_nc_u64_e32 v[2:3], v[68:69], v[8:9]
	v_and_b32_e32 v12, 0x2000, v30
	s_mov_b32 s7, exec_lo
	ds_store_b64 v0, v[2:3] offset:728
	v_cmpx_ne_u32_e32 0, v12
	s_cbranch_execz .LBB6_3923
; %bb.3922:                             ;   in Loop: Header=BB6_3899 Depth=1
	ds_load_b64 v[2:3], v0 offset:872
	s_wait_dscnt 0x0
	v_add_nc_u64_e32 v[2:3], 1, v[2:3]
	ds_store_b64 v0, v[2:3] offset:872
.LBB6_3923:                             ;   in Loop: Header=BB6_3899 Depth=1
	s_or_b32 exec_lo, exec_lo, s7
	v_mov_b64_e32 v[8:9], v[10:11]
.LBB6_3924:                             ;   in Loop: Header=BB6_3899 Depth=1
	s_or_b32 exec_lo, exec_lo, s10
	s_and_saveexec_b32 s7, s2
	s_cbranch_execz .LBB6_3943
; %bb.3925:                             ;   in Loop: Header=BB6_3899 Depth=1
	s_and_saveexec_b32 s10, s3
	s_delay_alu instid0(SALU_CYCLE_1)
	s_xor_b32 s10, exec_lo, s10
	s_cbranch_execz .LBB6_3940
; %bb.3926:                             ;   in Loop: Header=BB6_3899 Depth=1
	s_and_saveexec_b32 s11, s4
	s_cbranch_execz .LBB6_3939
; %bb.3927:                             ;   in Loop: Header=BB6_3899 Depth=1
	s_mov_b32 s27, exec_lo
	s_mov_b32 s26, exec_lo
	v_mbcnt_lo_u32_b32 v2, s27, 0
	global_wb scope:SCOPE_DEV
	s_wait_storecnt 0x0
	s_wait_loadcnt_dscnt 0x0
	global_inv scope:SCOPE_DEV
	v_cmpx_eq_u32_e32 0, v2
	s_cbranch_execz .LBB6_3929
; %bb.3928:                             ;   in Loop: Header=BB6_3899 Depth=1
	s_bcnt1_i32_b32 s27, s27
	s_delay_alu instid0(SALU_CYCLE_1)
	v_mov_b32_e32 v86, s27
	s_wait_loadcnt 0x0
	ds_add_u64 v0, v[86:87]
	s_trap 2
.LBB6_3929:                             ;   in Loop: Header=BB6_3899 Depth=1
	s_or_b32 exec_lo, exec_lo, s26
	s_trap 2
	ds_load_b64 v[2:3], v0
	s_wait_dscnt 0x0
	v_add_nc_u64_e32 v[80:81], v[80:81], v[84:85]
	s_mov_b32 s26, exec_lo
	s_delay_alu instid0(VALU_DEP_1)
	v_cmpx_lt_u64_e64 v[2:3], v[80:81]
	s_cbranch_execz .LBB6_3938
; %bb.3930:                             ;   in Loop: Header=BB6_3899 Depth=1
	s_mov_b32 s27, 0
	s_mov_b32 s40, 0
                                        ; implicit-def: $sgpr28
                                        ; implicit-def: $sgpr29
	s_branch .LBB6_3932
.LBB6_3931:                             ;   in Loop: Header=BB6_3932 Depth=2
	s_or_b32 exec_lo, exec_lo, s42
	s_delay_alu instid0(SALU_CYCLE_1) | instskip(NEXT) | instid1(SALU_CYCLE_1)
	s_and_b32 s41, exec_lo, s43
	s_or_b32 s27, s41, s27
	s_and_not1_b32 s28, s28, exec_lo
	s_and_b32 s41, s29, exec_lo
	s_delay_alu instid0(SALU_CYCLE_1)
	s_or_b32 s28, s28, s41
	s_and_not1_b32 exec_lo, exec_lo, s27
	s_cbranch_execz .LBB6_3936
.LBB6_3932:                             ;   Parent Loop BB6_3899 Depth=1
                                        ; =>  This Inner Loop Header: Depth=2
	s_add_co_i32 s40, s40, 1
	s_delay_alu instid0(SALU_CYCLE_1) | instskip(SKIP_1) | instid1(SALU_CYCLE_1)
	s_cmp_lg_u32 s40, 0x2710
	s_cselect_b32 s41, -1, 0
	s_and_b32 vcc_lo, exec_lo, s41
	s_cbranch_vccz .LBB6_3934
; %bb.3933:                             ;   in Loop: Header=BB6_3932 Depth=2
	s_mov_b32 s43, -1
	s_or_b32 s29, s29, exec_lo
	s_and_saveexec_b32 s42, s41
	s_cbranch_execz .LBB6_3931
	s_branch .LBB6_3935
.LBB6_3934:                             ;   in Loop: Header=BB6_3932 Depth=2
	s_trap 2
	ds_load_b64 v[2:3], v0
	s_and_not1_b32 s41, s41, exec_lo
	s_mov_b32 s40, 0
	s_wait_loadcnt_dscnt 0x0
	flat_load_b32 v2, v[2:3] scope:SCOPE_SYS
	s_wait_loadcnt_dscnt 0x0
	global_inv scope:SCOPE_SYS
	v_cmp_eq_u32_e32 vcc_lo, 0, v2
	s_and_b32 s42, vcc_lo, exec_lo
	s_delay_alu instid0(SALU_CYCLE_1)
	s_or_b32 s41, s41, s42
	s_mov_b32 s43, -1
	s_or_b32 s29, s29, exec_lo
	s_and_saveexec_b32 s42, s41
	s_cbranch_execz .LBB6_3931
.LBB6_3935:                             ;   in Loop: Header=BB6_3932 Depth=2
	s_sleep 1
	s_trap 2
	ds_load_b64 v[2:3], v0
	s_wait_dscnt 0x0
	s_and_not1_b32 s29, s29, exec_lo
	v_cmp_ge_u64_e32 vcc_lo, v[2:3], v[80:81]
	s_or_not1_b32 s43, vcc_lo, exec_lo
	s_branch .LBB6_3931
.LBB6_3936:                             ;   in Loop: Header=BB6_3899 Depth=1
	s_or_b32 exec_lo, exec_lo, s27
	s_and_saveexec_b32 s27, s28
	s_delay_alu instid0(SALU_CYCLE_1)
	s_xor_b32 s27, exec_lo, s27
	s_cbranch_execz .LBB6_3938
; %bb.3937:                             ;   in Loop: Header=BB6_3899 Depth=1
	v_mov_b32_e32 v2, 1
	ds_store_b32 v0, v2
	s_trap 2
.LBB6_3938:                             ;   in Loop: Header=BB6_3899 Depth=1
	s_or_b32 exec_lo, exec_lo, s26
	;;#ASMSTART
	s_wakeup
	;;#ASMEND
.LBB6_3939:                             ;   in Loop: Header=BB6_3899 Depth=1
	s_or_b32 exec_lo, exec_lo, s11
.LBB6_3940:                             ;   in Loop: Header=BB6_3899 Depth=1
	s_and_not1_saveexec_b32 s10, s10
	s_cbranch_execz .LBB6_3942
; %bb.3941:                             ;   in Loop: Header=BB6_3899 Depth=1
	global_wb scope:SCOPE_DEV
	s_wait_storecnt 0x0
	s_wait_loadcnt_dscnt 0x0
	global_inv scope:SCOPE_DEV
	s_barrier_signal -1
	s_barrier_wait -1
.LBB6_3942:                             ;   in Loop: Header=BB6_3899 Depth=1
	s_or_b32 exec_lo, exec_lo, s10
.LBB6_3943:                             ;   in Loop: Header=BB6_3899 Depth=1
	s_delay_alu instid0(SALU_CYCLE_1) | instskip(SKIP_3) | instid1(VALU_DEP_1)
	s_or_b32 exec_lo, exec_lo, s7
	s_trap 2
	ds_load_b32 v2, v0
	v_and_b32_e32 v3, 0x4000, v30
	v_cmp_ne_u32_e32 vcc_lo, 0, v3
	s_and_b32 s10, s23, vcc_lo
	s_delay_alu instid0(SALU_CYCLE_1)
	s_and_saveexec_b32 s7, s10
	s_cbranch_execz .LBB6_3962
; %bb.3944:                             ;   in Loop: Header=BB6_3899 Depth=1
	s_and_saveexec_b32 s10, s3
	s_delay_alu instid0(SALU_CYCLE_1)
	s_xor_b32 s10, exec_lo, s10
	s_cbranch_execz .LBB6_3959
; %bb.3945:                             ;   in Loop: Header=BB6_3899 Depth=1
	s_and_saveexec_b32 s11, s4
	s_cbranch_execz .LBB6_3958
; %bb.3946:                             ;   in Loop: Header=BB6_3899 Depth=1
	s_mov_b32 s27, exec_lo
	s_mov_b32 s26, exec_lo
	v_mbcnt_lo_u32_b32 v3, s27, 0
	global_wb scope:SCOPE_DEV
	s_wait_storecnt 0x0
	s_wait_loadcnt_dscnt 0x0
	global_inv scope:SCOPE_DEV
	v_cmpx_eq_u32_e32 0, v3
	s_cbranch_execz .LBB6_3948
; %bb.3947:                             ;   in Loop: Header=BB6_3899 Depth=1
	s_bcnt1_i32_b32 s27, s27
	s_delay_alu instid0(SALU_CYCLE_1)
	v_mov_b32_e32 v86, s27
	s_wait_loadcnt 0x0
	ds_add_u64 v0, v[86:87]
	s_trap 2
.LBB6_3948:                             ;   in Loop: Header=BB6_3899 Depth=1
	s_or_b32 exec_lo, exec_lo, s26
	s_trap 2
	ds_load_b64 v[10:11], v0
	s_wait_dscnt 0x0
	v_add_nc_u64_e32 v[80:81], v[80:81], v[84:85]
	s_mov_b32 s26, exec_lo
	s_delay_alu instid0(VALU_DEP_1)
	v_cmpx_lt_u64_e64 v[10:11], v[80:81]
	s_cbranch_execz .LBB6_3957
; %bb.3949:                             ;   in Loop: Header=BB6_3899 Depth=1
	s_mov_b32 s27, 0
	s_mov_b32 s40, 0
                                        ; implicit-def: $sgpr28
                                        ; implicit-def: $sgpr29
	s_branch .LBB6_3951
.LBB6_3950:                             ;   in Loop: Header=BB6_3951 Depth=2
	s_or_b32 exec_lo, exec_lo, s42
	s_delay_alu instid0(SALU_CYCLE_1) | instskip(NEXT) | instid1(SALU_CYCLE_1)
	s_and_b32 s41, exec_lo, s43
	s_or_b32 s27, s41, s27
	s_and_not1_b32 s28, s28, exec_lo
	s_and_b32 s41, s29, exec_lo
	s_delay_alu instid0(SALU_CYCLE_1)
	s_or_b32 s28, s28, s41
	s_and_not1_b32 exec_lo, exec_lo, s27
	s_cbranch_execz .LBB6_3955
.LBB6_3951:                             ;   Parent Loop BB6_3899 Depth=1
                                        ; =>  This Inner Loop Header: Depth=2
	s_add_co_i32 s40, s40, 1
	s_delay_alu instid0(SALU_CYCLE_1) | instskip(SKIP_1) | instid1(SALU_CYCLE_1)
	s_cmp_lg_u32 s40, 0x2710
	s_cselect_b32 s41, -1, 0
	s_and_b32 vcc_lo, exec_lo, s41
	s_cbranch_vccz .LBB6_3953
; %bb.3952:                             ;   in Loop: Header=BB6_3951 Depth=2
	s_mov_b32 s43, -1
	s_or_b32 s29, s29, exec_lo
	s_and_saveexec_b32 s42, s41
	s_cbranch_execz .LBB6_3950
	s_branch .LBB6_3954
.LBB6_3953:                             ;   in Loop: Header=BB6_3951 Depth=2
	s_trap 2
	ds_load_b64 v[10:11], v0
	s_and_not1_b32 s41, s41, exec_lo
	s_mov_b32 s40, 0
	s_wait_loadcnt_dscnt 0x0
	flat_load_b32 v3, v[10:11] scope:SCOPE_SYS
	s_wait_loadcnt_dscnt 0x0
	global_inv scope:SCOPE_SYS
	v_cmp_eq_u32_e32 vcc_lo, 0, v3
	s_and_b32 s42, vcc_lo, exec_lo
	s_delay_alu instid0(SALU_CYCLE_1)
	s_or_b32 s41, s41, s42
	s_mov_b32 s43, -1
	s_or_b32 s29, s29, exec_lo
	s_and_saveexec_b32 s42, s41
	s_cbranch_execz .LBB6_3950
.LBB6_3954:                             ;   in Loop: Header=BB6_3951 Depth=2
	s_sleep 1
	s_trap 2
	ds_load_b64 v[10:11], v0
	s_wait_dscnt 0x0
	s_and_not1_b32 s29, s29, exec_lo
	v_cmp_ge_u64_e32 vcc_lo, v[10:11], v[80:81]
	s_or_not1_b32 s43, vcc_lo, exec_lo
	s_branch .LBB6_3950
.LBB6_3955:                             ;   in Loop: Header=BB6_3899 Depth=1
	s_or_b32 exec_lo, exec_lo, s27
	s_and_saveexec_b32 s27, s28
	s_delay_alu instid0(SALU_CYCLE_1)
	s_xor_b32 s27, exec_lo, s27
	s_cbranch_execz .LBB6_3957
; %bb.3956:                             ;   in Loop: Header=BB6_3899 Depth=1
	v_mov_b32_e32 v3, 1
	ds_store_b32 v0, v3
	s_trap 2
.LBB6_3957:                             ;   in Loop: Header=BB6_3899 Depth=1
	s_or_b32 exec_lo, exec_lo, s26
	;;#ASMSTART
	s_wakeup
	;;#ASMEND
.LBB6_3958:                             ;   in Loop: Header=BB6_3899 Depth=1
	s_or_b32 exec_lo, exec_lo, s11
.LBB6_3959:                             ;   in Loop: Header=BB6_3899 Depth=1
	s_and_not1_saveexec_b32 s10, s10
	s_cbranch_execz .LBB6_3961
; %bb.3960:                             ;   in Loop: Header=BB6_3899 Depth=1
	global_wb scope:SCOPE_DEV
	s_wait_storecnt 0x0
	s_wait_loadcnt_dscnt 0x0
	global_inv scope:SCOPE_DEV
	s_barrier_signal -1
	s_barrier_wait -1
.LBB6_3961:                             ;   in Loop: Header=BB6_3899 Depth=1
	s_or_b32 exec_lo, exec_lo, s10
.LBB6_3962:                             ;   in Loop: Header=BB6_3899 Depth=1
	s_delay_alu instid0(SALU_CYCLE_1)
	s_or_b32 exec_lo, exec_lo, s7
	s_trap 2
	ds_load_b64 v[118:119], v0
	v_min_u32_e32 v117, v117, v116
	s_wait_dscnt 0x0
	v_cmp_eq_u64_e32 vcc_lo, 0, v[118:119]
	s_cbranch_vccnz .LBB6_3970
; %bb.3963:                             ;   in Loop: Header=BB6_3899 Depth=1
	s_trap 2
	ds_load_b64 v[40:41], v0
	s_wait_dscnt 0x0
	v_cmp_eq_u64_e32 vcc_lo, 0, v[40:41]
	s_cbranch_vccnz .LBB6_3970
; %bb.3964:                             ;   in Loop: Header=BB6_3899 Depth=1
	s_mov_b32 s7, -1
	s_and_saveexec_b32 s10, s5
	s_cbranch_execz .LBB6_3966
; %bb.3965:                             ;   in Loop: Header=BB6_3899 Depth=1
	ds_load_b32 v3, v0 offset:720
	s_wait_dscnt 0x0
	v_and_b32_e32 v3, 15, v3
	s_delay_alu instid0(VALU_DEP_1)
	v_cmp_eq_u32_e32 vcc_lo, 0, v3
	s_or_not1_b32 s7, vcc_lo, exec_lo
.LBB6_3966:                             ;   in Loop: Header=BB6_3899 Depth=1
	s_or_b32 exec_lo, exec_lo, s10
	s_and_saveexec_b32 s10, s6
	s_cbranch_execz .LBB6_3968
; %bb.3967:                             ;   in Loop: Header=BB6_3899 Depth=1
	ds_load_b32 v3, v0 offset:784
	s_wait_dscnt 0x0
	v_and_b32_e32 v3, 15, v3
	s_delay_alu instid0(VALU_DEP_1) | instskip(SKIP_3) | instid1(SALU_CYCLE_1)
	v_cmp_eq_u32_e32 vcc_lo, 0, v3
	s_and_b32 s11, s7, vcc_lo
	s_and_not1_b32 s7, s7, exec_lo
	s_and_b32 s11, s11, exec_lo
	s_or_b32 s7, s7, s11
.LBB6_3968:                             ;   in Loop: Header=BB6_3899 Depth=1
	s_or_b32 exec_lo, exec_lo, s10
	v_cmp_eq_u32_e32 vcc_lo, 0, v2
	s_xor_b32 s7, s7, -1
	v_mov_b32_e32 v10, v60
	v_cndmask_b32_e64 v3, 0, 1, s7
	s_mov_b32 s7, -1
	v_dual_cndmask_b32 v73, 0, v117 :: v_dual_mov_b32 v20, 0
	v_mov_b32_e32 v22, v0
	s_delay_alu instid0(VALU_DEP_3) | instskip(NEXT) | instid1(VALU_DEP_3)
	v_cmp_ne_u32_e32 vcc_lo, 0, v3
	v_mov_b32_e32 v21, v73
	s_cbranch_vccz .LBB6_3971
; %bb.3969:                             ;   in Loop: Header=BB6_3899 Depth=1
	s_and_saveexec_b32 s10, s7
	s_cbranch_execnz .LBB6_6464
	s_branch .LBB6_7660
.LBB6_3970:                             ;   in Loop: Header=BB6_3899 Depth=1
	s_mov_b32 s7, 0
	s_and_saveexec_b32 s10, s2
	s_cbranch_execnz .LBB6_7661
	s_branch .LBB6_7679
.LBB6_3971:                             ;   in Loop: Header=BB6_3899 Depth=1
	v_lshrrev_b32_e32 v2, 11, v73
	s_mov_b32 s10, exec_lo
	s_delay_alu instid0(VALU_DEP_1) | instskip(NEXT) | instid1(VALU_DEP_1)
	v_sub_nc_u32_e32 v74, v2, v60
	v_cmpx_lt_i32_e32 0, v74
	s_cbranch_execz .LBB6_5959
; %bb.3972:                             ;   in Loop: Header=BB6_3899 Depth=1
	s_trap 2
	scratch_load_b64 v[10:11], off, s33 offset:224 ; 8-byte Folded Reload
	ds_load_b64 v[2:3], v0
	s_mov_b32 s11, 0
	s_wait_loadcnt 0x0
	v_add_nc_u64_e32 v[42:43], v[118:119], v[10:11]
	s_wait_dscnt 0x0
	v_add_nc_u64_e32 v[44:45], v[2:3], v[10:11]
	v_add_nc_u64_e32 v[46:47], v[40:41], v[10:11]
	s_branch .LBB6_3974
.LBB6_3973:                             ;   in Loop: Header=BB6_3974 Depth=2
	s_or_b32 exec_lo, exec_lo, s7
	v_lshl_or_b32 v11, v120, 8, v111
	v_dual_lshlrev_b32 v12, 16, v26 :: v_dual_lshlrev_b32 v13, 24, v27
	v_lshl_or_b32 v15, v35, 8, v34
	v_dual_lshlrev_b32 v16, 16, v109 :: v_dual_lshlrev_b32 v23, 24, v23
	v_lshlrev_b32_e32 v22, 16, v22
	s_delay_alu instid0(VALU_DEP_4)
	v_or3_b32 v27, v11, v12, v13
	v_lshlrev_b32_e32 v11, 24, v110
	v_lshl_or_b32 v2, v3, 8, v2
	v_lshl_or_b32 v3, v104, 8, v95
	v_dual_lshlrev_b32 v34, 16, v36 :: v_dual_lshlrev_b32 v35, 24, v37
	v_lshl_or_b32 v12, v29, 8, v28
	v_dual_lshlrev_b32 v13, 16, v121 :: v_dual_lshlrev_b32 v17, 24, v122
	v_lshl_or_b32 v36, v51, 8, v50
	v_dual_lshlrev_b32 v37, 16, v93 :: v_dual_lshlrev_b32 v50, 24, v94
	v_or3_b32 v26, v15, v16, v11
	v_or3_b32 v29, v2, v22, v23
	v_or3_b32 v35, v3, v34, v35
	v_lshl_or_b32 v2, v39, 8, v38
	v_dual_lshlrev_b32 v3, 16, v105 :: v_dual_lshlrev_b32 v11, 24, v106
	v_or3_b32 v28, v12, v13, v17
	v_dual_lshlrev_b32 v12, 24, v33 :: v_dual_lshlrev_b32 v13, 16, v32
	v_lshl_or_b32 v15, v108, 8, v107
	v_lshl_or_b32 v16, v88, 8, v79
	v_dual_lshlrev_b32 v17, 16, v56 :: v_dual_lshlrev_b32 v22, 24, v57
	v_lshl_or_b32 v23, v76, 8, v75
	v_dual_lshlrev_b32 v32, 16, v77 :: v_dual_lshlrev_b32 v33, 24, v78
	v_or3_b32 v34, v36, v37, v50
	v_lshl_or_b32 v38, v59, 8, v58
	v_dual_lshlrev_b32 v39, 16, v89 :: v_dual_lshlrev_b32 v50, 24, v90
	v_or3_b32 v36, v2, v3, v11
	v_dual_lshlrev_b32 v2, 24, v49 :: v_dual_lshlrev_b32 v3, 16, v48
	v_lshl_or_b32 v11, v92, 8, v91
	v_or3_b32 v37, v15, v13, v12
	v_or3_b32 v55, v16, v17, v22
	;; [unrolled: 1-line block ×3, first 2 shown]
	v_lshl_or_b32 v12, v126, 8, v125
	v_dual_lshlrev_b32 v13, 16, v18 :: v_dual_lshlrev_b32 v15, 24, v19
	v_lshl_or_b32 v16, v25, 8, v24
	v_dual_lshlrev_b32 v17, 16, v123 :: v_dual_lshlrev_b32 v18, 24, v124
	;; [unrolled: 2-line block ×3, first 2 shown]
	v_dual_lshlrev_b32 v22, 24, v10 :: v_dual_sub_nc_u32 v74, v74, v84
	v_lshlrev_b32_e32 v14, 16, v14
	v_lshl_or_b32 v23, v31, 8, v61
	v_or3_b32 v56, v38, v39, v50
	v_or3_b32 v57, v11, v3, v2
	v_or3_b32 v11, v12, v13, v15
	v_or3_b32 v10, v16, v17, v18
	v_or3_b32 v12, v19, v20, v21
	v_or3_b32 v13, v23, v14, v22
	s_clause 0x3
	global_store_b128 v[46:47], v[54:57], off th:TH_STORE_NT
	global_store_b128 v[46:47], v[34:37], off offset:512 th:TH_STORE_NT
	global_store_b128 v[46:47], v[26:29], off offset:1024 th:TH_STORE_NT
	global_store_b128 v[46:47], v[10:13], off offset:1536 th:TH_STORE_NT
	v_add_nc_u64_e32 v[42:43], v[42:43], v[98:99]
	v_add_nc_u64_e32 v[44:45], v[44:45], v[98:99]
	v_cmp_gt_i32_e32 vcc_lo, 1, v74
	s_wait_xcnt 0x0
	v_add_nc_u64_e32 v[46:47], v[46:47], v[98:99]
	s_or_b32 s11, vcc_lo, s11
	s_delay_alu instid0(SALU_CYCLE_1)
	s_and_not1_b32 exec_lo, exec_lo, s11
	s_cbranch_execz .LBB6_5958
.LBB6_3974:                             ;   Parent Loop BB6_3899 Depth=1
                                        ; =>  This Inner Loop Header: Depth=2
	s_clause 0x3
	global_load_b128 v[48:51], v[42:43], off th:TH_LOAD_NT
	global_load_b128 v[32:35], v[42:43], off offset:512 th:TH_LOAD_NT
	global_load_b128 v[22:25], v[42:43], off offset:1024 th:TH_LOAD_NT
	;; [unrolled: 1-line block ×3, first 2 shown]
	s_clause 0x3
	global_load_b128 v[36:39], v[44:45], off th:TH_LOAD_NT
	global_load_b128 v[26:29], v[44:45], off offset:512 th:TH_LOAD_NT
	global_load_b128 v[18:21], v[44:45], off offset:1024 th:TH_LOAD_NT
	;; [unrolled: 1-line block ×3, first 2 shown]
	v_dual_mov_b32 v2, 0 :: v_dual_mov_b32 v3, 0
	s_mov_b32 s7, exec_lo
	s_wait_loadcnt 0x7
	v_and_b32_e32 v31, 0xff, v48
	s_wait_xcnt 0x0
	s_delay_alu instid0(VALU_DEP_1)
	v_cmpx_ne_u16_e32 0, v31
	s_cbranch_execz .LBB6_3980
; %bb.3975:                             ;   in Loop: Header=BB6_3974 Depth=2
	v_bfrev_b32_e32 v3, 1
	s_mov_b32 s26, exec_lo
	v_cmpx_ne_u16_e32 0x80, v31
	s_cbranch_execz .LBB6_3979
; %bb.3976:                             ;   in Loop: Header=BB6_3974 Depth=2
	v_and_b32_e32 v31, 0x7f, v48
	v_mov_b32_e32 v3, 0x7f800001
	s_mov_b32 s27, exec_lo
	s_delay_alu instid0(VALU_DEP_2)
	v_cmpx_ne_u32_e32 0x7f, v31
	s_cbranch_execz .LBB6_3978
; %bb.3977:                             ;   in Loop: Header=BB6_3974 Depth=2
	v_dual_lshrrev_b32 v54, 3, v31 :: v_dual_bitop2_b32 v3, 7, v48 bitop3:0x40
	v_cmp_gt_u32_e32 vcc_lo, 8, v31
	s_delay_alu instid0(VALU_DEP_2) | instskip(NEXT) | instid1(VALU_DEP_1)
	v_clz_i32_u32_e32 v3, v3
	v_min_u32_e32 v3, 32, v3
	s_delay_alu instid0(VALU_DEP_1) | instskip(SKIP_1) | instid1(VALU_DEP_2)
	v_subrev_nc_u32_e32 v55, 28, v3
	v_sub_nc_u32_e32 v3, 29, v3
	v_cndmask_b32_e32 v31, 0, v55, vcc_lo
	s_delay_alu instid0(VALU_DEP_2) | instskip(NEXT) | instid1(VALU_DEP_2)
	v_cndmask_b32_e32 v3, v54, v3, vcc_lo
	v_lshlrev_b64_e32 v[54:55], v31, v[48:49]
	v_lshlrev_b32_e32 v31, 24, v48
	s_delay_alu instid0(VALU_DEP_1) | instskip(NEXT) | instid1(VALU_DEP_3)
	v_and_b32_e32 v31, 0x80000000, v31
	v_lshlrev_b32_e32 v54, 20, v54
	v_lshl_add_u32 v3, v3, 23, 0x3c000000
	s_delay_alu instid0(VALU_DEP_2) | instskip(NEXT) | instid1(VALU_DEP_1)
	v_and_b32_e32 v54, 0x700000, v54
	v_or3_b32 v3, v54, v31, v3
.LBB6_3978:                             ;   in Loop: Header=BB6_3974 Depth=2
	s_or_b32 exec_lo, exec_lo, s27
.LBB6_3979:                             ;   in Loop: Header=BB6_3974 Depth=2
	s_delay_alu instid0(SALU_CYCLE_1)
	s_or_b32 exec_lo, exec_lo, s26
.LBB6_3980:                             ;   in Loop: Header=BB6_3974 Depth=2
	s_delay_alu instid0(SALU_CYCLE_1) | instskip(SKIP_3) | instid1(VALU_DEP_1)
	s_or_b32 exec_lo, exec_lo, s7
	s_wait_loadcnt 0x3
	v_and_b32_e32 v31, 0xff, v36
	s_mov_b32 s7, exec_lo
	v_cmpx_ne_u16_e32 0, v31
	s_cbranch_execz .LBB6_3986
; %bb.3981:                             ;   in Loop: Header=BB6_3974 Depth=2
	v_bfrev_b32_e32 v2, 1
	s_mov_b32 s26, exec_lo
	v_cmpx_ne_u16_e32 0x80, v31
	s_cbranch_execz .LBB6_3985
; %bb.3982:                             ;   in Loop: Header=BB6_3974 Depth=2
	v_and_b32_e32 v31, 0x7f, v36
	v_mov_b32_e32 v2, 0x7f800001
	s_mov_b32 s27, exec_lo
	s_delay_alu instid0(VALU_DEP_2)
	v_cmpx_ne_u32_e32 0x7f, v31
	s_cbranch_execz .LBB6_3984
; %bb.3983:                             ;   in Loop: Header=BB6_3974 Depth=2
	v_dual_lshrrev_b32 v54, 3, v31 :: v_dual_bitop2_b32 v2, 7, v36 bitop3:0x40
	v_cmp_gt_u32_e32 vcc_lo, 8, v31
	s_delay_alu instid0(VALU_DEP_2) | instskip(NEXT) | instid1(VALU_DEP_1)
	v_clz_i32_u32_e32 v2, v2
	v_min_u32_e32 v2, 32, v2
	s_delay_alu instid0(VALU_DEP_1) | instskip(NEXT) | instid1(VALU_DEP_1)
	v_subrev_nc_u32_e32 v55, 28, v2
	v_dual_cndmask_b32 v31, 0, v55 :: v_dual_sub_nc_u32 v2, 29, v2
	s_delay_alu instid0(VALU_DEP_1) | instskip(NEXT) | instid1(VALU_DEP_2)
	v_cndmask_b32_e32 v2, v54, v2, vcc_lo
	v_lshlrev_b64_e32 v[54:55], v31, v[36:37]
	v_lshlrev_b32_e32 v31, 24, v36
	s_delay_alu instid0(VALU_DEP_3) | instskip(NEXT) | instid1(VALU_DEP_2)
	v_lshl_add_u32 v2, v2, 23, 0x3c000000
	v_and_b32_e32 v31, 0x80000000, v31
	s_delay_alu instid0(VALU_DEP_4) | instskip(NEXT) | instid1(VALU_DEP_1)
	v_lshlrev_b32_e32 v54, 20, v54
	v_and_b32_e32 v54, 0x700000, v54
	s_delay_alu instid0(VALU_DEP_1)
	v_or3_b32 v2, v54, v31, v2
.LBB6_3984:                             ;   in Loop: Header=BB6_3974 Depth=2
	s_or_b32 exec_lo, exec_lo, s27
.LBB6_3985:                             ;   in Loop: Header=BB6_3974 Depth=2
	s_delay_alu instid0(SALU_CYCLE_1)
	s_or_b32 exec_lo, exec_lo, s26
.LBB6_3986:                             ;   in Loop: Header=BB6_3974 Depth=2
	s_delay_alu instid0(SALU_CYCLE_1) | instskip(NEXT) | instid1(VALU_DEP_1)
	s_or_b32 exec_lo, exec_lo, s7
	v_mul_f32_e32 v3, v3, v2
                                        ; implicit-def: $vgpr75
	s_mov_b32 s7, exec_lo
	s_delay_alu instid0(VALU_DEP_1) | instskip(SKIP_1) | instid1(VALU_DEP_2)
	v_and_b32_e32 v86, 0x7f800000, v3
	v_lshrrev_b32_e32 v2, 24, v3
	v_cmpx_ne_u64_e32 0x7f800000, v[86:87]
	s_xor_b32 s26, exec_lo, s7
	s_cbranch_execz .LBB6_4000
; %bb.3987:                             ;   in Loop: Header=BB6_3974 Depth=2
	v_and_b32_e32 v86, 0x7fffffff, v3
	v_and_b32_e32 v2, 0x80, v2
                                        ; implicit-def: $vgpr75
	s_mov_b32 s7, exec_lo
	s_delay_alu instid0(VALU_DEP_2)
	v_cmpx_gt_u64_e32 0x43e00001, v[86:87]
	s_xor_b32 s27, exec_lo, s7
	s_cbranch_execz .LBB6_3997
; %bb.3988:                             ;   in Loop: Header=BB6_3974 Depth=2
	v_mov_b32_e32 v75, 0
	s_mov_b32 s28, exec_lo
	v_cmpx_ne_u32_e32 0, v3
	s_cbranch_execz .LBB6_3996
; %bb.3989:                             ;   in Loop: Header=BB6_3974 Depth=2
	v_bfe_u32 v31, v3, 23, 8
	v_and_b32_e32 v3, 0x7fffff, v3
	s_delay_alu instid0(VALU_DEP_2) | instskip(SKIP_1) | instid1(VALU_DEP_3)
	v_sub_nc_u32_e32 v54, 0x79, v31
	v_cmp_gt_u32_e32 vcc_lo, 0x7a, v31
	v_or_b32_e32 v66, 0x800000, v3
	s_delay_alu instid0(VALU_DEP_3) | instskip(SKIP_1) | instid1(VALU_DEP_3)
	v_cndmask_b32_e32 v54, 0, v54, vcc_lo
	v_cmp_eq_u32_e32 vcc_lo, 0, v31
	v_cndmask_b32_e32 v86, v66, v3, vcc_lo
	s_delay_alu instid0(VALU_DEP_3) | instskip(NEXT) | instid1(VALU_DEP_1)
	v_cndmask_b32_e64 v54, v54, 0x78, vcc_lo
	v_add_nc_u32_e32 v55, 20, v54
	s_delay_alu instid0(VALU_DEP_3) | instskip(NEXT) | instid1(VALU_DEP_2)
	v_lshrrev_b64 v[56:57], v54, v[86:87]
	v_lshlrev_b64_e64 v[102:103], v55, -1
	v_add_nc_u32_e32 v55, 19, v54
	s_delay_alu instid0(VALU_DEP_1) | instskip(NEXT) | instid1(VALU_DEP_3)
	v_lshlrev_b64_e64 v[58:59], v55, 1
	v_bfi_b32 v103, v103, 0, 0
	s_delay_alu instid0(VALU_DEP_4) | instskip(NEXT) | instid1(VALU_DEP_1)
	v_bfi_b32 v102, v102, 0, v86
	v_cmp_eq_u64_e64 s7, v[102:103], v[58:59]
	v_mov_b64_e32 v[58:59], v[56:57]
	s_and_saveexec_b32 s29, s7
; %bb.3990:                             ;   in Loop: Header=BB6_3974 Depth=2
	v_bfe_u32 v86, v56, 20, 1
	s_delay_alu instid0(VALU_DEP_1) | instskip(NEXT) | instid1(VALU_DEP_1)
	v_add_nc_u64_e32 v[102:103], v[56:57], v[86:87]
	v_add_nc_u64_e32 v[58:59], -1, v[102:103]
; %bb.3991:                             ;   in Loop: Header=BB6_3974 Depth=2
	s_or_b32 exec_lo, exec_lo, s29
	v_add_nc_u32_e32 v3, 0xffffff81, v31
	v_lshrrev_b32_e32 v31, 23, v56
	s_mov_b32 s7, exec_lo
	s_delay_alu instid0(VALU_DEP_2) | instskip(NEXT) | instid1(VALU_DEP_1)
	v_cndmask_b32_e64 v3, v3, 0xffffff82, vcc_lo
	v_add3_u32 v31, v54, v3, v31
	v_and_b32_e32 v3, 0xfffff, v58
	s_delay_alu instid0(VALU_DEP_1) | instskip(NEXT) | instid1(VALU_DEP_1)
	v_dual_add_nc_u32 v54, 6, v31 :: v_dual_add_nc_u32 v86, v3, v56
                                        ; implicit-def: $vgpr56_vgpr57
                                        ; implicit-def: $vgpr3
	v_cmpx_ne_u32_e32 0, v54
	s_xor_b32 s7, exec_lo, s7
; %bb.3992:                             ;   in Loop: Header=BB6_3974 Depth=2
	s_delay_alu instid0(VALU_DEP_2) | instskip(SKIP_2) | instid1(VALU_DEP_2)
	v_cmp_lt_u64_e32 vcc_lo, 0xffffff, v[86:87]
	v_add_nc_u32_e32 v3, 7, v31
	v_cndmask_b32_e64 v31, 0, 1, vcc_lo
	v_cndmask_b32_e32 v3, v54, v3, vcc_lo
	s_delay_alu instid0(VALU_DEP_2)
	v_lshrrev_b64 v[56:57], v31, v[86:87]
; %bb.3993:                             ;   in Loop: Header=BB6_3974 Depth=2
	s_and_not1_saveexec_b32 s7, s7
; %bb.3994:                             ;   in Loop: Header=BB6_3974 Depth=2
	v_mov_b64_e32 v[56:57], v[86:87]
	v_bfe_u32 v3, v86, 23, 1
; %bb.3995:                             ;   in Loop: Header=BB6_3974 Depth=2
	s_or_b32 exec_lo, exec_lo, s7
	s_delay_alu instid0(VALU_DEP_2) | instskip(NEXT) | instid1(VALU_DEP_2)
	v_lshrrev_b64 v[54:55], 20, v[56:57]
	v_cmp_gt_i32_e32 vcc_lo, 16, v3
	v_min_i32_e32 v31, 15, v3
	v_cmp_eq_u32_e64 s7, 0, v3
	s_delay_alu instid0(VALU_DEP_2) | instskip(SKIP_1) | instid1(VALU_DEP_2)
	v_dual_cndmask_b32 v54, 7, v54 :: v_dual_lshlrev_b32 v31, 3, v31
	v_cndmask_b32_e32 v55, 0, v55, vcc_lo
	v_and_b32_e32 v31, 0xf8, v31
	s_delay_alu instid0(VALU_DEP_2) | instskip(NEXT) | instid1(VALU_DEP_2)
	v_cmp_eq_u64_e32 vcc_lo, 0, v[54:55]
	v_and_or_b32 v3, v54, 7, v31
	s_and_b32 s7, s7, vcc_lo
	s_delay_alu instid0(VALU_DEP_1) | instid1(SALU_CYCLE_1)
	v_cndmask_b32_e64 v3, v3, 0, s7
	s_delay_alu instid0(VALU_DEP_1)
	v_or_b32_e32 v75, v3, v2
.LBB6_3996:                             ;   in Loop: Header=BB6_3974 Depth=2
	s_or_b32 exec_lo, exec_lo, s28
                                        ; implicit-def: $vgpr2
.LBB6_3997:                             ;   in Loop: Header=BB6_3974 Depth=2
	s_and_not1_saveexec_b32 s7, s27
; %bb.3998:                             ;   in Loop: Header=BB6_3974 Depth=2
	v_or_b32_e32 v75, 0x7e, v2
; %bb.3999:                             ;   in Loop: Header=BB6_3974 Depth=2
	s_or_b32 exec_lo, exec_lo, s7
                                        ; implicit-def: $vgpr2
.LBB6_4000:                             ;   in Loop: Header=BB6_3974 Depth=2
	s_and_not1_saveexec_b32 s7, s26
; %bb.4001:                             ;   in Loop: Header=BB6_3974 Depth=2
	v_or_b32_e32 v75, 0x7f, v2
; %bb.4002:                             ;   in Loop: Header=BB6_3974 Depth=2
	s_or_b32 exec_lo, exec_lo, s7
	v_lshrrev_b16 v31, 8, v48
	v_dual_mov_b32 v2, 0 :: v_dual_mov_b32 v3, 0
	s_mov_b32 s7, exec_lo
	s_delay_alu instid0(VALU_DEP_2)
	v_cmpx_ne_u16_e32 0, v31
	s_cbranch_execz .LBB6_4010
; %bb.4003:                             ;   in Loop: Header=BB6_3974 Depth=2
	v_bfrev_b32_e32 v3, 1
	s_mov_b32 s26, exec_lo
	v_cmpx_ne_u16_e32 0x80, v31
	s_cbranch_execz .LBB6_4009
; %bb.4004:                             ;   in Loop: Header=BB6_3974 Depth=2
	v_and_b32_e32 v54, 0xffff, v31
	v_mov_b32_e32 v3, 0x7f800001
	s_mov_b32 s27, exec_lo
	s_delay_alu instid0(VALU_DEP_2) | instskip(NEXT) | instid1(VALU_DEP_1)
	v_and_b32_e32 v31, 0x7f, v54
	v_cmpx_ne_u32_e32 0x7f, v31
	s_cbranch_execz .LBB6_4008
; %bb.4005:                             ;   in Loop: Header=BB6_3974 Depth=2
	v_dual_lshrrev_b32 v3, 3, v31 :: v_dual_bitop2_b32 v86, 7, v54 bitop3:0x40
	s_mov_b32 s28, exec_lo
	v_cmpx_gt_u32_e32 8, v31
; %bb.4006:                             ;   in Loop: Header=BB6_3974 Depth=2
	s_delay_alu instid0(VALU_DEP_2) | instskip(NEXT) | instid1(VALU_DEP_1)
	v_clz_i32_u32_e32 v3, v86
	v_min_u32_e32 v3, 32, v3
	s_delay_alu instid0(VALU_DEP_1) | instskip(NEXT) | instid1(VALU_DEP_1)
	v_subrev_nc_u32_e32 v31, 28, v3
	v_lshlrev_b64_e32 v[54:55], v31, v[86:87]
	s_delay_alu instid0(VALU_DEP_1)
	v_dual_sub_nc_u32 v3, 29, v3 :: v_dual_bitop2_b32 v86, 7, v54 bitop3:0x40
; %bb.4007:                             ;   in Loop: Header=BB6_3974 Depth=2
	s_or_b32 exec_lo, exec_lo, s28
	s_delay_alu instid0(VALU_DEP_1) | instskip(NEXT) | instid1(VALU_DEP_2)
	v_dual_lshlrev_b32 v31, 16, v48 :: v_dual_lshlrev_b32 v54, 20, v86
	v_lshl_add_u32 v3, v3, 23, 0x3c000000
	s_delay_alu instid0(VALU_DEP_2) | instskip(NEXT) | instid1(VALU_DEP_1)
	v_and_b32_e32 v31, 0x80000000, v31
	v_or3_b32 v3, v54, v31, v3
.LBB6_4008:                             ;   in Loop: Header=BB6_3974 Depth=2
	s_or_b32 exec_lo, exec_lo, s27
.LBB6_4009:                             ;   in Loop: Header=BB6_3974 Depth=2
	s_delay_alu instid0(SALU_CYCLE_1)
	s_or_b32 exec_lo, exec_lo, s26
.LBB6_4010:                             ;   in Loop: Header=BB6_3974 Depth=2
	s_delay_alu instid0(SALU_CYCLE_1) | instskip(SKIP_2) | instid1(VALU_DEP_1)
	s_or_b32 exec_lo, exec_lo, s7
	v_lshrrev_b16 v31, 8, v36
	s_mov_b32 s7, exec_lo
	v_cmpx_ne_u16_e32 0, v31
	s_cbranch_execz .LBB6_4018
; %bb.4011:                             ;   in Loop: Header=BB6_3974 Depth=2
	v_bfrev_b32_e32 v2, 1
	s_mov_b32 s26, exec_lo
	v_cmpx_ne_u16_e32 0x80, v31
	s_cbranch_execz .LBB6_4017
; %bb.4012:                             ;   in Loop: Header=BB6_3974 Depth=2
	v_and_b32_e32 v54, 0xffff, v31
	v_mov_b32_e32 v2, 0x7f800001
	s_mov_b32 s27, exec_lo
	s_delay_alu instid0(VALU_DEP_2) | instskip(NEXT) | instid1(VALU_DEP_1)
	v_and_b32_e32 v31, 0x7f, v54
	v_cmpx_ne_u32_e32 0x7f, v31
	s_cbranch_execz .LBB6_4016
; %bb.4013:                             ;   in Loop: Header=BB6_3974 Depth=2
	v_dual_lshrrev_b32 v2, 3, v31 :: v_dual_bitop2_b32 v86, 7, v54 bitop3:0x40
	s_mov_b32 s28, exec_lo
	v_cmpx_gt_u32_e32 8, v31
; %bb.4014:                             ;   in Loop: Header=BB6_3974 Depth=2
	s_delay_alu instid0(VALU_DEP_2) | instskip(NEXT) | instid1(VALU_DEP_1)
	v_clz_i32_u32_e32 v2, v86
	v_min_u32_e32 v2, 32, v2
	s_delay_alu instid0(VALU_DEP_1) | instskip(SKIP_1) | instid1(VALU_DEP_2)
	v_subrev_nc_u32_e32 v31, 28, v2
	v_sub_nc_u32_e32 v2, 29, v2
	v_lshlrev_b64_e32 v[54:55], v31, v[86:87]
	s_delay_alu instid0(VALU_DEP_1)
	v_and_b32_e32 v86, 7, v54
; %bb.4015:                             ;   in Loop: Header=BB6_3974 Depth=2
	s_or_b32 exec_lo, exec_lo, s28
	s_delay_alu instid0(VALU_DEP_1) | instskip(SKIP_1) | instid1(VALU_DEP_2)
	v_dual_lshlrev_b32 v31, 16, v36 :: v_dual_lshlrev_b32 v54, 20, v86
	v_lshl_add_u32 v2, v2, 23, 0x3c000000
	v_and_b32_e32 v31, 0x80000000, v31
	s_delay_alu instid0(VALU_DEP_1)
	v_or3_b32 v2, v54, v31, v2
.LBB6_4016:                             ;   in Loop: Header=BB6_3974 Depth=2
	s_or_b32 exec_lo, exec_lo, s27
.LBB6_4017:                             ;   in Loop: Header=BB6_3974 Depth=2
	s_delay_alu instid0(SALU_CYCLE_1)
	s_or_b32 exec_lo, exec_lo, s26
.LBB6_4018:                             ;   in Loop: Header=BB6_3974 Depth=2
	s_delay_alu instid0(SALU_CYCLE_1) | instskip(NEXT) | instid1(VALU_DEP_1)
	s_or_b32 exec_lo, exec_lo, s7
	v_mul_f32_e32 v3, v3, v2
                                        ; implicit-def: $vgpr76
	s_mov_b32 s7, exec_lo
	s_delay_alu instid0(VALU_DEP_1) | instskip(SKIP_1) | instid1(VALU_DEP_2)
	v_and_b32_e32 v86, 0x7f800000, v3
	v_lshrrev_b32_e32 v2, 24, v3
	v_cmpx_ne_u64_e32 0x7f800000, v[86:87]
	s_xor_b32 s26, exec_lo, s7
	s_cbranch_execz .LBB6_4032
; %bb.4019:                             ;   in Loop: Header=BB6_3974 Depth=2
	v_and_b32_e32 v86, 0x7fffffff, v3
	v_and_b32_e32 v2, 0x80, v2
                                        ; implicit-def: $vgpr76
	s_mov_b32 s7, exec_lo
	s_delay_alu instid0(VALU_DEP_2)
	v_cmpx_gt_u64_e32 0x43e00001, v[86:87]
	s_xor_b32 s27, exec_lo, s7
	s_cbranch_execz .LBB6_4029
; %bb.4020:                             ;   in Loop: Header=BB6_3974 Depth=2
	v_mov_b32_e32 v76, 0
	s_mov_b32 s28, exec_lo
	v_cmpx_ne_u32_e32 0, v3
	s_cbranch_execz .LBB6_4028
; %bb.4021:                             ;   in Loop: Header=BB6_3974 Depth=2
	v_bfe_u32 v31, v3, 23, 8
	v_and_b32_e32 v3, 0x7fffff, v3
	s_delay_alu instid0(VALU_DEP_2) | instskip(SKIP_1) | instid1(VALU_DEP_3)
	v_sub_nc_u32_e32 v54, 0x79, v31
	v_cmp_gt_u32_e32 vcc_lo, 0x7a, v31
	v_or_b32_e32 v66, 0x800000, v3
	s_delay_alu instid0(VALU_DEP_3) | instskip(SKIP_1) | instid1(VALU_DEP_3)
	v_cndmask_b32_e32 v54, 0, v54, vcc_lo
	v_cmp_eq_u32_e32 vcc_lo, 0, v31
	v_cndmask_b32_e32 v86, v66, v3, vcc_lo
	s_delay_alu instid0(VALU_DEP_3) | instskip(NEXT) | instid1(VALU_DEP_1)
	v_cndmask_b32_e64 v54, v54, 0x78, vcc_lo
	v_add_nc_u32_e32 v55, 20, v54
	s_delay_alu instid0(VALU_DEP_3) | instskip(NEXT) | instid1(VALU_DEP_2)
	v_lshrrev_b64 v[56:57], v54, v[86:87]
	v_lshlrev_b64_e64 v[102:103], v55, -1
	v_add_nc_u32_e32 v55, 19, v54
	s_delay_alu instid0(VALU_DEP_1) | instskip(NEXT) | instid1(VALU_DEP_3)
	v_lshlrev_b64_e64 v[58:59], v55, 1
	v_bfi_b32 v103, v103, 0, 0
	s_delay_alu instid0(VALU_DEP_4) | instskip(NEXT) | instid1(VALU_DEP_1)
	v_bfi_b32 v102, v102, 0, v86
	v_cmp_eq_u64_e64 s7, v[102:103], v[58:59]
	v_mov_b64_e32 v[58:59], v[56:57]
	s_and_saveexec_b32 s29, s7
; %bb.4022:                             ;   in Loop: Header=BB6_3974 Depth=2
	v_bfe_u32 v86, v56, 20, 1
	s_delay_alu instid0(VALU_DEP_1) | instskip(NEXT) | instid1(VALU_DEP_1)
	v_add_nc_u64_e32 v[102:103], v[56:57], v[86:87]
	v_add_nc_u64_e32 v[58:59], -1, v[102:103]
; %bb.4023:                             ;   in Loop: Header=BB6_3974 Depth=2
	s_or_b32 exec_lo, exec_lo, s29
	v_add_nc_u32_e32 v3, 0xffffff81, v31
	v_lshrrev_b32_e32 v31, 23, v56
	s_mov_b32 s7, exec_lo
	s_delay_alu instid0(VALU_DEP_2) | instskip(NEXT) | instid1(VALU_DEP_1)
	v_cndmask_b32_e64 v3, v3, 0xffffff82, vcc_lo
	v_add3_u32 v31, v54, v3, v31
	v_and_b32_e32 v3, 0xfffff, v58
	s_delay_alu instid0(VALU_DEP_1) | instskip(NEXT) | instid1(VALU_DEP_1)
	v_dual_add_nc_u32 v54, 6, v31 :: v_dual_add_nc_u32 v86, v3, v56
                                        ; implicit-def: $vgpr56_vgpr57
                                        ; implicit-def: $vgpr3
	v_cmpx_ne_u32_e32 0, v54
	s_xor_b32 s7, exec_lo, s7
; %bb.4024:                             ;   in Loop: Header=BB6_3974 Depth=2
	s_delay_alu instid0(VALU_DEP_2) | instskip(SKIP_2) | instid1(VALU_DEP_2)
	v_cmp_lt_u64_e32 vcc_lo, 0xffffff, v[86:87]
	v_add_nc_u32_e32 v3, 7, v31
	v_cndmask_b32_e64 v31, 0, 1, vcc_lo
	v_cndmask_b32_e32 v3, v54, v3, vcc_lo
	s_delay_alu instid0(VALU_DEP_2)
	v_lshrrev_b64 v[56:57], v31, v[86:87]
; %bb.4025:                             ;   in Loop: Header=BB6_3974 Depth=2
	s_and_not1_saveexec_b32 s7, s7
; %bb.4026:                             ;   in Loop: Header=BB6_3974 Depth=2
	v_mov_b64_e32 v[56:57], v[86:87]
	v_bfe_u32 v3, v86, 23, 1
; %bb.4027:                             ;   in Loop: Header=BB6_3974 Depth=2
	s_or_b32 exec_lo, exec_lo, s7
	s_delay_alu instid0(VALU_DEP_2) | instskip(NEXT) | instid1(VALU_DEP_2)
	v_lshrrev_b64 v[54:55], 20, v[56:57]
	v_cmp_gt_i32_e32 vcc_lo, 16, v3
	v_min_i32_e32 v31, 15, v3
	v_cmp_eq_u32_e64 s7, 0, v3
	s_delay_alu instid0(VALU_DEP_2) | instskip(SKIP_1) | instid1(VALU_DEP_2)
	v_dual_cndmask_b32 v54, 7, v54 :: v_dual_lshlrev_b32 v31, 3, v31
	v_cndmask_b32_e32 v55, 0, v55, vcc_lo
	v_and_b32_e32 v31, 0xf8, v31
	s_delay_alu instid0(VALU_DEP_2) | instskip(NEXT) | instid1(VALU_DEP_2)
	v_cmp_eq_u64_e32 vcc_lo, 0, v[54:55]
	v_and_or_b32 v3, v54, 7, v31
	s_and_b32 s7, s7, vcc_lo
	s_delay_alu instid0(VALU_DEP_1) | instid1(SALU_CYCLE_1)
	v_cndmask_b32_e64 v3, v3, 0, s7
	s_delay_alu instid0(VALU_DEP_1)
	v_or_b32_e32 v76, v3, v2
.LBB6_4028:                             ;   in Loop: Header=BB6_3974 Depth=2
	s_or_b32 exec_lo, exec_lo, s28
                                        ; implicit-def: $vgpr2
.LBB6_4029:                             ;   in Loop: Header=BB6_3974 Depth=2
	s_and_not1_saveexec_b32 s7, s27
; %bb.4030:                             ;   in Loop: Header=BB6_3974 Depth=2
	v_or_b32_e32 v76, 0x7e, v2
; %bb.4031:                             ;   in Loop: Header=BB6_3974 Depth=2
	s_or_b32 exec_lo, exec_lo, s7
                                        ; implicit-def: $vgpr2
.LBB6_4032:                             ;   in Loop: Header=BB6_3974 Depth=2
	s_and_not1_saveexec_b32 s7, s26
; %bb.4033:                             ;   in Loop: Header=BB6_3974 Depth=2
	v_or_b32_e32 v76, 0x7f, v2
; %bb.4034:                             ;   in Loop: Header=BB6_3974 Depth=2
	s_or_b32 exec_lo, exec_lo, s7
	v_dual_mov_b32 v2, 0 :: v_dual_lshrrev_b32 v31, 16, v48
	v_mov_b32_e32 v3, 0
	s_mov_b32 s7, exec_lo
	s_delay_alu instid0(VALU_DEP_2) | instskip(NEXT) | instid1(VALU_DEP_1)
	v_and_b32_e32 v54, 0xff, v31
	v_cmpx_ne_u16_e32 0, v54
	s_cbranch_execz .LBB6_4042
; %bb.4035:                             ;   in Loop: Header=BB6_3974 Depth=2
	v_bfrev_b32_e32 v3, 1
	s_mov_b32 s26, exec_lo
	v_cmpx_ne_u16_e32 0x80, v54
	s_cbranch_execz .LBB6_4041
; %bb.4036:                             ;   in Loop: Header=BB6_3974 Depth=2
	v_bfe_u32 v54, v48, 16, 7
	v_mov_b32_e32 v3, 0x7f800001
	s_mov_b32 s27, exec_lo
	s_delay_alu instid0(VALU_DEP_2)
	v_cmpx_ne_u32_e32 0x7f, v54
	s_cbranch_execz .LBB6_4040
; %bb.4037:                             ;   in Loop: Header=BB6_3974 Depth=2
	v_dual_lshrrev_b32 v3, 3, v54 :: v_dual_bitop2_b32 v86, 7, v31 bitop3:0x40
	s_mov_b32 s28, exec_lo
	v_cmpx_gt_u32_e32 8, v54
; %bb.4038:                             ;   in Loop: Header=BB6_3974 Depth=2
	s_delay_alu instid0(VALU_DEP_2) | instskip(NEXT) | instid1(VALU_DEP_1)
	v_clz_i32_u32_e32 v3, v86
	v_min_u32_e32 v3, 32, v3
	s_delay_alu instid0(VALU_DEP_1) | instskip(NEXT) | instid1(VALU_DEP_1)
	v_subrev_nc_u32_e32 v54, 28, v3
	v_lshlrev_b64_e32 v[54:55], v54, v[86:87]
	s_delay_alu instid0(VALU_DEP_1)
	v_dual_sub_nc_u32 v3, 29, v3 :: v_dual_bitop2_b32 v86, 7, v54 bitop3:0x40
; %bb.4039:                             ;   in Loop: Header=BB6_3974 Depth=2
	s_or_b32 exec_lo, exec_lo, s28
	s_delay_alu instid0(VALU_DEP_1) | instskip(NEXT) | instid1(VALU_DEP_2)
	v_dual_lshlrev_b32 v31, 24, v31 :: v_dual_lshlrev_b32 v54, 20, v86
	v_lshl_add_u32 v3, v3, 23, 0x3c000000
	s_delay_alu instid0(VALU_DEP_2) | instskip(NEXT) | instid1(VALU_DEP_1)
	v_and_b32_e32 v31, 0x80000000, v31
	v_or3_b32 v3, v54, v31, v3
.LBB6_4040:                             ;   in Loop: Header=BB6_3974 Depth=2
	s_or_b32 exec_lo, exec_lo, s27
.LBB6_4041:                             ;   in Loop: Header=BB6_3974 Depth=2
	s_delay_alu instid0(SALU_CYCLE_1)
	s_or_b32 exec_lo, exec_lo, s26
.LBB6_4042:                             ;   in Loop: Header=BB6_3974 Depth=2
	s_delay_alu instid0(SALU_CYCLE_1) | instskip(SKIP_2) | instid1(VALU_DEP_1)
	s_or_b32 exec_lo, exec_lo, s7
	v_lshrrev_b32_e32 v31, 16, v36
	s_mov_b32 s7, exec_lo
	v_and_b32_e32 v54, 0xff, v31
	s_delay_alu instid0(VALU_DEP_1)
	v_cmpx_ne_u16_e32 0, v54
	s_cbranch_execz .LBB6_4050
; %bb.4043:                             ;   in Loop: Header=BB6_3974 Depth=2
	v_bfrev_b32_e32 v2, 1
	s_mov_b32 s26, exec_lo
	v_cmpx_ne_u16_e32 0x80, v54
	s_cbranch_execz .LBB6_4049
; %bb.4044:                             ;   in Loop: Header=BB6_3974 Depth=2
	v_bfe_u32 v54, v36, 16, 7
	v_mov_b32_e32 v2, 0x7f800001
	s_mov_b32 s27, exec_lo
	s_delay_alu instid0(VALU_DEP_2)
	v_cmpx_ne_u32_e32 0x7f, v54
	s_cbranch_execz .LBB6_4048
; %bb.4045:                             ;   in Loop: Header=BB6_3974 Depth=2
	v_dual_lshrrev_b32 v2, 3, v54 :: v_dual_bitop2_b32 v86, 7, v31 bitop3:0x40
	s_mov_b32 s28, exec_lo
	v_cmpx_gt_u32_e32 8, v54
; %bb.4046:                             ;   in Loop: Header=BB6_3974 Depth=2
	s_delay_alu instid0(VALU_DEP_2) | instskip(NEXT) | instid1(VALU_DEP_1)
	v_clz_i32_u32_e32 v2, v86
	v_min_u32_e32 v2, 32, v2
	s_delay_alu instid0(VALU_DEP_1) | instskip(SKIP_1) | instid1(VALU_DEP_2)
	v_subrev_nc_u32_e32 v31, 28, v2
	v_sub_nc_u32_e32 v2, 29, v2
	v_lshlrev_b64_e32 v[54:55], v31, v[86:87]
	s_delay_alu instid0(VALU_DEP_1)
	v_and_b32_e32 v86, 7, v54
; %bb.4047:                             ;   in Loop: Header=BB6_3974 Depth=2
	s_or_b32 exec_lo, exec_lo, s28
	s_delay_alu instid0(VALU_DEP_1) | instskip(SKIP_1) | instid1(VALU_DEP_2)
	v_dual_lshlrev_b32 v31, 8, v36 :: v_dual_lshlrev_b32 v54, 20, v86
	v_lshl_add_u32 v2, v2, 23, 0x3c000000
	v_and_b32_e32 v31, 0x80000000, v31
	s_delay_alu instid0(VALU_DEP_1)
	v_or3_b32 v2, v54, v31, v2
.LBB6_4048:                             ;   in Loop: Header=BB6_3974 Depth=2
	s_or_b32 exec_lo, exec_lo, s27
.LBB6_4049:                             ;   in Loop: Header=BB6_3974 Depth=2
	s_delay_alu instid0(SALU_CYCLE_1)
	s_or_b32 exec_lo, exec_lo, s26
.LBB6_4050:                             ;   in Loop: Header=BB6_3974 Depth=2
	s_delay_alu instid0(SALU_CYCLE_1) | instskip(NEXT) | instid1(VALU_DEP_1)
	s_or_b32 exec_lo, exec_lo, s7
	v_mul_f32_e32 v3, v3, v2
                                        ; implicit-def: $vgpr77
	s_mov_b32 s7, exec_lo
	s_delay_alu instid0(VALU_DEP_1) | instskip(SKIP_1) | instid1(VALU_DEP_2)
	v_and_b32_e32 v86, 0x7f800000, v3
	v_lshrrev_b32_e32 v2, 24, v3
	v_cmpx_ne_u64_e32 0x7f800000, v[86:87]
	s_xor_b32 s26, exec_lo, s7
	s_cbranch_execz .LBB6_4064
; %bb.4051:                             ;   in Loop: Header=BB6_3974 Depth=2
	v_and_b32_e32 v86, 0x7fffffff, v3
	v_and_b32_e32 v2, 0x80, v2
                                        ; implicit-def: $vgpr77
	s_mov_b32 s7, exec_lo
	s_delay_alu instid0(VALU_DEP_2)
	v_cmpx_gt_u64_e32 0x43e00001, v[86:87]
	s_xor_b32 s27, exec_lo, s7
	s_cbranch_execz .LBB6_4061
; %bb.4052:                             ;   in Loop: Header=BB6_3974 Depth=2
	v_mov_b32_e32 v77, 0
	s_mov_b32 s28, exec_lo
	v_cmpx_ne_u32_e32 0, v3
	s_cbranch_execz .LBB6_4060
; %bb.4053:                             ;   in Loop: Header=BB6_3974 Depth=2
	v_bfe_u32 v31, v3, 23, 8
	v_and_b32_e32 v3, 0x7fffff, v3
	s_delay_alu instid0(VALU_DEP_2) | instskip(SKIP_1) | instid1(VALU_DEP_3)
	v_sub_nc_u32_e32 v54, 0x79, v31
	v_cmp_gt_u32_e32 vcc_lo, 0x7a, v31
	v_or_b32_e32 v66, 0x800000, v3
	s_delay_alu instid0(VALU_DEP_3) | instskip(SKIP_1) | instid1(VALU_DEP_3)
	v_cndmask_b32_e32 v54, 0, v54, vcc_lo
	v_cmp_eq_u32_e32 vcc_lo, 0, v31
	v_cndmask_b32_e32 v86, v66, v3, vcc_lo
	s_delay_alu instid0(VALU_DEP_3) | instskip(NEXT) | instid1(VALU_DEP_1)
	v_cndmask_b32_e64 v54, v54, 0x78, vcc_lo
	v_add_nc_u32_e32 v55, 20, v54
	s_delay_alu instid0(VALU_DEP_3) | instskip(NEXT) | instid1(VALU_DEP_2)
	v_lshrrev_b64 v[56:57], v54, v[86:87]
	v_lshlrev_b64_e64 v[102:103], v55, -1
	v_add_nc_u32_e32 v55, 19, v54
	s_delay_alu instid0(VALU_DEP_1) | instskip(NEXT) | instid1(VALU_DEP_3)
	v_lshlrev_b64_e64 v[58:59], v55, 1
	v_bfi_b32 v103, v103, 0, 0
	s_delay_alu instid0(VALU_DEP_4) | instskip(NEXT) | instid1(VALU_DEP_1)
	v_bfi_b32 v102, v102, 0, v86
	v_cmp_eq_u64_e64 s7, v[102:103], v[58:59]
	v_mov_b64_e32 v[58:59], v[56:57]
	s_and_saveexec_b32 s29, s7
; %bb.4054:                             ;   in Loop: Header=BB6_3974 Depth=2
	v_bfe_u32 v86, v56, 20, 1
	s_delay_alu instid0(VALU_DEP_1) | instskip(NEXT) | instid1(VALU_DEP_1)
	v_add_nc_u64_e32 v[102:103], v[56:57], v[86:87]
	v_add_nc_u64_e32 v[58:59], -1, v[102:103]
; %bb.4055:                             ;   in Loop: Header=BB6_3974 Depth=2
	s_or_b32 exec_lo, exec_lo, s29
	v_add_nc_u32_e32 v3, 0xffffff81, v31
	v_lshrrev_b32_e32 v31, 23, v56
	s_mov_b32 s7, exec_lo
	s_delay_alu instid0(VALU_DEP_2) | instskip(NEXT) | instid1(VALU_DEP_1)
	v_cndmask_b32_e64 v3, v3, 0xffffff82, vcc_lo
	v_add3_u32 v31, v54, v3, v31
	v_and_b32_e32 v3, 0xfffff, v58
	s_delay_alu instid0(VALU_DEP_1) | instskip(NEXT) | instid1(VALU_DEP_1)
	v_dual_add_nc_u32 v54, 6, v31 :: v_dual_add_nc_u32 v86, v3, v56
                                        ; implicit-def: $vgpr56_vgpr57
                                        ; implicit-def: $vgpr3
	v_cmpx_ne_u32_e32 0, v54
	s_xor_b32 s7, exec_lo, s7
; %bb.4056:                             ;   in Loop: Header=BB6_3974 Depth=2
	s_delay_alu instid0(VALU_DEP_2) | instskip(SKIP_2) | instid1(VALU_DEP_2)
	v_cmp_lt_u64_e32 vcc_lo, 0xffffff, v[86:87]
	v_add_nc_u32_e32 v3, 7, v31
	v_cndmask_b32_e64 v31, 0, 1, vcc_lo
	v_cndmask_b32_e32 v3, v54, v3, vcc_lo
	s_delay_alu instid0(VALU_DEP_2)
	v_lshrrev_b64 v[56:57], v31, v[86:87]
; %bb.4057:                             ;   in Loop: Header=BB6_3974 Depth=2
	s_and_not1_saveexec_b32 s7, s7
; %bb.4058:                             ;   in Loop: Header=BB6_3974 Depth=2
	v_mov_b64_e32 v[56:57], v[86:87]
	v_bfe_u32 v3, v86, 23, 1
; %bb.4059:                             ;   in Loop: Header=BB6_3974 Depth=2
	s_or_b32 exec_lo, exec_lo, s7
	s_delay_alu instid0(VALU_DEP_2) | instskip(NEXT) | instid1(VALU_DEP_2)
	v_lshrrev_b64 v[54:55], 20, v[56:57]
	v_cmp_gt_i32_e32 vcc_lo, 16, v3
	v_min_i32_e32 v31, 15, v3
	v_cmp_eq_u32_e64 s7, 0, v3
	s_delay_alu instid0(VALU_DEP_2) | instskip(SKIP_1) | instid1(VALU_DEP_2)
	v_dual_cndmask_b32 v54, 7, v54 :: v_dual_lshlrev_b32 v31, 3, v31
	v_cndmask_b32_e32 v55, 0, v55, vcc_lo
	v_and_b32_e32 v31, 0xf8, v31
	s_delay_alu instid0(VALU_DEP_2) | instskip(NEXT) | instid1(VALU_DEP_2)
	v_cmp_eq_u64_e32 vcc_lo, 0, v[54:55]
	v_and_or_b32 v3, v54, 7, v31
	s_and_b32 s7, s7, vcc_lo
	s_delay_alu instid0(VALU_DEP_1) | instid1(SALU_CYCLE_1)
	v_cndmask_b32_e64 v3, v3, 0, s7
	s_delay_alu instid0(VALU_DEP_1)
	v_or_b32_e32 v77, v3, v2
.LBB6_4060:                             ;   in Loop: Header=BB6_3974 Depth=2
	s_or_b32 exec_lo, exec_lo, s28
                                        ; implicit-def: $vgpr2
.LBB6_4061:                             ;   in Loop: Header=BB6_3974 Depth=2
	s_and_not1_saveexec_b32 s7, s27
; %bb.4062:                             ;   in Loop: Header=BB6_3974 Depth=2
	v_or_b32_e32 v77, 0x7e, v2
; %bb.4063:                             ;   in Loop: Header=BB6_3974 Depth=2
	s_or_b32 exec_lo, exec_lo, s7
                                        ; implicit-def: $vgpr2
.LBB6_4064:                             ;   in Loop: Header=BB6_3974 Depth=2
	s_and_not1_saveexec_b32 s7, s26
; %bb.4065:                             ;   in Loop: Header=BB6_3974 Depth=2
	v_or_b32_e32 v77, 0x7f, v2
; %bb.4066:                             ;   in Loop: Header=BB6_3974 Depth=2
	s_or_b32 exec_lo, exec_lo, s7
	v_dual_mov_b32 v2, 0 :: v_dual_mov_b32 v3, 0
	s_mov_b32 s7, exec_lo
	v_cmpx_lt_u32_e32 0xffffff, v48
	s_cbranch_execz .LBB6_4074
; %bb.4067:                             ;   in Loop: Header=BB6_3974 Depth=2
	v_lshrrev_b32_e32 v31, 24, v48
	v_bfrev_b32_e32 v3, 1
	s_mov_b32 s26, exec_lo
	s_delay_alu instid0(VALU_DEP_2)
	v_cmpx_ne_u32_e32 0x80, v31
	s_cbranch_execz .LBB6_4073
; %bb.4068:                             ;   in Loop: Header=BB6_3974 Depth=2
	v_bfe_u32 v54, v48, 24, 7
	v_mov_b32_e32 v3, 0x7f800001
	s_mov_b32 s27, exec_lo
	s_delay_alu instid0(VALU_DEP_2)
	v_cmpx_ne_u32_e32 0x7f, v54
	s_cbranch_execz .LBB6_4072
; %bb.4069:                             ;   in Loop: Header=BB6_3974 Depth=2
	v_dual_lshrrev_b32 v3, 3, v54 :: v_dual_bitop2_b32 v86, 7, v31 bitop3:0x40
	s_mov_b32 s28, exec_lo
	v_cmpx_gt_u32_e32 8, v54
; %bb.4070:                             ;   in Loop: Header=BB6_3974 Depth=2
	s_delay_alu instid0(VALU_DEP_2) | instskip(NEXT) | instid1(VALU_DEP_1)
	v_clz_i32_u32_e32 v3, v86
	v_min_u32_e32 v3, 32, v3
	s_delay_alu instid0(VALU_DEP_1) | instskip(NEXT) | instid1(VALU_DEP_1)
	v_subrev_nc_u32_e32 v54, 28, v3
	v_lshlrev_b64_e32 v[54:55], v54, v[86:87]
	s_delay_alu instid0(VALU_DEP_1)
	v_dual_sub_nc_u32 v3, 29, v3 :: v_dual_bitop2_b32 v86, 7, v54 bitop3:0x40
; %bb.4071:                             ;   in Loop: Header=BB6_3974 Depth=2
	s_or_b32 exec_lo, exec_lo, s28
	s_delay_alu instid0(VALU_DEP_1) | instskip(NEXT) | instid1(VALU_DEP_2)
	v_dual_lshlrev_b32 v31, 24, v31 :: v_dual_lshlrev_b32 v54, 20, v86
	v_lshl_add_u32 v3, v3, 23, 0x3c000000
	s_delay_alu instid0(VALU_DEP_2) | instskip(NEXT) | instid1(VALU_DEP_1)
	v_and_b32_e32 v31, 0x80000000, v31
	v_or3_b32 v3, v54, v31, v3
.LBB6_4072:                             ;   in Loop: Header=BB6_3974 Depth=2
	s_or_b32 exec_lo, exec_lo, s27
.LBB6_4073:                             ;   in Loop: Header=BB6_3974 Depth=2
	s_delay_alu instid0(SALU_CYCLE_1)
	s_or_b32 exec_lo, exec_lo, s26
.LBB6_4074:                             ;   in Loop: Header=BB6_3974 Depth=2
	s_delay_alu instid0(SALU_CYCLE_1) | instskip(NEXT) | instid1(SALU_CYCLE_1)
	s_or_b32 exec_lo, exec_lo, s7
	s_mov_b32 s7, exec_lo
	v_cmpx_lt_u32_e32 0xffffff, v36
	s_cbranch_execz .LBB6_4082
; %bb.4075:                             ;   in Loop: Header=BB6_3974 Depth=2
	v_lshrrev_b32_e32 v31, 24, v36
	v_bfrev_b32_e32 v2, 1
	s_mov_b32 s26, exec_lo
	s_delay_alu instid0(VALU_DEP_2)
	v_cmpx_ne_u32_e32 0x80, v31
	s_cbranch_execz .LBB6_4081
; %bb.4076:                             ;   in Loop: Header=BB6_3974 Depth=2
	v_bfe_u32 v54, v36, 24, 7
	v_mov_b32_e32 v2, 0x7f800001
	s_mov_b32 s27, exec_lo
	s_delay_alu instid0(VALU_DEP_2)
	v_cmpx_ne_u32_e32 0x7f, v54
	s_cbranch_execz .LBB6_4080
; %bb.4077:                             ;   in Loop: Header=BB6_3974 Depth=2
	v_dual_lshrrev_b32 v2, 3, v54 :: v_dual_bitop2_b32 v86, 7, v31 bitop3:0x40
	s_mov_b32 s28, exec_lo
	v_cmpx_gt_u32_e32 8, v54
; %bb.4078:                             ;   in Loop: Header=BB6_3974 Depth=2
	s_delay_alu instid0(VALU_DEP_2) | instskip(NEXT) | instid1(VALU_DEP_1)
	v_clz_i32_u32_e32 v2, v86
	v_min_u32_e32 v2, 32, v2
	s_delay_alu instid0(VALU_DEP_1) | instskip(SKIP_1) | instid1(VALU_DEP_2)
	v_subrev_nc_u32_e32 v54, 28, v2
	v_sub_nc_u32_e32 v2, 29, v2
	v_lshlrev_b64_e32 v[54:55], v54, v[86:87]
	s_delay_alu instid0(VALU_DEP_1)
	v_and_b32_e32 v86, 7, v54
; %bb.4079:                             ;   in Loop: Header=BB6_3974 Depth=2
	s_or_b32 exec_lo, exec_lo, s28
	s_delay_alu instid0(VALU_DEP_1) | instskip(SKIP_1) | instid1(VALU_DEP_2)
	v_dual_lshlrev_b32 v31, 24, v31 :: v_dual_lshlrev_b32 v54, 20, v86
	v_lshl_add_u32 v2, v2, 23, 0x3c000000
	v_and_b32_e32 v31, 0x80000000, v31
	s_delay_alu instid0(VALU_DEP_1)
	v_or3_b32 v2, v54, v31, v2
.LBB6_4080:                             ;   in Loop: Header=BB6_3974 Depth=2
	s_or_b32 exec_lo, exec_lo, s27
.LBB6_4081:                             ;   in Loop: Header=BB6_3974 Depth=2
	s_delay_alu instid0(SALU_CYCLE_1)
	s_or_b32 exec_lo, exec_lo, s26
.LBB6_4082:                             ;   in Loop: Header=BB6_3974 Depth=2
	s_delay_alu instid0(SALU_CYCLE_1) | instskip(NEXT) | instid1(VALU_DEP_1)
	s_or_b32 exec_lo, exec_lo, s7
	v_mul_f32_e32 v3, v3, v2
                                        ; implicit-def: $vgpr78
	s_mov_b32 s7, exec_lo
	s_delay_alu instid0(VALU_DEP_1) | instskip(SKIP_1) | instid1(VALU_DEP_2)
	v_and_b32_e32 v86, 0x7f800000, v3
	v_lshrrev_b32_e32 v2, 24, v3
	v_cmpx_ne_u64_e32 0x7f800000, v[86:87]
	s_xor_b32 s26, exec_lo, s7
	s_cbranch_execz .LBB6_4096
; %bb.4083:                             ;   in Loop: Header=BB6_3974 Depth=2
	v_and_b32_e32 v86, 0x7fffffff, v3
	v_and_b32_e32 v2, 0x80, v2
                                        ; implicit-def: $vgpr78
	s_mov_b32 s7, exec_lo
	s_delay_alu instid0(VALU_DEP_2)
	v_cmpx_gt_u64_e32 0x43e00001, v[86:87]
	s_xor_b32 s27, exec_lo, s7
	s_cbranch_execz .LBB6_4093
; %bb.4084:                             ;   in Loop: Header=BB6_3974 Depth=2
	v_mov_b32_e32 v78, 0
	s_mov_b32 s28, exec_lo
	v_cmpx_ne_u32_e32 0, v3
	s_cbranch_execz .LBB6_4092
; %bb.4085:                             ;   in Loop: Header=BB6_3974 Depth=2
	v_bfe_u32 v31, v3, 23, 8
	v_and_b32_e32 v3, 0x7fffff, v3
	s_delay_alu instid0(VALU_DEP_2) | instskip(SKIP_1) | instid1(VALU_DEP_3)
	v_sub_nc_u32_e32 v54, 0x79, v31
	v_cmp_gt_u32_e32 vcc_lo, 0x7a, v31
	v_or_b32_e32 v66, 0x800000, v3
	s_delay_alu instid0(VALU_DEP_3) | instskip(SKIP_1) | instid1(VALU_DEP_3)
	v_cndmask_b32_e32 v54, 0, v54, vcc_lo
	v_cmp_eq_u32_e32 vcc_lo, 0, v31
	v_cndmask_b32_e32 v86, v66, v3, vcc_lo
	s_delay_alu instid0(VALU_DEP_3) | instskip(NEXT) | instid1(VALU_DEP_1)
	v_cndmask_b32_e64 v54, v54, 0x78, vcc_lo
	v_add_nc_u32_e32 v55, 20, v54
	s_delay_alu instid0(VALU_DEP_3) | instskip(NEXT) | instid1(VALU_DEP_2)
	v_lshrrev_b64 v[56:57], v54, v[86:87]
	v_lshlrev_b64_e64 v[102:103], v55, -1
	v_add_nc_u32_e32 v55, 19, v54
	s_delay_alu instid0(VALU_DEP_1) | instskip(NEXT) | instid1(VALU_DEP_3)
	v_lshlrev_b64_e64 v[58:59], v55, 1
	v_bfi_b32 v103, v103, 0, 0
	s_delay_alu instid0(VALU_DEP_4) | instskip(NEXT) | instid1(VALU_DEP_1)
	v_bfi_b32 v102, v102, 0, v86
	v_cmp_eq_u64_e64 s7, v[102:103], v[58:59]
	v_mov_b64_e32 v[58:59], v[56:57]
	s_and_saveexec_b32 s29, s7
; %bb.4086:                             ;   in Loop: Header=BB6_3974 Depth=2
	v_bfe_u32 v86, v56, 20, 1
	s_delay_alu instid0(VALU_DEP_1) | instskip(NEXT) | instid1(VALU_DEP_1)
	v_add_nc_u64_e32 v[102:103], v[56:57], v[86:87]
	v_add_nc_u64_e32 v[58:59], -1, v[102:103]
; %bb.4087:                             ;   in Loop: Header=BB6_3974 Depth=2
	s_or_b32 exec_lo, exec_lo, s29
	v_add_nc_u32_e32 v3, 0xffffff81, v31
	v_lshrrev_b32_e32 v31, 23, v56
	s_mov_b32 s7, exec_lo
	s_delay_alu instid0(VALU_DEP_2) | instskip(NEXT) | instid1(VALU_DEP_1)
	v_cndmask_b32_e64 v3, v3, 0xffffff82, vcc_lo
	v_add3_u32 v31, v54, v3, v31
	v_and_b32_e32 v3, 0xfffff, v58
	s_delay_alu instid0(VALU_DEP_1) | instskip(NEXT) | instid1(VALU_DEP_1)
	v_dual_add_nc_u32 v54, 6, v31 :: v_dual_add_nc_u32 v86, v3, v56
                                        ; implicit-def: $vgpr56_vgpr57
                                        ; implicit-def: $vgpr3
	v_cmpx_ne_u32_e32 0, v54
	s_xor_b32 s7, exec_lo, s7
; %bb.4088:                             ;   in Loop: Header=BB6_3974 Depth=2
	s_delay_alu instid0(VALU_DEP_2) | instskip(SKIP_2) | instid1(VALU_DEP_2)
	v_cmp_lt_u64_e32 vcc_lo, 0xffffff, v[86:87]
	v_add_nc_u32_e32 v3, 7, v31
	v_cndmask_b32_e64 v31, 0, 1, vcc_lo
	v_cndmask_b32_e32 v3, v54, v3, vcc_lo
	s_delay_alu instid0(VALU_DEP_2)
	v_lshrrev_b64 v[56:57], v31, v[86:87]
; %bb.4089:                             ;   in Loop: Header=BB6_3974 Depth=2
	s_and_not1_saveexec_b32 s7, s7
; %bb.4090:                             ;   in Loop: Header=BB6_3974 Depth=2
	v_mov_b64_e32 v[56:57], v[86:87]
	v_bfe_u32 v3, v86, 23, 1
; %bb.4091:                             ;   in Loop: Header=BB6_3974 Depth=2
	s_or_b32 exec_lo, exec_lo, s7
	s_delay_alu instid0(VALU_DEP_2) | instskip(NEXT) | instid1(VALU_DEP_2)
	v_lshrrev_b64 v[54:55], 20, v[56:57]
	v_cmp_gt_i32_e32 vcc_lo, 16, v3
	v_min_i32_e32 v31, 15, v3
	v_cmp_eq_u32_e64 s7, 0, v3
	s_delay_alu instid0(VALU_DEP_2) | instskip(SKIP_1) | instid1(VALU_DEP_2)
	v_dual_cndmask_b32 v54, 7, v54 :: v_dual_lshlrev_b32 v31, 3, v31
	v_cndmask_b32_e32 v55, 0, v55, vcc_lo
	v_and_b32_e32 v31, 0xf8, v31
	s_delay_alu instid0(VALU_DEP_2) | instskip(NEXT) | instid1(VALU_DEP_2)
	v_cmp_eq_u64_e32 vcc_lo, 0, v[54:55]
	v_and_or_b32 v3, v54, 7, v31
	s_and_b32 s7, s7, vcc_lo
	s_delay_alu instid0(VALU_DEP_1) | instid1(SALU_CYCLE_1)
	v_cndmask_b32_e64 v3, v3, 0, s7
	s_delay_alu instid0(VALU_DEP_1)
	v_or_b32_e32 v78, v3, v2
.LBB6_4092:                             ;   in Loop: Header=BB6_3974 Depth=2
	s_or_b32 exec_lo, exec_lo, s28
                                        ; implicit-def: $vgpr2
.LBB6_4093:                             ;   in Loop: Header=BB6_3974 Depth=2
	s_and_not1_saveexec_b32 s7, s27
; %bb.4094:                             ;   in Loop: Header=BB6_3974 Depth=2
	v_or_b32_e32 v78, 0x7e, v2
; %bb.4095:                             ;   in Loop: Header=BB6_3974 Depth=2
	s_or_b32 exec_lo, exec_lo, s7
                                        ; implicit-def: $vgpr2
.LBB6_4096:                             ;   in Loop: Header=BB6_3974 Depth=2
	s_and_not1_saveexec_b32 s7, s26
; %bb.4097:                             ;   in Loop: Header=BB6_3974 Depth=2
	v_or_b32_e32 v78, 0x7f, v2
; %bb.4098:                             ;   in Loop: Header=BB6_3974 Depth=2
	s_or_b32 exec_lo, exec_lo, s7
	v_and_b32_e32 v31, 0xff, v49
	v_dual_mov_b32 v86, v49 :: v_dual_mov_b32 v3, 0
	v_mov_b32_e32 v2, 0
	s_mov_b32 s7, exec_lo
	s_delay_alu instid0(VALU_DEP_3)
	v_cmpx_ne_u16_e32 0, v31
	s_cbranch_execz .LBB6_4104
; %bb.4099:                             ;   in Loop: Header=BB6_3974 Depth=2
	v_bfrev_b32_e32 v2, 1
	s_mov_b32 s26, exec_lo
	v_cmpx_ne_u16_e32 0x80, v31
	s_cbranch_execz .LBB6_4103
; %bb.4100:                             ;   in Loop: Header=BB6_3974 Depth=2
	v_and_b32_e32 v31, 0x7f, v49
	v_mov_b32_e32 v2, 0x7f800001
	s_mov_b32 s27, exec_lo
	s_delay_alu instid0(VALU_DEP_2)
	v_cmpx_ne_u32_e32 0x7f, v31
	s_cbranch_execz .LBB6_4102
; %bb.4101:                             ;   in Loop: Header=BB6_3974 Depth=2
	v_dual_lshrrev_b32 v54, 3, v31 :: v_dual_bitop2_b32 v2, 7, v49 bitop3:0x40
	v_cmp_gt_u32_e32 vcc_lo, 8, v31
	s_delay_alu instid0(VALU_DEP_2) | instskip(NEXT) | instid1(VALU_DEP_1)
	v_clz_i32_u32_e32 v2, v2
	v_min_u32_e32 v2, 32, v2
	s_delay_alu instid0(VALU_DEP_1) | instskip(NEXT) | instid1(VALU_DEP_1)
	v_subrev_nc_u32_e32 v55, 28, v2
	v_dual_cndmask_b32 v31, 0, v55 :: v_dual_sub_nc_u32 v2, 29, v2
	s_delay_alu instid0(VALU_DEP_1) | instskip(NEXT) | instid1(VALU_DEP_2)
	v_cndmask_b32_e32 v2, v54, v2, vcc_lo
	v_lshlrev_b64_e32 v[54:55], v31, v[86:87]
	v_lshlrev_b32_e32 v31, 24, v86
	s_delay_alu instid0(VALU_DEP_3) | instskip(NEXT) | instid1(VALU_DEP_2)
	v_lshl_add_u32 v2, v2, 23, 0x3c000000
	v_and_b32_e32 v31, 0x80000000, v31
	s_delay_alu instid0(VALU_DEP_4) | instskip(NEXT) | instid1(VALU_DEP_1)
	v_lshlrev_b32_e32 v54, 20, v54
	v_and_b32_e32 v54, 0x700000, v54
	s_delay_alu instid0(VALU_DEP_1)
	v_or3_b32 v2, v54, v31, v2
.LBB6_4102:                             ;   in Loop: Header=BB6_3974 Depth=2
	s_or_b32 exec_lo, exec_lo, s27
.LBB6_4103:                             ;   in Loop: Header=BB6_3974 Depth=2
	s_delay_alu instid0(SALU_CYCLE_1)
	s_or_b32 exec_lo, exec_lo, s26
.LBB6_4104:                             ;   in Loop: Header=BB6_3974 Depth=2
	s_delay_alu instid0(SALU_CYCLE_1) | instskip(SKIP_2) | instid1(VALU_DEP_1)
	s_or_b32 exec_lo, exec_lo, s7
	v_and_b32_e32 v31, 0xff, v37
	s_mov_b32 s7, exec_lo
	v_cmpx_ne_u16_e32 0, v31
	s_cbranch_execz .LBB6_4110
; %bb.4105:                             ;   in Loop: Header=BB6_3974 Depth=2
	v_bfrev_b32_e32 v3, 1
	s_mov_b32 s26, exec_lo
	v_cmpx_ne_u16_e32 0x80, v31
	s_cbranch_execz .LBB6_4109
; %bb.4106:                             ;   in Loop: Header=BB6_3974 Depth=2
	v_and_b32_e32 v31, 0x7f, v37
	v_mov_b32_e32 v3, 0x7f800001
	s_mov_b32 s27, exec_lo
	s_delay_alu instid0(VALU_DEP_2)
	v_cmpx_ne_u32_e32 0x7f, v31
	s_cbranch_execz .LBB6_4108
; %bb.4107:                             ;   in Loop: Header=BB6_3974 Depth=2
	v_dual_lshrrev_b32 v66, 3, v31 :: v_dual_bitop2_b32 v3, 7, v37 bitop3:0x40
	v_cmp_gt_u32_e32 vcc_lo, 8, v31
	v_mov_b32_e32 v54, v37
	s_delay_alu instid0(VALU_DEP_3) | instskip(NEXT) | instid1(VALU_DEP_1)
	v_clz_i32_u32_e32 v3, v3
	v_min_u32_e32 v3, 32, v3
	s_delay_alu instid0(VALU_DEP_1) | instskip(SKIP_1) | instid1(VALU_DEP_2)
	v_sub_nc_u32_e32 v67, 29, v3
	v_subrev_nc_u32_e32 v3, 28, v3
	v_dual_mov_b32 v55, v87 :: v_dual_cndmask_b32 v31, v66, v67, vcc_lo
	s_delay_alu instid0(VALU_DEP_2) | instskip(NEXT) | instid1(VALU_DEP_2)
	v_cndmask_b32_e32 v3, 0, v3, vcc_lo
	v_lshl_add_u32 v31, v31, 23, 0x3c000000
	s_delay_alu instid0(VALU_DEP_2) | instskip(SKIP_1) | instid1(VALU_DEP_1)
	v_lshlrev_b64_e32 v[102:103], v3, v[54:55]
	v_lshlrev_b32_e32 v3, 24, v54
	v_and_b32_e32 v3, 0x80000000, v3
	s_delay_alu instid0(VALU_DEP_3) | instskip(NEXT) | instid1(VALU_DEP_1)
	v_lshlrev_b32_e32 v54, 20, v102
	v_and_b32_e32 v54, 0x700000, v54
	s_delay_alu instid0(VALU_DEP_1)
	v_or3_b32 v3, v54, v3, v31
.LBB6_4108:                             ;   in Loop: Header=BB6_3974 Depth=2
	s_or_b32 exec_lo, exec_lo, s27
.LBB6_4109:                             ;   in Loop: Header=BB6_3974 Depth=2
	s_delay_alu instid0(SALU_CYCLE_1)
	s_or_b32 exec_lo, exec_lo, s26
.LBB6_4110:                             ;   in Loop: Header=BB6_3974 Depth=2
	s_delay_alu instid0(SALU_CYCLE_1) | instskip(NEXT) | instid1(VALU_DEP_1)
	s_or_b32 exec_lo, exec_lo, s7
	v_dual_mul_f32 v3, v2, v3 :: v_dual_mov_b32 v55, v87
                                        ; implicit-def: $vgpr79
	s_mov_b32 s7, exec_lo
	s_delay_alu instid0(VALU_DEP_1) | instskip(SKIP_1) | instid1(VALU_DEP_2)
	v_and_b32_e32 v54, 0x7f800000, v3
	v_lshrrev_b32_e32 v2, 24, v3
	v_cmpx_ne_u64_e32 0x7f800000, v[54:55]
	s_xor_b32 s26, exec_lo, s7
	s_cbranch_execz .LBB6_4124
; %bb.4111:                             ;   in Loop: Header=BB6_3974 Depth=2
	v_and_b32_e32 v54, 0x7fffffff, v3
	v_mov_b32_e32 v55, v87
	v_and_b32_e32 v2, 0x80, v2
                                        ; implicit-def: $vgpr79
	s_mov_b32 s7, exec_lo
	s_delay_alu instid0(VALU_DEP_2)
	v_cmpx_gt_u64_e32 0x43e00001, v[54:55]
	s_xor_b32 s27, exec_lo, s7
	s_cbranch_execz .LBB6_4121
; %bb.4112:                             ;   in Loop: Header=BB6_3974 Depth=2
	v_mov_b32_e32 v79, 0
	s_mov_b32 s28, exec_lo
	v_cmpx_ne_u32_e32 0, v3
	s_cbranch_execz .LBB6_4120
; %bb.4113:                             ;   in Loop: Header=BB6_3974 Depth=2
	v_bfe_u32 v31, v3, 23, 8
	v_and_b32_e32 v3, 0x7fffff, v3
	s_delay_alu instid0(VALU_DEP_2) | instskip(SKIP_1) | instid1(VALU_DEP_3)
	v_dual_mov_b32 v57, v87 :: v_dual_sub_nc_u32 v54, 0x79, v31
	v_cmp_gt_u32_e32 vcc_lo, 0x7a, v31
	v_or_b32_e32 v66, 0x800000, v3
	s_delay_alu instid0(VALU_DEP_3) | instskip(SKIP_1) | instid1(VALU_DEP_3)
	v_cndmask_b32_e32 v54, 0, v54, vcc_lo
	v_cmp_eq_u32_e32 vcc_lo, 0, v31
	v_cndmask_b32_e32 v56, v66, v3, vcc_lo
	s_delay_alu instid0(VALU_DEP_3) | instskip(NEXT) | instid1(VALU_DEP_1)
	v_cndmask_b32_e64 v54, v54, 0x78, vcc_lo
	v_add_nc_u32_e32 v55, 20, v54
	s_delay_alu instid0(VALU_DEP_1) | instskip(SKIP_1) | instid1(VALU_DEP_1)
	v_lshlrev_b64_e64 v[102:103], v55, -1
	v_add_nc_u32_e32 v55, 19, v54
	v_lshlrev_b64_e64 v[58:59], v55, 1
	s_delay_alu instid0(VALU_DEP_3) | instskip(SKIP_2) | instid1(VALU_DEP_1)
	v_bfi_b32 v102, v102, 0, v56
	v_lshrrev_b64 v[56:57], v54, v[56:57]
	v_bfi_b32 v103, v103, 0, 0
	v_cmp_eq_u64_e64 s7, v[102:103], v[58:59]
	s_delay_alu instid0(VALU_DEP_3)
	v_mov_b64_e32 v[58:59], v[56:57]
	s_and_saveexec_b32 s29, s7
; %bb.4114:                             ;   in Loop: Header=BB6_3974 Depth=2
	v_bfe_u32 v102, v56, 20, 1
	v_mov_b32_e32 v103, v87
	s_delay_alu instid0(VALU_DEP_1) | instskip(NEXT) | instid1(VALU_DEP_1)
	v_add_nc_u64_e32 v[102:103], v[56:57], v[102:103]
	v_add_nc_u64_e32 v[58:59], -1, v[102:103]
; %bb.4115:                             ;   in Loop: Header=BB6_3974 Depth=2
	s_or_b32 exec_lo, exec_lo, s29
	v_add_nc_u32_e32 v3, 0xffffff81, v31
	v_lshrrev_b32_e32 v31, 23, v56
	s_mov_b32 s7, exec_lo
	v_mov_b32_e32 v57, v87
	s_delay_alu instid0(VALU_DEP_3) | instskip(NEXT) | instid1(VALU_DEP_1)
	v_cndmask_b32_e64 v3, v3, 0xffffff82, vcc_lo
	v_add3_u32 v31, v54, v3, v31
	v_and_b32_e32 v3, 0xfffff, v58
	s_delay_alu instid0(VALU_DEP_1) | instskip(NEXT) | instid1(VALU_DEP_1)
	v_dual_add_nc_u32 v54, 6, v31 :: v_dual_add_nc_u32 v56, v3, v56
                                        ; implicit-def: $vgpr3
	v_cmpx_ne_u32_e32 0, v54
	s_xor_b32 s7, exec_lo, s7
; %bb.4116:                             ;   in Loop: Header=BB6_3974 Depth=2
	s_delay_alu instid0(VALU_DEP_2) | instskip(SKIP_2) | instid1(VALU_DEP_2)
	v_cmp_lt_u64_e32 vcc_lo, 0xffffff, v[56:57]
	v_add_nc_u32_e32 v3, 7, v31
	v_cndmask_b32_e64 v31, 0, 1, vcc_lo
	v_cndmask_b32_e32 v3, v54, v3, vcc_lo
	s_delay_alu instid0(VALU_DEP_2)
	v_lshrrev_b64 v[56:57], v31, v[56:57]
; %bb.4117:                             ;   in Loop: Header=BB6_3974 Depth=2
	s_and_not1_saveexec_b32 s7, s7
; %bb.4118:                             ;   in Loop: Header=BB6_3974 Depth=2
	s_delay_alu instid0(VALU_DEP_1)
	v_bfe_u32 v3, v56, 23, 1
; %bb.4119:                             ;   in Loop: Header=BB6_3974 Depth=2
	s_or_b32 exec_lo, exec_lo, s7
	s_delay_alu instid0(VALU_DEP_2) | instskip(NEXT) | instid1(VALU_DEP_2)
	v_lshrrev_b64 v[54:55], 20, v[56:57]
	v_cmp_gt_i32_e32 vcc_lo, 16, v3
	v_min_i32_e32 v31, 15, v3
	v_cmp_eq_u32_e64 s7, 0, v3
	s_delay_alu instid0(VALU_DEP_2) | instskip(SKIP_1) | instid1(VALU_DEP_2)
	v_dual_cndmask_b32 v54, 7, v54 :: v_dual_lshlrev_b32 v31, 3, v31
	v_cndmask_b32_e32 v55, 0, v55, vcc_lo
	v_and_b32_e32 v31, 0xf8, v31
	s_delay_alu instid0(VALU_DEP_2) | instskip(NEXT) | instid1(VALU_DEP_2)
	v_cmp_eq_u64_e32 vcc_lo, 0, v[54:55]
	v_and_or_b32 v3, v54, 7, v31
	s_and_b32 s7, s7, vcc_lo
	s_delay_alu instid0(VALU_DEP_1) | instid1(SALU_CYCLE_1)
	v_cndmask_b32_e64 v3, v3, 0, s7
	s_delay_alu instid0(VALU_DEP_1)
	v_or_b32_e32 v79, v3, v2
.LBB6_4120:                             ;   in Loop: Header=BB6_3974 Depth=2
	s_or_b32 exec_lo, exec_lo, s28
                                        ; implicit-def: $vgpr2
.LBB6_4121:                             ;   in Loop: Header=BB6_3974 Depth=2
	s_and_not1_saveexec_b32 s7, s27
; %bb.4122:                             ;   in Loop: Header=BB6_3974 Depth=2
	v_or_b32_e32 v79, 0x7e, v2
; %bb.4123:                             ;   in Loop: Header=BB6_3974 Depth=2
	s_or_b32 exec_lo, exec_lo, s7
                                        ; implicit-def: $vgpr2
.LBB6_4124:                             ;   in Loop: Header=BB6_3974 Depth=2
	s_and_not1_saveexec_b32 s7, s26
; %bb.4125:                             ;   in Loop: Header=BB6_3974 Depth=2
	v_or_b32_e32 v79, 0x7f, v2
; %bb.4126:                             ;   in Loop: Header=BB6_3974 Depth=2
	s_or_b32 exec_lo, exec_lo, s7
	v_lshrrev_b16 v31, 8, v86
	v_dual_mov_b32 v2, 0 :: v_dual_mov_b32 v3, 0
	s_mov_b32 s7, exec_lo
	s_delay_alu instid0(VALU_DEP_2)
	v_cmpx_ne_u16_e32 0, v31
	s_cbranch_execz .LBB6_4134
; %bb.4127:                             ;   in Loop: Header=BB6_3974 Depth=2
	v_bfrev_b32_e32 v3, 1
	s_mov_b32 s26, exec_lo
	v_cmpx_ne_u16_e32 0x80, v31
	s_cbranch_execz .LBB6_4133
; %bb.4128:                             ;   in Loop: Header=BB6_3974 Depth=2
	v_and_b32_e32 v54, 0xffff, v31
	v_mov_b32_e32 v3, 0x7f800001
	s_mov_b32 s27, exec_lo
	s_delay_alu instid0(VALU_DEP_2) | instskip(NEXT) | instid1(VALU_DEP_1)
	v_and_b32_e32 v31, 0x7f, v54
	v_cmpx_ne_u32_e32 0x7f, v31
	s_cbranch_execz .LBB6_4132
; %bb.4129:                             ;   in Loop: Header=BB6_3974 Depth=2
	v_dual_mov_b32 v57, v87 :: v_dual_bitop2_b32 v56, 7, v54 bitop3:0x40
	v_lshrrev_b32_e32 v3, 3, v31
	s_mov_b32 s28, exec_lo
	v_cmpx_gt_u32_e32 8, v31
; %bb.4130:                             ;   in Loop: Header=BB6_3974 Depth=2
	s_delay_alu instid0(VALU_DEP_3) | instskip(NEXT) | instid1(VALU_DEP_1)
	v_clz_i32_u32_e32 v3, v56
	v_min_u32_e32 v3, 32, v3
	s_delay_alu instid0(VALU_DEP_1) | instskip(NEXT) | instid1(VALU_DEP_1)
	v_subrev_nc_u32_e32 v31, 28, v3
	v_lshlrev_b64_e32 v[54:55], v31, v[56:57]
	s_delay_alu instid0(VALU_DEP_1)
	v_dual_sub_nc_u32 v3, 29, v3 :: v_dual_bitop2_b32 v56, 7, v54 bitop3:0x40
; %bb.4131:                             ;   in Loop: Header=BB6_3974 Depth=2
	s_or_b32 exec_lo, exec_lo, s28
	s_delay_alu instid0(VALU_DEP_1) | instskip(NEXT) | instid1(VALU_DEP_2)
	v_dual_lshlrev_b32 v31, 16, v86 :: v_dual_lshlrev_b32 v54, 20, v56
	v_lshl_add_u32 v3, v3, 23, 0x3c000000
	s_delay_alu instid0(VALU_DEP_2) | instskip(NEXT) | instid1(VALU_DEP_1)
	v_and_b32_e32 v31, 0x80000000, v31
	v_or3_b32 v3, v54, v31, v3
.LBB6_4132:                             ;   in Loop: Header=BB6_3974 Depth=2
	s_or_b32 exec_lo, exec_lo, s27
.LBB6_4133:                             ;   in Loop: Header=BB6_3974 Depth=2
	s_delay_alu instid0(SALU_CYCLE_1)
	s_or_b32 exec_lo, exec_lo, s26
.LBB6_4134:                             ;   in Loop: Header=BB6_3974 Depth=2
	s_delay_alu instid0(SALU_CYCLE_1) | instskip(SKIP_2) | instid1(VALU_DEP_1)
	s_or_b32 exec_lo, exec_lo, s7
	v_lshrrev_b16 v31, 8, v37
	s_mov_b32 s7, exec_lo
	v_cmpx_ne_u16_e32 0, v31
	s_cbranch_execz .LBB6_4142
; %bb.4135:                             ;   in Loop: Header=BB6_3974 Depth=2
	v_bfrev_b32_e32 v2, 1
	s_mov_b32 s26, exec_lo
	v_cmpx_ne_u16_e32 0x80, v31
	s_cbranch_execz .LBB6_4141
; %bb.4136:                             ;   in Loop: Header=BB6_3974 Depth=2
	v_and_b32_e32 v54, 0xffff, v31
	v_mov_b32_e32 v2, 0x7f800001
	s_mov_b32 s27, exec_lo
	s_delay_alu instid0(VALU_DEP_2) | instskip(NEXT) | instid1(VALU_DEP_1)
	v_and_b32_e32 v31, 0x7f, v54
	v_cmpx_ne_u32_e32 0x7f, v31
	s_cbranch_execz .LBB6_4140
; %bb.4137:                             ;   in Loop: Header=BB6_3974 Depth=2
	v_dual_lshrrev_b32 v2, 3, v31 :: v_dual_bitop2_b32 v86, 7, v54 bitop3:0x40
	s_mov_b32 s28, exec_lo
	v_cmpx_gt_u32_e32 8, v31
; %bb.4138:                             ;   in Loop: Header=BB6_3974 Depth=2
	s_delay_alu instid0(VALU_DEP_2) | instskip(NEXT) | instid1(VALU_DEP_1)
	v_clz_i32_u32_e32 v2, v86
	v_min_u32_e32 v2, 32, v2
	s_delay_alu instid0(VALU_DEP_1) | instskip(SKIP_1) | instid1(VALU_DEP_2)
	v_subrev_nc_u32_e32 v31, 28, v2
	v_sub_nc_u32_e32 v2, 29, v2
	v_lshlrev_b64_e32 v[54:55], v31, v[86:87]
	s_delay_alu instid0(VALU_DEP_1)
	v_and_b32_e32 v86, 7, v54
; %bb.4139:                             ;   in Loop: Header=BB6_3974 Depth=2
	s_or_b32 exec_lo, exec_lo, s28
	s_delay_alu instid0(VALU_DEP_1) | instskip(SKIP_1) | instid1(VALU_DEP_2)
	v_dual_lshlrev_b32 v31, 16, v37 :: v_dual_lshlrev_b32 v54, 20, v86
	v_lshl_add_u32 v2, v2, 23, 0x3c000000
	v_and_b32_e32 v31, 0x80000000, v31
	s_delay_alu instid0(VALU_DEP_1)
	v_or3_b32 v2, v54, v31, v2
.LBB6_4140:                             ;   in Loop: Header=BB6_3974 Depth=2
	s_or_b32 exec_lo, exec_lo, s27
.LBB6_4141:                             ;   in Loop: Header=BB6_3974 Depth=2
	s_delay_alu instid0(SALU_CYCLE_1)
	s_or_b32 exec_lo, exec_lo, s26
.LBB6_4142:                             ;   in Loop: Header=BB6_3974 Depth=2
	s_delay_alu instid0(SALU_CYCLE_1) | instskip(NEXT) | instid1(VALU_DEP_1)
	s_or_b32 exec_lo, exec_lo, s7
	v_mul_f32_e32 v3, v3, v2
                                        ; implicit-def: $vgpr88
	s_mov_b32 s7, exec_lo
	s_delay_alu instid0(VALU_DEP_1) | instskip(SKIP_1) | instid1(VALU_DEP_2)
	v_and_b32_e32 v86, 0x7f800000, v3
	v_lshrrev_b32_e32 v2, 24, v3
	v_cmpx_ne_u64_e32 0x7f800000, v[86:87]
	s_xor_b32 s26, exec_lo, s7
	s_cbranch_execz .LBB6_4156
; %bb.4143:                             ;   in Loop: Header=BB6_3974 Depth=2
	v_and_b32_e32 v86, 0x7fffffff, v3
	v_and_b32_e32 v2, 0x80, v2
                                        ; implicit-def: $vgpr88
	s_mov_b32 s7, exec_lo
	s_delay_alu instid0(VALU_DEP_2)
	v_cmpx_gt_u64_e32 0x43e00001, v[86:87]
	s_xor_b32 s27, exec_lo, s7
	s_cbranch_execz .LBB6_4153
; %bb.4144:                             ;   in Loop: Header=BB6_3974 Depth=2
	v_mov_b32_e32 v88, 0
	s_mov_b32 s28, exec_lo
	v_cmpx_ne_u32_e32 0, v3
	s_cbranch_execz .LBB6_4152
; %bb.4145:                             ;   in Loop: Header=BB6_3974 Depth=2
	v_bfe_u32 v31, v3, 23, 8
	v_and_b32_e32 v3, 0x7fffff, v3
	s_delay_alu instid0(VALU_DEP_2) | instskip(SKIP_1) | instid1(VALU_DEP_3)
	v_sub_nc_u32_e32 v54, 0x79, v31
	v_cmp_gt_u32_e32 vcc_lo, 0x7a, v31
	v_or_b32_e32 v66, 0x800000, v3
	s_delay_alu instid0(VALU_DEP_3) | instskip(SKIP_1) | instid1(VALU_DEP_3)
	v_cndmask_b32_e32 v54, 0, v54, vcc_lo
	v_cmp_eq_u32_e32 vcc_lo, 0, v31
	v_cndmask_b32_e32 v86, v66, v3, vcc_lo
	s_delay_alu instid0(VALU_DEP_3) | instskip(NEXT) | instid1(VALU_DEP_1)
	v_cndmask_b32_e64 v54, v54, 0x78, vcc_lo
	v_add_nc_u32_e32 v55, 20, v54
	s_delay_alu instid0(VALU_DEP_3) | instskip(NEXT) | instid1(VALU_DEP_2)
	v_lshrrev_b64 v[56:57], v54, v[86:87]
	v_lshlrev_b64_e64 v[102:103], v55, -1
	v_add_nc_u32_e32 v55, 19, v54
	s_delay_alu instid0(VALU_DEP_1) | instskip(NEXT) | instid1(VALU_DEP_3)
	v_lshlrev_b64_e64 v[58:59], v55, 1
	v_bfi_b32 v103, v103, 0, 0
	s_delay_alu instid0(VALU_DEP_4) | instskip(NEXT) | instid1(VALU_DEP_1)
	v_bfi_b32 v102, v102, 0, v86
	v_cmp_eq_u64_e64 s7, v[102:103], v[58:59]
	v_mov_b64_e32 v[58:59], v[56:57]
	s_and_saveexec_b32 s29, s7
; %bb.4146:                             ;   in Loop: Header=BB6_3974 Depth=2
	v_bfe_u32 v86, v56, 20, 1
	s_delay_alu instid0(VALU_DEP_1) | instskip(NEXT) | instid1(VALU_DEP_1)
	v_add_nc_u64_e32 v[102:103], v[56:57], v[86:87]
	v_add_nc_u64_e32 v[58:59], -1, v[102:103]
; %bb.4147:                             ;   in Loop: Header=BB6_3974 Depth=2
	s_or_b32 exec_lo, exec_lo, s29
	v_add_nc_u32_e32 v3, 0xffffff81, v31
	v_lshrrev_b32_e32 v31, 23, v56
	s_mov_b32 s7, exec_lo
	s_delay_alu instid0(VALU_DEP_2) | instskip(NEXT) | instid1(VALU_DEP_1)
	v_cndmask_b32_e64 v3, v3, 0xffffff82, vcc_lo
	v_add3_u32 v31, v54, v3, v31
	v_and_b32_e32 v3, 0xfffff, v58
	s_delay_alu instid0(VALU_DEP_1) | instskip(NEXT) | instid1(VALU_DEP_1)
	v_dual_add_nc_u32 v54, 6, v31 :: v_dual_add_nc_u32 v86, v3, v56
                                        ; implicit-def: $vgpr56_vgpr57
                                        ; implicit-def: $vgpr3
	v_cmpx_ne_u32_e32 0, v54
	s_xor_b32 s7, exec_lo, s7
; %bb.4148:                             ;   in Loop: Header=BB6_3974 Depth=2
	s_delay_alu instid0(VALU_DEP_2) | instskip(SKIP_2) | instid1(VALU_DEP_2)
	v_cmp_lt_u64_e32 vcc_lo, 0xffffff, v[86:87]
	v_add_nc_u32_e32 v3, 7, v31
	v_cndmask_b32_e64 v31, 0, 1, vcc_lo
	v_cndmask_b32_e32 v3, v54, v3, vcc_lo
	s_delay_alu instid0(VALU_DEP_2)
	v_lshrrev_b64 v[56:57], v31, v[86:87]
; %bb.4149:                             ;   in Loop: Header=BB6_3974 Depth=2
	s_and_not1_saveexec_b32 s7, s7
; %bb.4150:                             ;   in Loop: Header=BB6_3974 Depth=2
	v_mov_b64_e32 v[56:57], v[86:87]
	v_bfe_u32 v3, v86, 23, 1
; %bb.4151:                             ;   in Loop: Header=BB6_3974 Depth=2
	s_or_b32 exec_lo, exec_lo, s7
	s_delay_alu instid0(VALU_DEP_2) | instskip(NEXT) | instid1(VALU_DEP_2)
	v_lshrrev_b64 v[54:55], 20, v[56:57]
	v_cmp_gt_i32_e32 vcc_lo, 16, v3
	v_min_i32_e32 v31, 15, v3
	v_cmp_eq_u32_e64 s7, 0, v3
	s_delay_alu instid0(VALU_DEP_2) | instskip(SKIP_1) | instid1(VALU_DEP_2)
	v_dual_cndmask_b32 v54, 7, v54 :: v_dual_lshlrev_b32 v31, 3, v31
	v_cndmask_b32_e32 v55, 0, v55, vcc_lo
	v_and_b32_e32 v31, 0xf8, v31
	s_delay_alu instid0(VALU_DEP_2) | instskip(NEXT) | instid1(VALU_DEP_2)
	v_cmp_eq_u64_e32 vcc_lo, 0, v[54:55]
	v_and_or_b32 v3, v54, 7, v31
	s_and_b32 s7, s7, vcc_lo
	s_delay_alu instid0(VALU_DEP_1) | instid1(SALU_CYCLE_1)
	v_cndmask_b32_e64 v3, v3, 0, s7
	s_delay_alu instid0(VALU_DEP_1)
	v_or_b32_e32 v88, v3, v2
.LBB6_4152:                             ;   in Loop: Header=BB6_3974 Depth=2
	s_or_b32 exec_lo, exec_lo, s28
                                        ; implicit-def: $vgpr2
.LBB6_4153:                             ;   in Loop: Header=BB6_3974 Depth=2
	s_and_not1_saveexec_b32 s7, s27
; %bb.4154:                             ;   in Loop: Header=BB6_3974 Depth=2
	v_or_b32_e32 v88, 0x7e, v2
; %bb.4155:                             ;   in Loop: Header=BB6_3974 Depth=2
	s_or_b32 exec_lo, exec_lo, s7
                                        ; implicit-def: $vgpr2
.LBB6_4156:                             ;   in Loop: Header=BB6_3974 Depth=2
	s_and_not1_saveexec_b32 s7, s26
; %bb.4157:                             ;   in Loop: Header=BB6_3974 Depth=2
	v_or_b32_e32 v88, 0x7f, v2
; %bb.4158:                             ;   in Loop: Header=BB6_3974 Depth=2
	s_or_b32 exec_lo, exec_lo, s7
	v_dual_mov_b32 v2, 0 :: v_dual_lshrrev_b32 v31, 16, v49
	v_mov_b32_e32 v3, 0
	s_mov_b32 s7, exec_lo
	s_delay_alu instid0(VALU_DEP_2) | instskip(NEXT) | instid1(VALU_DEP_1)
	v_and_b32_e32 v54, 0xff, v31
	v_cmpx_ne_u16_e32 0, v54
	s_cbranch_execz .LBB6_4166
; %bb.4159:                             ;   in Loop: Header=BB6_3974 Depth=2
	v_bfrev_b32_e32 v3, 1
	s_mov_b32 s26, exec_lo
	v_cmpx_ne_u16_e32 0x80, v54
	s_cbranch_execz .LBB6_4165
; %bb.4160:                             ;   in Loop: Header=BB6_3974 Depth=2
	v_bfe_u32 v54, v49, 16, 7
	v_mov_b32_e32 v3, 0x7f800001
	s_mov_b32 s27, exec_lo
	s_delay_alu instid0(VALU_DEP_2)
	v_cmpx_ne_u32_e32 0x7f, v54
	s_cbranch_execz .LBB6_4164
; %bb.4161:                             ;   in Loop: Header=BB6_3974 Depth=2
	v_dual_lshrrev_b32 v3, 3, v54 :: v_dual_bitop2_b32 v86, 7, v31 bitop3:0x40
	s_mov_b32 s28, exec_lo
	v_cmpx_gt_u32_e32 8, v54
; %bb.4162:                             ;   in Loop: Header=BB6_3974 Depth=2
	s_delay_alu instid0(VALU_DEP_2) | instskip(NEXT) | instid1(VALU_DEP_1)
	v_clz_i32_u32_e32 v3, v86
	v_min_u32_e32 v3, 32, v3
	s_delay_alu instid0(VALU_DEP_1) | instskip(NEXT) | instid1(VALU_DEP_1)
	v_subrev_nc_u32_e32 v54, 28, v3
	v_lshlrev_b64_e32 v[54:55], v54, v[86:87]
	s_delay_alu instid0(VALU_DEP_1)
	v_dual_sub_nc_u32 v3, 29, v3 :: v_dual_bitop2_b32 v86, 7, v54 bitop3:0x40
; %bb.4163:                             ;   in Loop: Header=BB6_3974 Depth=2
	s_or_b32 exec_lo, exec_lo, s28
	s_delay_alu instid0(VALU_DEP_1) | instskip(NEXT) | instid1(VALU_DEP_2)
	v_dual_lshlrev_b32 v31, 24, v31 :: v_dual_lshlrev_b32 v54, 20, v86
	v_lshl_add_u32 v3, v3, 23, 0x3c000000
	s_delay_alu instid0(VALU_DEP_2) | instskip(NEXT) | instid1(VALU_DEP_1)
	v_and_b32_e32 v31, 0x80000000, v31
	v_or3_b32 v3, v54, v31, v3
.LBB6_4164:                             ;   in Loop: Header=BB6_3974 Depth=2
	s_or_b32 exec_lo, exec_lo, s27
.LBB6_4165:                             ;   in Loop: Header=BB6_3974 Depth=2
	s_delay_alu instid0(SALU_CYCLE_1)
	s_or_b32 exec_lo, exec_lo, s26
.LBB6_4166:                             ;   in Loop: Header=BB6_3974 Depth=2
	s_delay_alu instid0(SALU_CYCLE_1) | instskip(SKIP_2) | instid1(VALU_DEP_1)
	s_or_b32 exec_lo, exec_lo, s7
	v_lshrrev_b32_e32 v31, 16, v37
	s_mov_b32 s7, exec_lo
	v_and_b32_e32 v54, 0xff, v31
	s_delay_alu instid0(VALU_DEP_1)
	v_cmpx_ne_u16_e32 0, v54
	s_cbranch_execz .LBB6_4174
; %bb.4167:                             ;   in Loop: Header=BB6_3974 Depth=2
	v_bfrev_b32_e32 v2, 1
	s_mov_b32 s26, exec_lo
	v_cmpx_ne_u16_e32 0x80, v54
	s_cbranch_execz .LBB6_4173
; %bb.4168:                             ;   in Loop: Header=BB6_3974 Depth=2
	v_bfe_u32 v54, v37, 16, 7
	v_mov_b32_e32 v2, 0x7f800001
	s_mov_b32 s27, exec_lo
	s_delay_alu instid0(VALU_DEP_2)
	v_cmpx_ne_u32_e32 0x7f, v54
	s_cbranch_execz .LBB6_4172
; %bb.4169:                             ;   in Loop: Header=BB6_3974 Depth=2
	v_dual_lshrrev_b32 v2, 3, v54 :: v_dual_bitop2_b32 v86, 7, v31 bitop3:0x40
	s_mov_b32 s28, exec_lo
	v_cmpx_gt_u32_e32 8, v54
; %bb.4170:                             ;   in Loop: Header=BB6_3974 Depth=2
	s_delay_alu instid0(VALU_DEP_2) | instskip(NEXT) | instid1(VALU_DEP_1)
	v_clz_i32_u32_e32 v2, v86
	v_min_u32_e32 v2, 32, v2
	s_delay_alu instid0(VALU_DEP_1) | instskip(SKIP_1) | instid1(VALU_DEP_2)
	v_subrev_nc_u32_e32 v31, 28, v2
	v_sub_nc_u32_e32 v2, 29, v2
	v_lshlrev_b64_e32 v[54:55], v31, v[86:87]
	s_delay_alu instid0(VALU_DEP_1)
	v_and_b32_e32 v86, 7, v54
; %bb.4171:                             ;   in Loop: Header=BB6_3974 Depth=2
	s_or_b32 exec_lo, exec_lo, s28
	s_delay_alu instid0(VALU_DEP_1) | instskip(SKIP_1) | instid1(VALU_DEP_2)
	v_dual_lshlrev_b32 v31, 8, v37 :: v_dual_lshlrev_b32 v54, 20, v86
	v_lshl_add_u32 v2, v2, 23, 0x3c000000
	v_and_b32_e32 v31, 0x80000000, v31
	s_delay_alu instid0(VALU_DEP_1)
	v_or3_b32 v2, v54, v31, v2
.LBB6_4172:                             ;   in Loop: Header=BB6_3974 Depth=2
	s_or_b32 exec_lo, exec_lo, s27
.LBB6_4173:                             ;   in Loop: Header=BB6_3974 Depth=2
	s_delay_alu instid0(SALU_CYCLE_1)
	s_or_b32 exec_lo, exec_lo, s26
.LBB6_4174:                             ;   in Loop: Header=BB6_3974 Depth=2
	s_delay_alu instid0(SALU_CYCLE_1) | instskip(NEXT) | instid1(VALU_DEP_1)
	s_or_b32 exec_lo, exec_lo, s7
	v_mul_f32_e32 v3, v3, v2
                                        ; implicit-def: $vgpr56
	s_mov_b32 s7, exec_lo
	s_delay_alu instid0(VALU_DEP_1) | instskip(SKIP_1) | instid1(VALU_DEP_2)
	v_and_b32_e32 v86, 0x7f800000, v3
	v_lshrrev_b32_e32 v2, 24, v3
	v_cmpx_ne_u64_e32 0x7f800000, v[86:87]
	s_xor_b32 s26, exec_lo, s7
	s_cbranch_execz .LBB6_4188
; %bb.4175:                             ;   in Loop: Header=BB6_3974 Depth=2
	v_and_b32_e32 v86, 0x7fffffff, v3
	v_and_b32_e32 v2, 0x80, v2
                                        ; implicit-def: $vgpr56
	s_mov_b32 s7, exec_lo
	s_delay_alu instid0(VALU_DEP_2)
	v_cmpx_gt_u64_e32 0x43e00001, v[86:87]
	s_xor_b32 s27, exec_lo, s7
	s_cbranch_execz .LBB6_4185
; %bb.4176:                             ;   in Loop: Header=BB6_3974 Depth=2
	v_mov_b32_e32 v56, 0
	s_mov_b32 s28, exec_lo
	v_cmpx_ne_u32_e32 0, v3
	s_cbranch_execz .LBB6_4184
; %bb.4177:                             ;   in Loop: Header=BB6_3974 Depth=2
	v_bfe_u32 v31, v3, 23, 8
	v_and_b32_e32 v3, 0x7fffff, v3
	s_delay_alu instid0(VALU_DEP_2) | instskip(SKIP_1) | instid1(VALU_DEP_3)
	v_sub_nc_u32_e32 v54, 0x79, v31
	v_cmp_gt_u32_e32 vcc_lo, 0x7a, v31
	v_or_b32_e32 v66, 0x800000, v3
	s_delay_alu instid0(VALU_DEP_3) | instskip(SKIP_1) | instid1(VALU_DEP_3)
	v_cndmask_b32_e32 v54, 0, v54, vcc_lo
	v_cmp_eq_u32_e32 vcc_lo, 0, v31
	v_cndmask_b32_e32 v86, v66, v3, vcc_lo
	s_delay_alu instid0(VALU_DEP_3) | instskip(NEXT) | instid1(VALU_DEP_1)
	v_cndmask_b32_e64 v54, v54, 0x78, vcc_lo
	v_add_nc_u32_e32 v55, 20, v54
	s_delay_alu instid0(VALU_DEP_3) | instskip(NEXT) | instid1(VALU_DEP_2)
	v_lshrrev_b64 v[56:57], v54, v[86:87]
	v_lshlrev_b64_e64 v[102:103], v55, -1
	v_add_nc_u32_e32 v55, 19, v54
	s_delay_alu instid0(VALU_DEP_1) | instskip(NEXT) | instid1(VALU_DEP_3)
	v_lshlrev_b64_e64 v[58:59], v55, 1
	v_bfi_b32 v103, v103, 0, 0
	s_delay_alu instid0(VALU_DEP_4) | instskip(NEXT) | instid1(VALU_DEP_1)
	v_bfi_b32 v102, v102, 0, v86
	v_cmp_eq_u64_e64 s7, v[102:103], v[58:59]
	v_mov_b64_e32 v[58:59], v[56:57]
	s_and_saveexec_b32 s29, s7
; %bb.4178:                             ;   in Loop: Header=BB6_3974 Depth=2
	v_bfe_u32 v86, v56, 20, 1
	s_delay_alu instid0(VALU_DEP_1) | instskip(NEXT) | instid1(VALU_DEP_1)
	v_add_nc_u64_e32 v[102:103], v[56:57], v[86:87]
	v_add_nc_u64_e32 v[58:59], -1, v[102:103]
; %bb.4179:                             ;   in Loop: Header=BB6_3974 Depth=2
	s_or_b32 exec_lo, exec_lo, s29
	v_add_nc_u32_e32 v3, 0xffffff81, v31
	v_lshrrev_b32_e32 v31, 23, v56
	s_mov_b32 s7, exec_lo
	s_delay_alu instid0(VALU_DEP_2) | instskip(NEXT) | instid1(VALU_DEP_1)
	v_cndmask_b32_e64 v3, v3, 0xffffff82, vcc_lo
	v_add3_u32 v31, v54, v3, v31
	v_and_b32_e32 v3, 0xfffff, v58
	s_delay_alu instid0(VALU_DEP_1) | instskip(NEXT) | instid1(VALU_DEP_1)
	v_dual_add_nc_u32 v54, 6, v31 :: v_dual_add_nc_u32 v86, v3, v56
                                        ; implicit-def: $vgpr56_vgpr57
                                        ; implicit-def: $vgpr3
	v_cmpx_ne_u32_e32 0, v54
	s_xor_b32 s7, exec_lo, s7
; %bb.4180:                             ;   in Loop: Header=BB6_3974 Depth=2
	s_delay_alu instid0(VALU_DEP_2) | instskip(SKIP_2) | instid1(VALU_DEP_2)
	v_cmp_lt_u64_e32 vcc_lo, 0xffffff, v[86:87]
	v_add_nc_u32_e32 v3, 7, v31
	v_cndmask_b32_e64 v31, 0, 1, vcc_lo
	v_cndmask_b32_e32 v3, v54, v3, vcc_lo
	s_delay_alu instid0(VALU_DEP_2)
	v_lshrrev_b64 v[56:57], v31, v[86:87]
; %bb.4181:                             ;   in Loop: Header=BB6_3974 Depth=2
	s_and_not1_saveexec_b32 s7, s7
; %bb.4182:                             ;   in Loop: Header=BB6_3974 Depth=2
	v_mov_b64_e32 v[56:57], v[86:87]
	v_bfe_u32 v3, v86, 23, 1
; %bb.4183:                             ;   in Loop: Header=BB6_3974 Depth=2
	s_or_b32 exec_lo, exec_lo, s7
	s_delay_alu instid0(VALU_DEP_2) | instskip(NEXT) | instid1(VALU_DEP_2)
	v_lshrrev_b64 v[54:55], 20, v[56:57]
	v_cmp_gt_i32_e32 vcc_lo, 16, v3
	v_min_i32_e32 v31, 15, v3
	v_cmp_eq_u32_e64 s7, 0, v3
	s_delay_alu instid0(VALU_DEP_2) | instskip(SKIP_1) | instid1(VALU_DEP_2)
	v_dual_cndmask_b32 v54, 7, v54 :: v_dual_lshlrev_b32 v31, 3, v31
	v_cndmask_b32_e32 v55, 0, v55, vcc_lo
	v_and_b32_e32 v31, 0xf8, v31
	s_delay_alu instid0(VALU_DEP_2) | instskip(NEXT) | instid1(VALU_DEP_2)
	v_cmp_eq_u64_e32 vcc_lo, 0, v[54:55]
	v_and_or_b32 v3, v54, 7, v31
	s_and_b32 s7, s7, vcc_lo
	s_delay_alu instid0(VALU_DEP_1) | instid1(SALU_CYCLE_1)
	v_cndmask_b32_e64 v3, v3, 0, s7
	s_delay_alu instid0(VALU_DEP_1)
	v_or_b32_e32 v56, v3, v2
.LBB6_4184:                             ;   in Loop: Header=BB6_3974 Depth=2
	s_or_b32 exec_lo, exec_lo, s28
                                        ; implicit-def: $vgpr2
.LBB6_4185:                             ;   in Loop: Header=BB6_3974 Depth=2
	s_and_not1_saveexec_b32 s7, s27
; %bb.4186:                             ;   in Loop: Header=BB6_3974 Depth=2
	v_or_b32_e32 v56, 0x7e, v2
; %bb.4187:                             ;   in Loop: Header=BB6_3974 Depth=2
	s_or_b32 exec_lo, exec_lo, s7
                                        ; implicit-def: $vgpr2
.LBB6_4188:                             ;   in Loop: Header=BB6_3974 Depth=2
	s_and_not1_saveexec_b32 s7, s26
; %bb.4189:                             ;   in Loop: Header=BB6_3974 Depth=2
	v_or_b32_e32 v56, 0x7f, v2
; %bb.4190:                             ;   in Loop: Header=BB6_3974 Depth=2
	s_or_b32 exec_lo, exec_lo, s7
	v_dual_mov_b32 v2, 0 :: v_dual_mov_b32 v3, 0
	s_mov_b32 s7, exec_lo
	v_cmpx_lt_u64_e64 s[12:13], v[48:49]
	s_cbranch_execz .LBB6_4198
; %bb.4191:                             ;   in Loop: Header=BB6_3974 Depth=2
	v_lshrrev_b32_e32 v31, 24, v49
	v_bfrev_b32_e32 v3, 1
	s_mov_b32 s26, exec_lo
	s_delay_alu instid0(VALU_DEP_2)
	v_cmpx_ne_u32_e32 0x80, v31
	s_cbranch_execz .LBB6_4197
; %bb.4192:                             ;   in Loop: Header=BB6_3974 Depth=2
	v_bfe_u32 v48, v49, 24, 7
	v_mov_b32_e32 v3, 0x7f800001
	s_mov_b32 s27, exec_lo
	s_delay_alu instid0(VALU_DEP_2)
	v_cmpx_ne_u32_e32 0x7f, v48
	s_cbranch_execz .LBB6_4196
; %bb.4193:                             ;   in Loop: Header=BB6_3974 Depth=2
	v_dual_lshrrev_b32 v3, 3, v48 :: v_dual_bitop2_b32 v86, 7, v31 bitop3:0x40
	s_mov_b32 s28, exec_lo
	v_cmpx_gt_u32_e32 8, v48
; %bb.4194:                             ;   in Loop: Header=BB6_3974 Depth=2
	s_delay_alu instid0(VALU_DEP_2) | instskip(NEXT) | instid1(VALU_DEP_1)
	v_clz_i32_u32_e32 v3, v86
	v_min_u32_e32 v3, 32, v3
	s_delay_alu instid0(VALU_DEP_1) | instskip(NEXT) | instid1(VALU_DEP_1)
	v_subrev_nc_u32_e32 v48, 28, v3
	v_lshlrev_b64_e32 v[48:49], v48, v[86:87]
	s_delay_alu instid0(VALU_DEP_1)
	v_dual_sub_nc_u32 v3, 29, v3 :: v_dual_bitop2_b32 v86, 7, v48 bitop3:0x40
; %bb.4195:                             ;   in Loop: Header=BB6_3974 Depth=2
	s_or_b32 exec_lo, exec_lo, s28
	s_delay_alu instid0(VALU_DEP_1) | instskip(NEXT) | instid1(VALU_DEP_2)
	v_dual_lshlrev_b32 v31, 24, v31 :: v_dual_lshlrev_b32 v48, 20, v86
	v_lshl_add_u32 v3, v3, 23, 0x3c000000
	s_delay_alu instid0(VALU_DEP_2) | instskip(NEXT) | instid1(VALU_DEP_1)
	v_and_b32_e32 v31, 0x80000000, v31
	v_or3_b32 v3, v48, v31, v3
.LBB6_4196:                             ;   in Loop: Header=BB6_3974 Depth=2
	s_or_b32 exec_lo, exec_lo, s27
.LBB6_4197:                             ;   in Loop: Header=BB6_3974 Depth=2
	s_delay_alu instid0(SALU_CYCLE_1)
	s_or_b32 exec_lo, exec_lo, s26
.LBB6_4198:                             ;   in Loop: Header=BB6_3974 Depth=2
	s_delay_alu instid0(SALU_CYCLE_1) | instskip(NEXT) | instid1(SALU_CYCLE_1)
	s_or_b32 exec_lo, exec_lo, s7
	s_mov_b32 s7, exec_lo
	v_cmpx_lt_u64_e64 s[12:13], v[36:37]
	s_cbranch_execz .LBB6_4206
; %bb.4199:                             ;   in Loop: Header=BB6_3974 Depth=2
	v_lshrrev_b32_e32 v31, 24, v37
	v_bfrev_b32_e32 v2, 1
	s_mov_b32 s26, exec_lo
	s_delay_alu instid0(VALU_DEP_2)
	v_cmpx_ne_u32_e32 0x80, v31
	s_cbranch_execz .LBB6_4205
; %bb.4200:                             ;   in Loop: Header=BB6_3974 Depth=2
	v_bfe_u32 v36, v37, 24, 7
	v_mov_b32_e32 v2, 0x7f800001
	s_mov_b32 s27, exec_lo
	s_delay_alu instid0(VALU_DEP_2)
	v_cmpx_ne_u32_e32 0x7f, v36
	s_cbranch_execz .LBB6_4204
; %bb.4201:                             ;   in Loop: Header=BB6_3974 Depth=2
	v_dual_lshrrev_b32 v2, 3, v36 :: v_dual_bitop2_b32 v86, 7, v31 bitop3:0x40
	s_mov_b32 s28, exec_lo
	v_cmpx_gt_u32_e32 8, v36
; %bb.4202:                             ;   in Loop: Header=BB6_3974 Depth=2
	s_delay_alu instid0(VALU_DEP_2) | instskip(NEXT) | instid1(VALU_DEP_1)
	v_clz_i32_u32_e32 v2, v86
	v_min_u32_e32 v2, 32, v2
	s_delay_alu instid0(VALU_DEP_1) | instskip(NEXT) | instid1(VALU_DEP_1)
	v_subrev_nc_u32_e32 v36, 28, v2
	v_lshlrev_b64_e32 v[36:37], v36, v[86:87]
	s_delay_alu instid0(VALU_DEP_1)
	v_dual_sub_nc_u32 v2, 29, v2 :: v_dual_bitop2_b32 v86, 7, v36 bitop3:0x40
; %bb.4203:                             ;   in Loop: Header=BB6_3974 Depth=2
	s_or_b32 exec_lo, exec_lo, s28
	s_delay_alu instid0(VALU_DEP_1) | instskip(NEXT) | instid1(VALU_DEP_2)
	v_dual_lshlrev_b32 v31, 24, v31 :: v_dual_lshlrev_b32 v36, 20, v86
	v_lshl_add_u32 v2, v2, 23, 0x3c000000
	s_delay_alu instid0(VALU_DEP_2) | instskip(NEXT) | instid1(VALU_DEP_1)
	v_and_b32_e32 v31, 0x80000000, v31
	v_or3_b32 v2, v36, v31, v2
.LBB6_4204:                             ;   in Loop: Header=BB6_3974 Depth=2
	s_or_b32 exec_lo, exec_lo, s27
.LBB6_4205:                             ;   in Loop: Header=BB6_3974 Depth=2
	s_delay_alu instid0(SALU_CYCLE_1)
	s_or_b32 exec_lo, exec_lo, s26
.LBB6_4206:                             ;   in Loop: Header=BB6_3974 Depth=2
	s_delay_alu instid0(SALU_CYCLE_1) | instskip(NEXT) | instid1(VALU_DEP_1)
	s_or_b32 exec_lo, exec_lo, s7
	v_mul_f32_e32 v3, v3, v2
                                        ; implicit-def: $vgpr57
	s_mov_b32 s7, exec_lo
	s_delay_alu instid0(VALU_DEP_1) | instskip(SKIP_1) | instid1(VALU_DEP_2)
	v_and_b32_e32 v86, 0x7f800000, v3
	v_lshrrev_b32_e32 v2, 24, v3
	v_cmpx_ne_u64_e32 0x7f800000, v[86:87]
	s_xor_b32 s26, exec_lo, s7
	s_cbranch_execz .LBB6_4220
; %bb.4207:                             ;   in Loop: Header=BB6_3974 Depth=2
	v_and_b32_e32 v86, 0x7fffffff, v3
	v_and_b32_e32 v2, 0x80, v2
                                        ; implicit-def: $vgpr57
	s_mov_b32 s7, exec_lo
	s_delay_alu instid0(VALU_DEP_2)
	v_cmpx_gt_u64_e32 0x43e00001, v[86:87]
	s_xor_b32 s27, exec_lo, s7
	s_cbranch_execz .LBB6_4217
; %bb.4208:                             ;   in Loop: Header=BB6_3974 Depth=2
	v_mov_b32_e32 v57, 0
	s_mov_b32 s28, exec_lo
	v_cmpx_ne_u32_e32 0, v3
	s_cbranch_execz .LBB6_4216
; %bb.4209:                             ;   in Loop: Header=BB6_3974 Depth=2
	v_bfe_u32 v31, v3, 23, 8
	v_and_b32_e32 v3, 0x7fffff, v3
	s_delay_alu instid0(VALU_DEP_2) | instskip(SKIP_1) | instid1(VALU_DEP_3)
	v_sub_nc_u32_e32 v36, 0x79, v31
	v_cmp_gt_u32_e32 vcc_lo, 0x7a, v31
	v_or_b32_e32 v48, 0x800000, v3
	s_delay_alu instid0(VALU_DEP_3) | instskip(SKIP_1) | instid1(VALU_DEP_2)
	v_cndmask_b32_e32 v36, 0, v36, vcc_lo
	v_cmp_eq_u32_e32 vcc_lo, 0, v31
	v_cndmask_b32_e64 v54, v36, 0x78, vcc_lo
	s_delay_alu instid0(VALU_DEP_1) | instskip(SKIP_1) | instid1(VALU_DEP_2)
	v_dual_cndmask_b32 v86, v48, v3, vcc_lo :: v_dual_add_nc_u32 v36, 20, v54
	v_add_nc_u32_e32 v49, 19, v54
	v_lshlrev_b64_e64 v[36:37], v36, -1
	s_delay_alu instid0(VALU_DEP_2) | instskip(NEXT) | instid1(VALU_DEP_2)
	v_lshlrev_b64_e64 v[48:49], v49, 1
	v_bfi_b32 v103, v37, 0, 0
	s_delay_alu instid0(VALU_DEP_3) | instskip(SKIP_1) | instid1(VALU_DEP_2)
	v_bfi_b32 v102, v36, 0, v86
	v_lshrrev_b64 v[36:37], v54, v[86:87]
	v_cmp_eq_u64_e64 s7, v[102:103], v[48:49]
	s_delay_alu instid0(VALU_DEP_2)
	v_mov_b64_e32 v[48:49], v[36:37]
	s_and_saveexec_b32 s29, s7
; %bb.4210:                             ;   in Loop: Header=BB6_3974 Depth=2
	v_bfe_u32 v86, v36, 20, 1
	s_delay_alu instid0(VALU_DEP_1) | instskip(NEXT) | instid1(VALU_DEP_1)
	v_add_nc_u64_e32 v[48:49], v[36:37], v[86:87]
	v_add_nc_u64_e32 v[48:49], -1, v[48:49]
; %bb.4211:                             ;   in Loop: Header=BB6_3974 Depth=2
	s_or_b32 exec_lo, exec_lo, s29
	v_add_nc_u32_e32 v3, 0xffffff81, v31
	v_lshrrev_b32_e32 v31, 23, v36
	s_mov_b32 s7, exec_lo
	s_delay_alu instid0(VALU_DEP_2) | instskip(NEXT) | instid1(VALU_DEP_1)
	v_cndmask_b32_e64 v3, v3, 0xffffff82, vcc_lo
	v_add3_u32 v31, v54, v3, v31
	v_and_b32_e32 v3, 0xfffff, v48
	s_delay_alu instid0(VALU_DEP_1) | instskip(NEXT) | instid1(VALU_DEP_1)
	v_dual_add_nc_u32 v48, 6, v31 :: v_dual_add_nc_u32 v86, v3, v36
                                        ; implicit-def: $vgpr36_vgpr37
                                        ; implicit-def: $vgpr3
	v_cmpx_ne_u32_e32 0, v48
	s_xor_b32 s7, exec_lo, s7
; %bb.4212:                             ;   in Loop: Header=BB6_3974 Depth=2
	s_delay_alu instid0(VALU_DEP_2) | instskip(SKIP_2) | instid1(VALU_DEP_2)
	v_cmp_lt_u64_e32 vcc_lo, 0xffffff, v[86:87]
	v_add_nc_u32_e32 v3, 7, v31
	v_cndmask_b32_e64 v31, 0, 1, vcc_lo
	v_cndmask_b32_e32 v3, v48, v3, vcc_lo
	s_delay_alu instid0(VALU_DEP_2)
	v_lshrrev_b64 v[36:37], v31, v[86:87]
; %bb.4213:                             ;   in Loop: Header=BB6_3974 Depth=2
	s_and_not1_saveexec_b32 s7, s7
; %bb.4214:                             ;   in Loop: Header=BB6_3974 Depth=2
	v_mov_b64_e32 v[36:37], v[86:87]
	v_bfe_u32 v3, v86, 23, 1
; %bb.4215:                             ;   in Loop: Header=BB6_3974 Depth=2
	s_or_b32 exec_lo, exec_lo, s7
	s_delay_alu instid0(VALU_DEP_2) | instskip(NEXT) | instid1(VALU_DEP_2)
	v_lshrrev_b64 v[36:37], 20, v[36:37]
	v_cmp_gt_i32_e32 vcc_lo, 16, v3
	v_min_i32_e32 v31, 15, v3
	v_cmp_eq_u32_e64 s7, 0, v3
	s_delay_alu instid0(VALU_DEP_2) | instskip(SKIP_1) | instid1(VALU_DEP_2)
	v_dual_cndmask_b32 v37, 0, v37, vcc_lo :: v_dual_lshlrev_b32 v31, 3, v31
	v_cndmask_b32_e32 v36, 7, v36, vcc_lo
	v_and_b32_e32 v31, 0xf8, v31
	s_delay_alu instid0(VALU_DEP_2) | instskip(NEXT) | instid1(VALU_DEP_2)
	v_cmp_eq_u64_e32 vcc_lo, 0, v[36:37]
	v_and_or_b32 v3, v36, 7, v31
	s_and_b32 s7, s7, vcc_lo
	s_delay_alu instid0(VALU_DEP_1) | instid1(SALU_CYCLE_1)
	v_cndmask_b32_e64 v3, v3, 0, s7
	s_delay_alu instid0(VALU_DEP_1)
	v_or_b32_e32 v57, v3, v2
.LBB6_4216:                             ;   in Loop: Header=BB6_3974 Depth=2
	s_or_b32 exec_lo, exec_lo, s28
                                        ; implicit-def: $vgpr2
.LBB6_4217:                             ;   in Loop: Header=BB6_3974 Depth=2
	s_and_not1_saveexec_b32 s7, s27
; %bb.4218:                             ;   in Loop: Header=BB6_3974 Depth=2
	v_or_b32_e32 v57, 0x7e, v2
; %bb.4219:                             ;   in Loop: Header=BB6_3974 Depth=2
	s_or_b32 exec_lo, exec_lo, s7
                                        ; implicit-def: $vgpr2
.LBB6_4220:                             ;   in Loop: Header=BB6_3974 Depth=2
	s_and_not1_saveexec_b32 s7, s26
; %bb.4221:                             ;   in Loop: Header=BB6_3974 Depth=2
	v_or_b32_e32 v57, 0x7f, v2
; %bb.4222:                             ;   in Loop: Header=BB6_3974 Depth=2
	s_or_b32 exec_lo, exec_lo, s7
	v_and_b32_e32 v31, 0xff, v50
	v_dual_mov_b32 v2, 0 :: v_dual_mov_b32 v3, 0
	s_mov_b32 s7, exec_lo
	s_delay_alu instid0(VALU_DEP_2)
	v_cmpx_ne_u16_e32 0, v31
	s_cbranch_execz .LBB6_4228
; %bb.4223:                             ;   in Loop: Header=BB6_3974 Depth=2
	v_bfrev_b32_e32 v3, 1
	s_mov_b32 s26, exec_lo
	v_cmpx_ne_u16_e32 0x80, v31
	s_cbranch_execz .LBB6_4227
; %bb.4224:                             ;   in Loop: Header=BB6_3974 Depth=2
	v_and_b32_e32 v31, 0x7f, v50
	v_mov_b32_e32 v3, 0x7f800001
	s_mov_b32 s27, exec_lo
	s_delay_alu instid0(VALU_DEP_2)
	v_cmpx_ne_u32_e32 0x7f, v31
	s_cbranch_execz .LBB6_4226
; %bb.4225:                             ;   in Loop: Header=BB6_3974 Depth=2
	v_dual_lshrrev_b32 v36, 3, v31 :: v_dual_bitop2_b32 v3, 7, v50 bitop3:0x40
	v_cmp_gt_u32_e32 vcc_lo, 8, v31
	s_delay_alu instid0(VALU_DEP_2) | instskip(NEXT) | instid1(VALU_DEP_1)
	v_clz_i32_u32_e32 v3, v3
	v_min_u32_e32 v3, 32, v3
	s_delay_alu instid0(VALU_DEP_1) | instskip(NEXT) | instid1(VALU_DEP_1)
	v_subrev_nc_u32_e32 v37, 28, v3
	v_dual_sub_nc_u32 v3, 29, v3 :: v_dual_cndmask_b32 v31, 0, v37, vcc_lo
	s_delay_alu instid0(VALU_DEP_1) | instskip(NEXT) | instid1(VALU_DEP_2)
	v_cndmask_b32_e32 v3, v36, v3, vcc_lo
	v_lshlrev_b64_e32 v[36:37], v31, v[50:51]
	v_lshlrev_b32_e32 v31, 24, v50
	s_delay_alu instid0(VALU_DEP_3) | instskip(NEXT) | instid1(VALU_DEP_2)
	v_lshl_add_u32 v3, v3, 23, 0x3c000000
	v_and_b32_e32 v31, 0x80000000, v31
	s_delay_alu instid0(VALU_DEP_4) | instskip(NEXT) | instid1(VALU_DEP_1)
	v_lshlrev_b32_e32 v36, 20, v36
	v_and_b32_e32 v36, 0x700000, v36
	s_delay_alu instid0(VALU_DEP_1)
	v_or3_b32 v3, v36, v31, v3
.LBB6_4226:                             ;   in Loop: Header=BB6_3974 Depth=2
	s_or_b32 exec_lo, exec_lo, s27
.LBB6_4227:                             ;   in Loop: Header=BB6_3974 Depth=2
	s_delay_alu instid0(SALU_CYCLE_1)
	s_or_b32 exec_lo, exec_lo, s26
.LBB6_4228:                             ;   in Loop: Header=BB6_3974 Depth=2
	s_delay_alu instid0(SALU_CYCLE_1) | instskip(SKIP_2) | instid1(VALU_DEP_1)
	s_or_b32 exec_lo, exec_lo, s7
	v_and_b32_e32 v31, 0xff, v38
	s_mov_b32 s7, exec_lo
	v_cmpx_ne_u16_e32 0, v31
	s_cbranch_execz .LBB6_4234
; %bb.4229:                             ;   in Loop: Header=BB6_3974 Depth=2
	v_bfrev_b32_e32 v2, 1
	s_mov_b32 s26, exec_lo
	v_cmpx_ne_u16_e32 0x80, v31
	s_cbranch_execz .LBB6_4233
; %bb.4230:                             ;   in Loop: Header=BB6_3974 Depth=2
	v_and_b32_e32 v31, 0x7f, v38
	v_mov_b32_e32 v2, 0x7f800001
	s_mov_b32 s27, exec_lo
	s_delay_alu instid0(VALU_DEP_2)
	v_cmpx_ne_u32_e32 0x7f, v31
	s_cbranch_execz .LBB6_4232
; %bb.4231:                             ;   in Loop: Header=BB6_3974 Depth=2
	v_dual_lshrrev_b32 v36, 3, v31 :: v_dual_bitop2_b32 v2, 7, v38 bitop3:0x40
	v_cmp_gt_u32_e32 vcc_lo, 8, v31
	s_delay_alu instid0(VALU_DEP_2) | instskip(NEXT) | instid1(VALU_DEP_1)
	v_clz_i32_u32_e32 v2, v2
	v_min_u32_e32 v2, 32, v2
	s_delay_alu instid0(VALU_DEP_1) | instskip(NEXT) | instid1(VALU_DEP_1)
	v_subrev_nc_u32_e32 v37, 28, v2
	v_dual_cndmask_b32 v31, 0, v37 :: v_dual_sub_nc_u32 v2, 29, v2
	s_delay_alu instid0(VALU_DEP_1) | instskip(NEXT) | instid1(VALU_DEP_2)
	v_cndmask_b32_e32 v2, v36, v2, vcc_lo
	v_lshlrev_b64_e32 v[36:37], v31, v[38:39]
	v_lshlrev_b32_e32 v31, 24, v38
	s_delay_alu instid0(VALU_DEP_1) | instskip(NEXT) | instid1(VALU_DEP_3)
	v_and_b32_e32 v31, 0x80000000, v31
	v_lshlrev_b32_e32 v36, 20, v36
	v_lshl_add_u32 v2, v2, 23, 0x3c000000
	s_delay_alu instid0(VALU_DEP_2) | instskip(NEXT) | instid1(VALU_DEP_1)
	v_and_b32_e32 v36, 0x700000, v36
	v_or3_b32 v2, v36, v31, v2
.LBB6_4232:                             ;   in Loop: Header=BB6_3974 Depth=2
	s_or_b32 exec_lo, exec_lo, s27
.LBB6_4233:                             ;   in Loop: Header=BB6_3974 Depth=2
	s_delay_alu instid0(SALU_CYCLE_1)
	s_or_b32 exec_lo, exec_lo, s26
.LBB6_4234:                             ;   in Loop: Header=BB6_3974 Depth=2
	s_delay_alu instid0(SALU_CYCLE_1) | instskip(NEXT) | instid1(VALU_DEP_1)
	s_or_b32 exec_lo, exec_lo, s7
	v_mul_f32_e32 v3, v3, v2
                                        ; implicit-def: $vgpr58
	s_mov_b32 s7, exec_lo
	s_delay_alu instid0(VALU_DEP_1) | instskip(SKIP_1) | instid1(VALU_DEP_2)
	v_and_b32_e32 v86, 0x7f800000, v3
	v_lshrrev_b32_e32 v2, 24, v3
	v_cmpx_ne_u64_e32 0x7f800000, v[86:87]
	s_xor_b32 s26, exec_lo, s7
	s_cbranch_execz .LBB6_4248
; %bb.4235:                             ;   in Loop: Header=BB6_3974 Depth=2
	v_and_b32_e32 v86, 0x7fffffff, v3
	v_and_b32_e32 v2, 0x80, v2
                                        ; implicit-def: $vgpr58
	s_mov_b32 s7, exec_lo
	s_delay_alu instid0(VALU_DEP_2)
	v_cmpx_gt_u64_e32 0x43e00001, v[86:87]
	s_xor_b32 s27, exec_lo, s7
	s_cbranch_execz .LBB6_4245
; %bb.4236:                             ;   in Loop: Header=BB6_3974 Depth=2
	v_mov_b32_e32 v58, 0
	s_mov_b32 s28, exec_lo
	v_cmpx_ne_u32_e32 0, v3
	s_cbranch_execz .LBB6_4244
; %bb.4237:                             ;   in Loop: Header=BB6_3974 Depth=2
	v_bfe_u32 v31, v3, 23, 8
	v_and_b32_e32 v3, 0x7fffff, v3
	s_delay_alu instid0(VALU_DEP_2) | instskip(SKIP_1) | instid1(VALU_DEP_3)
	v_sub_nc_u32_e32 v36, 0x79, v31
	v_cmp_gt_u32_e32 vcc_lo, 0x7a, v31
	v_or_b32_e32 v48, 0x800000, v3
	s_delay_alu instid0(VALU_DEP_3) | instskip(SKIP_1) | instid1(VALU_DEP_2)
	v_cndmask_b32_e32 v36, 0, v36, vcc_lo
	v_cmp_eq_u32_e32 vcc_lo, 0, v31
	v_cndmask_b32_e64 v54, v36, 0x78, vcc_lo
	s_delay_alu instid0(VALU_DEP_1) | instskip(SKIP_1) | instid1(VALU_DEP_2)
	v_dual_cndmask_b32 v86, v48, v3, vcc_lo :: v_dual_add_nc_u32 v36, 20, v54
	v_add_nc_u32_e32 v49, 19, v54
	v_lshlrev_b64_e64 v[36:37], v36, -1
	s_delay_alu instid0(VALU_DEP_2) | instskip(NEXT) | instid1(VALU_DEP_2)
	v_lshlrev_b64_e64 v[48:49], v49, 1
	v_bfi_b32 v103, v37, 0, 0
	s_delay_alu instid0(VALU_DEP_3) | instskip(SKIP_1) | instid1(VALU_DEP_2)
	v_bfi_b32 v102, v36, 0, v86
	v_lshrrev_b64 v[36:37], v54, v[86:87]
	v_cmp_eq_u64_e64 s7, v[102:103], v[48:49]
	s_delay_alu instid0(VALU_DEP_2)
	v_mov_b64_e32 v[48:49], v[36:37]
	s_and_saveexec_b32 s29, s7
; %bb.4238:                             ;   in Loop: Header=BB6_3974 Depth=2
	v_bfe_u32 v86, v36, 20, 1
	s_delay_alu instid0(VALU_DEP_1) | instskip(NEXT) | instid1(VALU_DEP_1)
	v_add_nc_u64_e32 v[48:49], v[36:37], v[86:87]
	v_add_nc_u64_e32 v[48:49], -1, v[48:49]
; %bb.4239:                             ;   in Loop: Header=BB6_3974 Depth=2
	s_or_b32 exec_lo, exec_lo, s29
	v_add_nc_u32_e32 v3, 0xffffff81, v31
	v_lshrrev_b32_e32 v31, 23, v36
	s_mov_b32 s7, exec_lo
	s_delay_alu instid0(VALU_DEP_2) | instskip(NEXT) | instid1(VALU_DEP_1)
	v_cndmask_b32_e64 v3, v3, 0xffffff82, vcc_lo
	v_add3_u32 v31, v54, v3, v31
	v_and_b32_e32 v3, 0xfffff, v48
	s_delay_alu instid0(VALU_DEP_1) | instskip(NEXT) | instid1(VALU_DEP_1)
	v_dual_add_nc_u32 v48, 6, v31 :: v_dual_add_nc_u32 v86, v3, v36
                                        ; implicit-def: $vgpr36_vgpr37
                                        ; implicit-def: $vgpr3
	v_cmpx_ne_u32_e32 0, v48
	s_xor_b32 s7, exec_lo, s7
; %bb.4240:                             ;   in Loop: Header=BB6_3974 Depth=2
	s_delay_alu instid0(VALU_DEP_2) | instskip(SKIP_2) | instid1(VALU_DEP_2)
	v_cmp_lt_u64_e32 vcc_lo, 0xffffff, v[86:87]
	v_add_nc_u32_e32 v3, 7, v31
	v_cndmask_b32_e64 v31, 0, 1, vcc_lo
	v_cndmask_b32_e32 v3, v48, v3, vcc_lo
	s_delay_alu instid0(VALU_DEP_2)
	v_lshrrev_b64 v[36:37], v31, v[86:87]
; %bb.4241:                             ;   in Loop: Header=BB6_3974 Depth=2
	s_and_not1_saveexec_b32 s7, s7
; %bb.4242:                             ;   in Loop: Header=BB6_3974 Depth=2
	v_mov_b64_e32 v[36:37], v[86:87]
	v_bfe_u32 v3, v86, 23, 1
; %bb.4243:                             ;   in Loop: Header=BB6_3974 Depth=2
	s_or_b32 exec_lo, exec_lo, s7
	s_delay_alu instid0(VALU_DEP_2) | instskip(NEXT) | instid1(VALU_DEP_2)
	v_lshrrev_b64 v[36:37], 20, v[36:37]
	v_cmp_gt_i32_e32 vcc_lo, 16, v3
	v_min_i32_e32 v31, 15, v3
	v_cmp_eq_u32_e64 s7, 0, v3
	s_delay_alu instid0(VALU_DEP_2) | instskip(SKIP_1) | instid1(VALU_DEP_2)
	v_dual_cndmask_b32 v37, 0, v37, vcc_lo :: v_dual_lshlrev_b32 v31, 3, v31
	v_cndmask_b32_e32 v36, 7, v36, vcc_lo
	v_and_b32_e32 v31, 0xf8, v31
	s_delay_alu instid0(VALU_DEP_2) | instskip(NEXT) | instid1(VALU_DEP_2)
	v_cmp_eq_u64_e32 vcc_lo, 0, v[36:37]
	v_and_or_b32 v3, v36, 7, v31
	s_and_b32 s7, s7, vcc_lo
	s_delay_alu instid0(VALU_DEP_1) | instid1(SALU_CYCLE_1)
	v_cndmask_b32_e64 v3, v3, 0, s7
	s_delay_alu instid0(VALU_DEP_1)
	v_or_b32_e32 v58, v3, v2
.LBB6_4244:                             ;   in Loop: Header=BB6_3974 Depth=2
	s_or_b32 exec_lo, exec_lo, s28
                                        ; implicit-def: $vgpr2
.LBB6_4245:                             ;   in Loop: Header=BB6_3974 Depth=2
	s_and_not1_saveexec_b32 s7, s27
; %bb.4246:                             ;   in Loop: Header=BB6_3974 Depth=2
	v_or_b32_e32 v58, 0x7e, v2
; %bb.4247:                             ;   in Loop: Header=BB6_3974 Depth=2
	s_or_b32 exec_lo, exec_lo, s7
                                        ; implicit-def: $vgpr2
.LBB6_4248:                             ;   in Loop: Header=BB6_3974 Depth=2
	s_and_not1_saveexec_b32 s7, s26
; %bb.4249:                             ;   in Loop: Header=BB6_3974 Depth=2
	v_or_b32_e32 v58, 0x7f, v2
; %bb.4250:                             ;   in Loop: Header=BB6_3974 Depth=2
	s_or_b32 exec_lo, exec_lo, s7
	v_lshrrev_b16 v31, 8, v50
	v_dual_mov_b32 v2, 0 :: v_dual_mov_b32 v3, 0
	s_mov_b32 s7, exec_lo
	s_delay_alu instid0(VALU_DEP_2)
	v_cmpx_ne_u16_e32 0, v31
	s_cbranch_execz .LBB6_4258
; %bb.4251:                             ;   in Loop: Header=BB6_3974 Depth=2
	v_bfrev_b32_e32 v3, 1
	s_mov_b32 s26, exec_lo
	v_cmpx_ne_u16_e32 0x80, v31
	s_cbranch_execz .LBB6_4257
; %bb.4252:                             ;   in Loop: Header=BB6_3974 Depth=2
	v_and_b32_e32 v36, 0xffff, v31
	v_mov_b32_e32 v3, 0x7f800001
	s_mov_b32 s27, exec_lo
	s_delay_alu instid0(VALU_DEP_2) | instskip(NEXT) | instid1(VALU_DEP_1)
	v_and_b32_e32 v31, 0x7f, v36
	v_cmpx_ne_u32_e32 0x7f, v31
	s_cbranch_execz .LBB6_4256
; %bb.4253:                             ;   in Loop: Header=BB6_3974 Depth=2
	v_dual_lshrrev_b32 v3, 3, v31 :: v_dual_bitop2_b32 v86, 7, v36 bitop3:0x40
	s_mov_b32 s28, exec_lo
	v_cmpx_gt_u32_e32 8, v31
; %bb.4254:                             ;   in Loop: Header=BB6_3974 Depth=2
	s_delay_alu instid0(VALU_DEP_2) | instskip(NEXT) | instid1(VALU_DEP_1)
	v_clz_i32_u32_e32 v3, v86
	v_min_u32_e32 v3, 32, v3
	s_delay_alu instid0(VALU_DEP_1) | instskip(NEXT) | instid1(VALU_DEP_1)
	v_subrev_nc_u32_e32 v31, 28, v3
	v_lshlrev_b64_e32 v[36:37], v31, v[86:87]
	s_delay_alu instid0(VALU_DEP_1)
	v_dual_sub_nc_u32 v3, 29, v3 :: v_dual_bitop2_b32 v86, 7, v36 bitop3:0x40
; %bb.4255:                             ;   in Loop: Header=BB6_3974 Depth=2
	s_or_b32 exec_lo, exec_lo, s28
	v_lshlrev_b32_e32 v31, 16, v50
	s_delay_alu instid0(VALU_DEP_2) | instskip(NEXT) | instid1(VALU_DEP_3)
	v_lshlrev_b32_e32 v36, 20, v86
	v_lshl_add_u32 v3, v3, 23, 0x3c000000
	s_delay_alu instid0(VALU_DEP_3) | instskip(NEXT) | instid1(VALU_DEP_1)
	v_and_b32_e32 v31, 0x80000000, v31
	v_or3_b32 v3, v36, v31, v3
.LBB6_4256:                             ;   in Loop: Header=BB6_3974 Depth=2
	s_or_b32 exec_lo, exec_lo, s27
.LBB6_4257:                             ;   in Loop: Header=BB6_3974 Depth=2
	s_delay_alu instid0(SALU_CYCLE_1)
	s_or_b32 exec_lo, exec_lo, s26
.LBB6_4258:                             ;   in Loop: Header=BB6_3974 Depth=2
	s_delay_alu instid0(SALU_CYCLE_1) | instskip(SKIP_2) | instid1(VALU_DEP_1)
	s_or_b32 exec_lo, exec_lo, s7
	v_lshrrev_b16 v31, 8, v38
	s_mov_b32 s7, exec_lo
	v_cmpx_ne_u16_e32 0, v31
	s_cbranch_execz .LBB6_4266
; %bb.4259:                             ;   in Loop: Header=BB6_3974 Depth=2
	v_bfrev_b32_e32 v2, 1
	s_mov_b32 s26, exec_lo
	v_cmpx_ne_u16_e32 0x80, v31
	s_cbranch_execz .LBB6_4265
; %bb.4260:                             ;   in Loop: Header=BB6_3974 Depth=2
	v_and_b32_e32 v36, 0xffff, v31
	v_mov_b32_e32 v2, 0x7f800001
	s_mov_b32 s27, exec_lo
	s_delay_alu instid0(VALU_DEP_2) | instskip(NEXT) | instid1(VALU_DEP_1)
	v_and_b32_e32 v31, 0x7f, v36
	v_cmpx_ne_u32_e32 0x7f, v31
	s_cbranch_execz .LBB6_4264
; %bb.4261:                             ;   in Loop: Header=BB6_3974 Depth=2
	v_dual_lshrrev_b32 v2, 3, v31 :: v_dual_bitop2_b32 v86, 7, v36 bitop3:0x40
	s_mov_b32 s28, exec_lo
	v_cmpx_gt_u32_e32 8, v31
; %bb.4262:                             ;   in Loop: Header=BB6_3974 Depth=2
	s_delay_alu instid0(VALU_DEP_2) | instskip(NEXT) | instid1(VALU_DEP_1)
	v_clz_i32_u32_e32 v2, v86
	v_min_u32_e32 v2, 32, v2
	s_delay_alu instid0(VALU_DEP_1) | instskip(NEXT) | instid1(VALU_DEP_1)
	v_subrev_nc_u32_e32 v31, 28, v2
	v_lshlrev_b64_e32 v[36:37], v31, v[86:87]
	s_delay_alu instid0(VALU_DEP_1)
	v_dual_sub_nc_u32 v2, 29, v2 :: v_dual_bitop2_b32 v86, 7, v36 bitop3:0x40
; %bb.4263:                             ;   in Loop: Header=BB6_3974 Depth=2
	s_or_b32 exec_lo, exec_lo, s28
	v_lshlrev_b32_e32 v31, 16, v38
	s_delay_alu instid0(VALU_DEP_2) | instskip(NEXT) | instid1(VALU_DEP_3)
	v_lshlrev_b32_e32 v36, 20, v86
	v_lshl_add_u32 v2, v2, 23, 0x3c000000
	s_delay_alu instid0(VALU_DEP_3) | instskip(NEXT) | instid1(VALU_DEP_1)
	v_and_b32_e32 v31, 0x80000000, v31
	v_or3_b32 v2, v36, v31, v2
.LBB6_4264:                             ;   in Loop: Header=BB6_3974 Depth=2
	s_or_b32 exec_lo, exec_lo, s27
.LBB6_4265:                             ;   in Loop: Header=BB6_3974 Depth=2
	s_delay_alu instid0(SALU_CYCLE_1)
	s_or_b32 exec_lo, exec_lo, s26
.LBB6_4266:                             ;   in Loop: Header=BB6_3974 Depth=2
	s_delay_alu instid0(SALU_CYCLE_1) | instskip(NEXT) | instid1(VALU_DEP_1)
	s_or_b32 exec_lo, exec_lo, s7
	v_mul_f32_e32 v3, v3, v2
                                        ; implicit-def: $vgpr59
	s_mov_b32 s7, exec_lo
	s_delay_alu instid0(VALU_DEP_1) | instskip(SKIP_1) | instid1(VALU_DEP_2)
	v_and_b32_e32 v86, 0x7f800000, v3
	v_lshrrev_b32_e32 v2, 24, v3
	v_cmpx_ne_u64_e32 0x7f800000, v[86:87]
	s_xor_b32 s26, exec_lo, s7
	s_cbranch_execz .LBB6_4280
; %bb.4267:                             ;   in Loop: Header=BB6_3974 Depth=2
	v_and_b32_e32 v86, 0x7fffffff, v3
	v_and_b32_e32 v2, 0x80, v2
                                        ; implicit-def: $vgpr59
	s_mov_b32 s7, exec_lo
	s_delay_alu instid0(VALU_DEP_2)
	v_cmpx_gt_u64_e32 0x43e00001, v[86:87]
	s_xor_b32 s27, exec_lo, s7
	s_cbranch_execz .LBB6_4277
; %bb.4268:                             ;   in Loop: Header=BB6_3974 Depth=2
	v_mov_b32_e32 v59, 0
	s_mov_b32 s28, exec_lo
	v_cmpx_ne_u32_e32 0, v3
	s_cbranch_execz .LBB6_4276
; %bb.4269:                             ;   in Loop: Header=BB6_3974 Depth=2
	v_bfe_u32 v31, v3, 23, 8
	v_and_b32_e32 v3, 0x7fffff, v3
	s_delay_alu instid0(VALU_DEP_2) | instskip(SKIP_1) | instid1(VALU_DEP_3)
	v_sub_nc_u32_e32 v36, 0x79, v31
	v_cmp_gt_u32_e32 vcc_lo, 0x7a, v31
	v_or_b32_e32 v48, 0x800000, v3
	s_delay_alu instid0(VALU_DEP_3) | instskip(SKIP_1) | instid1(VALU_DEP_2)
	v_cndmask_b32_e32 v36, 0, v36, vcc_lo
	v_cmp_eq_u32_e32 vcc_lo, 0, v31
	v_cndmask_b32_e64 v54, v36, 0x78, vcc_lo
	s_delay_alu instid0(VALU_DEP_1) | instskip(SKIP_1) | instid1(VALU_DEP_2)
	v_dual_cndmask_b32 v86, v48, v3, vcc_lo :: v_dual_add_nc_u32 v36, 20, v54
	v_add_nc_u32_e32 v49, 19, v54
	v_lshlrev_b64_e64 v[36:37], v36, -1
	s_delay_alu instid0(VALU_DEP_2) | instskip(NEXT) | instid1(VALU_DEP_2)
	v_lshlrev_b64_e64 v[48:49], v49, 1
	v_bfi_b32 v103, v37, 0, 0
	s_delay_alu instid0(VALU_DEP_3) | instskip(SKIP_1) | instid1(VALU_DEP_2)
	v_bfi_b32 v102, v36, 0, v86
	v_lshrrev_b64 v[36:37], v54, v[86:87]
	v_cmp_eq_u64_e64 s7, v[102:103], v[48:49]
	s_delay_alu instid0(VALU_DEP_2)
	v_mov_b64_e32 v[48:49], v[36:37]
	s_and_saveexec_b32 s29, s7
; %bb.4270:                             ;   in Loop: Header=BB6_3974 Depth=2
	v_bfe_u32 v86, v36, 20, 1
	s_delay_alu instid0(VALU_DEP_1) | instskip(NEXT) | instid1(VALU_DEP_1)
	v_add_nc_u64_e32 v[48:49], v[36:37], v[86:87]
	v_add_nc_u64_e32 v[48:49], -1, v[48:49]
; %bb.4271:                             ;   in Loop: Header=BB6_3974 Depth=2
	s_or_b32 exec_lo, exec_lo, s29
	v_add_nc_u32_e32 v3, 0xffffff81, v31
	v_lshrrev_b32_e32 v31, 23, v36
	s_mov_b32 s7, exec_lo
	s_delay_alu instid0(VALU_DEP_2) | instskip(NEXT) | instid1(VALU_DEP_1)
	v_cndmask_b32_e64 v3, v3, 0xffffff82, vcc_lo
	v_add3_u32 v31, v54, v3, v31
	v_and_b32_e32 v3, 0xfffff, v48
	s_delay_alu instid0(VALU_DEP_1) | instskip(NEXT) | instid1(VALU_DEP_1)
	v_dual_add_nc_u32 v48, 6, v31 :: v_dual_add_nc_u32 v86, v3, v36
                                        ; implicit-def: $vgpr36_vgpr37
                                        ; implicit-def: $vgpr3
	v_cmpx_ne_u32_e32 0, v48
	s_xor_b32 s7, exec_lo, s7
; %bb.4272:                             ;   in Loop: Header=BB6_3974 Depth=2
	s_delay_alu instid0(VALU_DEP_2) | instskip(SKIP_2) | instid1(VALU_DEP_2)
	v_cmp_lt_u64_e32 vcc_lo, 0xffffff, v[86:87]
	v_add_nc_u32_e32 v3, 7, v31
	v_cndmask_b32_e64 v31, 0, 1, vcc_lo
	v_cndmask_b32_e32 v3, v48, v3, vcc_lo
	s_delay_alu instid0(VALU_DEP_2)
	v_lshrrev_b64 v[36:37], v31, v[86:87]
; %bb.4273:                             ;   in Loop: Header=BB6_3974 Depth=2
	s_and_not1_saveexec_b32 s7, s7
; %bb.4274:                             ;   in Loop: Header=BB6_3974 Depth=2
	v_mov_b64_e32 v[36:37], v[86:87]
	v_bfe_u32 v3, v86, 23, 1
; %bb.4275:                             ;   in Loop: Header=BB6_3974 Depth=2
	s_or_b32 exec_lo, exec_lo, s7
	s_delay_alu instid0(VALU_DEP_2) | instskip(NEXT) | instid1(VALU_DEP_2)
	v_lshrrev_b64 v[36:37], 20, v[36:37]
	v_cmp_gt_i32_e32 vcc_lo, 16, v3
	v_min_i32_e32 v31, 15, v3
	v_cmp_eq_u32_e64 s7, 0, v3
	s_delay_alu instid0(VALU_DEP_2) | instskip(SKIP_1) | instid1(VALU_DEP_2)
	v_dual_cndmask_b32 v37, 0, v37, vcc_lo :: v_dual_lshlrev_b32 v31, 3, v31
	v_cndmask_b32_e32 v36, 7, v36, vcc_lo
	v_and_b32_e32 v31, 0xf8, v31
	s_delay_alu instid0(VALU_DEP_2) | instskip(NEXT) | instid1(VALU_DEP_2)
	v_cmp_eq_u64_e32 vcc_lo, 0, v[36:37]
	v_and_or_b32 v3, v36, 7, v31
	s_and_b32 s7, s7, vcc_lo
	s_delay_alu instid0(VALU_DEP_1) | instid1(SALU_CYCLE_1)
	v_cndmask_b32_e64 v3, v3, 0, s7
	s_delay_alu instid0(VALU_DEP_1)
	v_or_b32_e32 v59, v3, v2
.LBB6_4276:                             ;   in Loop: Header=BB6_3974 Depth=2
	s_or_b32 exec_lo, exec_lo, s28
                                        ; implicit-def: $vgpr2
.LBB6_4277:                             ;   in Loop: Header=BB6_3974 Depth=2
	s_and_not1_saveexec_b32 s7, s27
; %bb.4278:                             ;   in Loop: Header=BB6_3974 Depth=2
	v_or_b32_e32 v59, 0x7e, v2
; %bb.4279:                             ;   in Loop: Header=BB6_3974 Depth=2
	s_or_b32 exec_lo, exec_lo, s7
                                        ; implicit-def: $vgpr2
.LBB6_4280:                             ;   in Loop: Header=BB6_3974 Depth=2
	s_and_not1_saveexec_b32 s7, s26
; %bb.4281:                             ;   in Loop: Header=BB6_3974 Depth=2
	v_or_b32_e32 v59, 0x7f, v2
; %bb.4282:                             ;   in Loop: Header=BB6_3974 Depth=2
	s_or_b32 exec_lo, exec_lo, s7
	v_dual_mov_b32 v2, 0 :: v_dual_lshrrev_b32 v31, 16, v50
	v_mov_b32_e32 v3, 0
	s_mov_b32 s7, exec_lo
	s_delay_alu instid0(VALU_DEP_2) | instskip(NEXT) | instid1(VALU_DEP_1)
	v_and_b32_e32 v36, 0xff, v31
	v_cmpx_ne_u16_e32 0, v36
	s_cbranch_execz .LBB6_4290
; %bb.4283:                             ;   in Loop: Header=BB6_3974 Depth=2
	v_bfrev_b32_e32 v3, 1
	s_mov_b32 s26, exec_lo
	v_cmpx_ne_u16_e32 0x80, v36
	s_cbranch_execz .LBB6_4289
; %bb.4284:                             ;   in Loop: Header=BB6_3974 Depth=2
	v_bfe_u32 v36, v50, 16, 7
	v_mov_b32_e32 v3, 0x7f800001
	s_mov_b32 s27, exec_lo
	s_delay_alu instid0(VALU_DEP_2)
	v_cmpx_ne_u32_e32 0x7f, v36
	s_cbranch_execz .LBB6_4288
; %bb.4285:                             ;   in Loop: Header=BB6_3974 Depth=2
	v_dual_lshrrev_b32 v3, 3, v36 :: v_dual_bitop2_b32 v86, 7, v31 bitop3:0x40
	s_mov_b32 s28, exec_lo
	v_cmpx_gt_u32_e32 8, v36
; %bb.4286:                             ;   in Loop: Header=BB6_3974 Depth=2
	s_delay_alu instid0(VALU_DEP_2) | instskip(NEXT) | instid1(VALU_DEP_1)
	v_clz_i32_u32_e32 v3, v86
	v_min_u32_e32 v3, 32, v3
	s_delay_alu instid0(VALU_DEP_1) | instskip(NEXT) | instid1(VALU_DEP_1)
	v_subrev_nc_u32_e32 v36, 28, v3
	v_lshlrev_b64_e32 v[36:37], v36, v[86:87]
	s_delay_alu instid0(VALU_DEP_1)
	v_dual_sub_nc_u32 v3, 29, v3 :: v_dual_bitop2_b32 v86, 7, v36 bitop3:0x40
; %bb.4287:                             ;   in Loop: Header=BB6_3974 Depth=2
	s_or_b32 exec_lo, exec_lo, s28
	s_delay_alu instid0(VALU_DEP_1) | instskip(NEXT) | instid1(VALU_DEP_2)
	v_dual_lshlrev_b32 v31, 24, v31 :: v_dual_lshlrev_b32 v36, 20, v86
	v_lshl_add_u32 v3, v3, 23, 0x3c000000
	s_delay_alu instid0(VALU_DEP_2) | instskip(NEXT) | instid1(VALU_DEP_1)
	v_and_b32_e32 v31, 0x80000000, v31
	v_or3_b32 v3, v36, v31, v3
.LBB6_4288:                             ;   in Loop: Header=BB6_3974 Depth=2
	s_or_b32 exec_lo, exec_lo, s27
.LBB6_4289:                             ;   in Loop: Header=BB6_3974 Depth=2
	s_delay_alu instid0(SALU_CYCLE_1)
	s_or_b32 exec_lo, exec_lo, s26
.LBB6_4290:                             ;   in Loop: Header=BB6_3974 Depth=2
	s_delay_alu instid0(SALU_CYCLE_1) | instskip(SKIP_2) | instid1(VALU_DEP_1)
	s_or_b32 exec_lo, exec_lo, s7
	v_lshrrev_b32_e32 v31, 16, v38
	s_mov_b32 s7, exec_lo
	v_and_b32_e32 v36, 0xff, v31
	s_delay_alu instid0(VALU_DEP_1)
	v_cmpx_ne_u16_e32 0, v36
	s_cbranch_execz .LBB6_4298
; %bb.4291:                             ;   in Loop: Header=BB6_3974 Depth=2
	v_bfrev_b32_e32 v2, 1
	s_mov_b32 s26, exec_lo
	v_cmpx_ne_u16_e32 0x80, v36
	s_cbranch_execz .LBB6_4297
; %bb.4292:                             ;   in Loop: Header=BB6_3974 Depth=2
	v_bfe_u32 v36, v38, 16, 7
	v_mov_b32_e32 v2, 0x7f800001
	s_mov_b32 s27, exec_lo
	s_delay_alu instid0(VALU_DEP_2)
	v_cmpx_ne_u32_e32 0x7f, v36
	s_cbranch_execz .LBB6_4296
; %bb.4293:                             ;   in Loop: Header=BB6_3974 Depth=2
	v_dual_lshrrev_b32 v2, 3, v36 :: v_dual_bitop2_b32 v86, 7, v31 bitop3:0x40
	s_mov_b32 s28, exec_lo
	v_cmpx_gt_u32_e32 8, v36
; %bb.4294:                             ;   in Loop: Header=BB6_3974 Depth=2
	s_delay_alu instid0(VALU_DEP_2) | instskip(NEXT) | instid1(VALU_DEP_1)
	v_clz_i32_u32_e32 v2, v86
	v_min_u32_e32 v2, 32, v2
	s_delay_alu instid0(VALU_DEP_1) | instskip(NEXT) | instid1(VALU_DEP_1)
	v_subrev_nc_u32_e32 v31, 28, v2
	v_lshlrev_b64_e32 v[36:37], v31, v[86:87]
	s_delay_alu instid0(VALU_DEP_1)
	v_dual_sub_nc_u32 v2, 29, v2 :: v_dual_bitop2_b32 v86, 7, v36 bitop3:0x40
; %bb.4295:                             ;   in Loop: Header=BB6_3974 Depth=2
	s_or_b32 exec_lo, exec_lo, s28
	v_lshlrev_b32_e32 v31, 8, v38
	s_delay_alu instid0(VALU_DEP_2) | instskip(NEXT) | instid1(VALU_DEP_3)
	v_lshlrev_b32_e32 v36, 20, v86
	v_lshl_add_u32 v2, v2, 23, 0x3c000000
	s_delay_alu instid0(VALU_DEP_3) | instskip(NEXT) | instid1(VALU_DEP_1)
	v_and_b32_e32 v31, 0x80000000, v31
	v_or3_b32 v2, v36, v31, v2
.LBB6_4296:                             ;   in Loop: Header=BB6_3974 Depth=2
	s_or_b32 exec_lo, exec_lo, s27
.LBB6_4297:                             ;   in Loop: Header=BB6_3974 Depth=2
	s_delay_alu instid0(SALU_CYCLE_1)
	s_or_b32 exec_lo, exec_lo, s26
.LBB6_4298:                             ;   in Loop: Header=BB6_3974 Depth=2
	s_delay_alu instid0(SALU_CYCLE_1) | instskip(NEXT) | instid1(VALU_DEP_1)
	s_or_b32 exec_lo, exec_lo, s7
	v_mul_f32_e32 v3, v3, v2
                                        ; implicit-def: $vgpr89
	s_mov_b32 s7, exec_lo
	s_delay_alu instid0(VALU_DEP_1) | instskip(SKIP_1) | instid1(VALU_DEP_2)
	v_and_b32_e32 v86, 0x7f800000, v3
	v_lshrrev_b32_e32 v2, 24, v3
	v_cmpx_ne_u64_e32 0x7f800000, v[86:87]
	s_xor_b32 s26, exec_lo, s7
	s_cbranch_execz .LBB6_4312
; %bb.4299:                             ;   in Loop: Header=BB6_3974 Depth=2
	v_and_b32_e32 v86, 0x7fffffff, v3
	v_and_b32_e32 v2, 0x80, v2
                                        ; implicit-def: $vgpr89
	s_mov_b32 s7, exec_lo
	s_delay_alu instid0(VALU_DEP_2)
	v_cmpx_gt_u64_e32 0x43e00001, v[86:87]
	s_xor_b32 s27, exec_lo, s7
	s_cbranch_execz .LBB6_4309
; %bb.4300:                             ;   in Loop: Header=BB6_3974 Depth=2
	v_mov_b32_e32 v89, 0
	s_mov_b32 s28, exec_lo
	v_cmpx_ne_u32_e32 0, v3
	s_cbranch_execz .LBB6_4308
; %bb.4301:                             ;   in Loop: Header=BB6_3974 Depth=2
	v_bfe_u32 v31, v3, 23, 8
	v_and_b32_e32 v3, 0x7fffff, v3
	s_delay_alu instid0(VALU_DEP_2) | instskip(SKIP_1) | instid1(VALU_DEP_3)
	v_sub_nc_u32_e32 v36, 0x79, v31
	v_cmp_gt_u32_e32 vcc_lo, 0x7a, v31
	v_or_b32_e32 v48, 0x800000, v3
	s_delay_alu instid0(VALU_DEP_3) | instskip(SKIP_1) | instid1(VALU_DEP_2)
	v_cndmask_b32_e32 v36, 0, v36, vcc_lo
	v_cmp_eq_u32_e32 vcc_lo, 0, v31
	v_cndmask_b32_e64 v54, v36, 0x78, vcc_lo
	s_delay_alu instid0(VALU_DEP_1) | instskip(SKIP_1) | instid1(VALU_DEP_2)
	v_dual_cndmask_b32 v86, v48, v3, vcc_lo :: v_dual_add_nc_u32 v36, 20, v54
	v_add_nc_u32_e32 v49, 19, v54
	v_lshlrev_b64_e64 v[36:37], v36, -1
	s_delay_alu instid0(VALU_DEP_2) | instskip(NEXT) | instid1(VALU_DEP_2)
	v_lshlrev_b64_e64 v[48:49], v49, 1
	v_bfi_b32 v103, v37, 0, 0
	s_delay_alu instid0(VALU_DEP_3) | instskip(SKIP_1) | instid1(VALU_DEP_2)
	v_bfi_b32 v102, v36, 0, v86
	v_lshrrev_b64 v[36:37], v54, v[86:87]
	v_cmp_eq_u64_e64 s7, v[102:103], v[48:49]
	s_delay_alu instid0(VALU_DEP_2)
	v_mov_b64_e32 v[48:49], v[36:37]
	s_and_saveexec_b32 s29, s7
; %bb.4302:                             ;   in Loop: Header=BB6_3974 Depth=2
	v_bfe_u32 v86, v36, 20, 1
	s_delay_alu instid0(VALU_DEP_1) | instskip(NEXT) | instid1(VALU_DEP_1)
	v_add_nc_u64_e32 v[48:49], v[36:37], v[86:87]
	v_add_nc_u64_e32 v[48:49], -1, v[48:49]
; %bb.4303:                             ;   in Loop: Header=BB6_3974 Depth=2
	s_or_b32 exec_lo, exec_lo, s29
	v_add_nc_u32_e32 v3, 0xffffff81, v31
	v_lshrrev_b32_e32 v31, 23, v36
	s_mov_b32 s7, exec_lo
	s_delay_alu instid0(VALU_DEP_2) | instskip(NEXT) | instid1(VALU_DEP_1)
	v_cndmask_b32_e64 v3, v3, 0xffffff82, vcc_lo
	v_add3_u32 v31, v54, v3, v31
	v_and_b32_e32 v3, 0xfffff, v48
	s_delay_alu instid0(VALU_DEP_1) | instskip(NEXT) | instid1(VALU_DEP_1)
	v_dual_add_nc_u32 v48, 6, v31 :: v_dual_add_nc_u32 v86, v3, v36
                                        ; implicit-def: $vgpr36_vgpr37
                                        ; implicit-def: $vgpr3
	v_cmpx_ne_u32_e32 0, v48
	s_xor_b32 s7, exec_lo, s7
; %bb.4304:                             ;   in Loop: Header=BB6_3974 Depth=2
	s_delay_alu instid0(VALU_DEP_2) | instskip(SKIP_2) | instid1(VALU_DEP_2)
	v_cmp_lt_u64_e32 vcc_lo, 0xffffff, v[86:87]
	v_add_nc_u32_e32 v3, 7, v31
	v_cndmask_b32_e64 v31, 0, 1, vcc_lo
	v_cndmask_b32_e32 v3, v48, v3, vcc_lo
	s_delay_alu instid0(VALU_DEP_2)
	v_lshrrev_b64 v[36:37], v31, v[86:87]
; %bb.4305:                             ;   in Loop: Header=BB6_3974 Depth=2
	s_and_not1_saveexec_b32 s7, s7
; %bb.4306:                             ;   in Loop: Header=BB6_3974 Depth=2
	v_mov_b64_e32 v[36:37], v[86:87]
	v_bfe_u32 v3, v86, 23, 1
; %bb.4307:                             ;   in Loop: Header=BB6_3974 Depth=2
	s_or_b32 exec_lo, exec_lo, s7
	s_delay_alu instid0(VALU_DEP_2) | instskip(NEXT) | instid1(VALU_DEP_2)
	v_lshrrev_b64 v[36:37], 20, v[36:37]
	v_cmp_gt_i32_e32 vcc_lo, 16, v3
	v_min_i32_e32 v31, 15, v3
	v_cmp_eq_u32_e64 s7, 0, v3
	s_delay_alu instid0(VALU_DEP_2) | instskip(SKIP_1) | instid1(VALU_DEP_2)
	v_dual_cndmask_b32 v37, 0, v37, vcc_lo :: v_dual_lshlrev_b32 v31, 3, v31
	v_cndmask_b32_e32 v36, 7, v36, vcc_lo
	v_and_b32_e32 v31, 0xf8, v31
	s_delay_alu instid0(VALU_DEP_2) | instskip(NEXT) | instid1(VALU_DEP_2)
	v_cmp_eq_u64_e32 vcc_lo, 0, v[36:37]
	v_and_or_b32 v3, v36, 7, v31
	s_and_b32 s7, s7, vcc_lo
	s_delay_alu instid0(VALU_DEP_1) | instid1(SALU_CYCLE_1)
	v_cndmask_b32_e64 v3, v3, 0, s7
	s_delay_alu instid0(VALU_DEP_1)
	v_or_b32_e32 v89, v3, v2
.LBB6_4308:                             ;   in Loop: Header=BB6_3974 Depth=2
	s_or_b32 exec_lo, exec_lo, s28
                                        ; implicit-def: $vgpr2
.LBB6_4309:                             ;   in Loop: Header=BB6_3974 Depth=2
	s_and_not1_saveexec_b32 s7, s27
; %bb.4310:                             ;   in Loop: Header=BB6_3974 Depth=2
	v_or_b32_e32 v89, 0x7e, v2
; %bb.4311:                             ;   in Loop: Header=BB6_3974 Depth=2
	s_or_b32 exec_lo, exec_lo, s7
                                        ; implicit-def: $vgpr2
.LBB6_4312:                             ;   in Loop: Header=BB6_3974 Depth=2
	s_and_not1_saveexec_b32 s7, s26
; %bb.4313:                             ;   in Loop: Header=BB6_3974 Depth=2
	v_or_b32_e32 v89, 0x7f, v2
; %bb.4314:                             ;   in Loop: Header=BB6_3974 Depth=2
	s_or_b32 exec_lo, exec_lo, s7
	v_dual_mov_b32 v2, 0 :: v_dual_mov_b32 v3, 0
	s_mov_b32 s7, exec_lo
	v_cmpx_lt_u32_e32 0xffffff, v50
	s_cbranch_execz .LBB6_4322
; %bb.4315:                             ;   in Loop: Header=BB6_3974 Depth=2
	v_lshrrev_b32_e32 v31, 24, v50
	v_bfrev_b32_e32 v3, 1
	s_mov_b32 s26, exec_lo
	s_delay_alu instid0(VALU_DEP_2)
	v_cmpx_ne_u32_e32 0x80, v31
	s_cbranch_execz .LBB6_4321
; %bb.4316:                             ;   in Loop: Header=BB6_3974 Depth=2
	v_bfe_u32 v36, v50, 24, 7
	v_mov_b32_e32 v3, 0x7f800001
	s_mov_b32 s27, exec_lo
	s_delay_alu instid0(VALU_DEP_2)
	v_cmpx_ne_u32_e32 0x7f, v36
	s_cbranch_execz .LBB6_4320
; %bb.4317:                             ;   in Loop: Header=BB6_3974 Depth=2
	v_dual_lshrrev_b32 v3, 3, v36 :: v_dual_bitop2_b32 v86, 7, v31 bitop3:0x40
	s_mov_b32 s28, exec_lo
	v_cmpx_gt_u32_e32 8, v36
; %bb.4318:                             ;   in Loop: Header=BB6_3974 Depth=2
	s_delay_alu instid0(VALU_DEP_2) | instskip(NEXT) | instid1(VALU_DEP_1)
	v_clz_i32_u32_e32 v3, v86
	v_min_u32_e32 v3, 32, v3
	s_delay_alu instid0(VALU_DEP_1) | instskip(NEXT) | instid1(VALU_DEP_1)
	v_subrev_nc_u32_e32 v36, 28, v3
	v_lshlrev_b64_e32 v[36:37], v36, v[86:87]
	s_delay_alu instid0(VALU_DEP_1)
	v_dual_sub_nc_u32 v3, 29, v3 :: v_dual_bitop2_b32 v86, 7, v36 bitop3:0x40
; %bb.4319:                             ;   in Loop: Header=BB6_3974 Depth=2
	s_or_b32 exec_lo, exec_lo, s28
	s_delay_alu instid0(VALU_DEP_1) | instskip(NEXT) | instid1(VALU_DEP_2)
	v_dual_lshlrev_b32 v31, 24, v31 :: v_dual_lshlrev_b32 v36, 20, v86
	v_lshl_add_u32 v3, v3, 23, 0x3c000000
	s_delay_alu instid0(VALU_DEP_2) | instskip(NEXT) | instid1(VALU_DEP_1)
	v_and_b32_e32 v31, 0x80000000, v31
	v_or3_b32 v3, v36, v31, v3
.LBB6_4320:                             ;   in Loop: Header=BB6_3974 Depth=2
	s_or_b32 exec_lo, exec_lo, s27
.LBB6_4321:                             ;   in Loop: Header=BB6_3974 Depth=2
	s_delay_alu instid0(SALU_CYCLE_1)
	s_or_b32 exec_lo, exec_lo, s26
.LBB6_4322:                             ;   in Loop: Header=BB6_3974 Depth=2
	s_delay_alu instid0(SALU_CYCLE_1) | instskip(NEXT) | instid1(SALU_CYCLE_1)
	s_or_b32 exec_lo, exec_lo, s7
	s_mov_b32 s7, exec_lo
	v_cmpx_lt_u32_e32 0xffffff, v38
	s_cbranch_execz .LBB6_4330
; %bb.4323:                             ;   in Loop: Header=BB6_3974 Depth=2
	v_lshrrev_b32_e32 v31, 24, v38
	v_bfrev_b32_e32 v2, 1
	s_mov_b32 s26, exec_lo
	s_delay_alu instid0(VALU_DEP_2)
	v_cmpx_ne_u32_e32 0x80, v31
	s_cbranch_execz .LBB6_4329
; %bb.4324:                             ;   in Loop: Header=BB6_3974 Depth=2
	v_bfe_u32 v36, v38, 24, 7
	v_mov_b32_e32 v2, 0x7f800001
	s_mov_b32 s27, exec_lo
	s_delay_alu instid0(VALU_DEP_2)
	v_cmpx_ne_u32_e32 0x7f, v36
	s_cbranch_execz .LBB6_4328
; %bb.4325:                             ;   in Loop: Header=BB6_3974 Depth=2
	v_dual_lshrrev_b32 v2, 3, v36 :: v_dual_bitop2_b32 v86, 7, v31 bitop3:0x40
	s_mov_b32 s28, exec_lo
	v_cmpx_gt_u32_e32 8, v36
; %bb.4326:                             ;   in Loop: Header=BB6_3974 Depth=2
	s_delay_alu instid0(VALU_DEP_2) | instskip(NEXT) | instid1(VALU_DEP_1)
	v_clz_i32_u32_e32 v2, v86
	v_min_u32_e32 v2, 32, v2
	s_delay_alu instid0(VALU_DEP_1) | instskip(NEXT) | instid1(VALU_DEP_1)
	v_subrev_nc_u32_e32 v36, 28, v2
	v_lshlrev_b64_e32 v[36:37], v36, v[86:87]
	s_delay_alu instid0(VALU_DEP_1)
	v_dual_sub_nc_u32 v2, 29, v2 :: v_dual_bitop2_b32 v86, 7, v36 bitop3:0x40
; %bb.4327:                             ;   in Loop: Header=BB6_3974 Depth=2
	s_or_b32 exec_lo, exec_lo, s28
	s_delay_alu instid0(VALU_DEP_1) | instskip(NEXT) | instid1(VALU_DEP_2)
	v_dual_lshlrev_b32 v31, 24, v31 :: v_dual_lshlrev_b32 v36, 20, v86
	v_lshl_add_u32 v2, v2, 23, 0x3c000000
	s_delay_alu instid0(VALU_DEP_2) | instskip(NEXT) | instid1(VALU_DEP_1)
	v_and_b32_e32 v31, 0x80000000, v31
	v_or3_b32 v2, v36, v31, v2
.LBB6_4328:                             ;   in Loop: Header=BB6_3974 Depth=2
	s_or_b32 exec_lo, exec_lo, s27
.LBB6_4329:                             ;   in Loop: Header=BB6_3974 Depth=2
	s_delay_alu instid0(SALU_CYCLE_1)
	s_or_b32 exec_lo, exec_lo, s26
.LBB6_4330:                             ;   in Loop: Header=BB6_3974 Depth=2
	s_delay_alu instid0(SALU_CYCLE_1) | instskip(NEXT) | instid1(VALU_DEP_1)
	s_or_b32 exec_lo, exec_lo, s7
	v_mul_f32_e32 v3, v3, v2
                                        ; implicit-def: $vgpr90
	s_mov_b32 s7, exec_lo
	s_delay_alu instid0(VALU_DEP_1) | instskip(SKIP_1) | instid1(VALU_DEP_2)
	v_and_b32_e32 v86, 0x7f800000, v3
	v_lshrrev_b32_e32 v2, 24, v3
	v_cmpx_ne_u64_e32 0x7f800000, v[86:87]
	s_xor_b32 s26, exec_lo, s7
	s_cbranch_execz .LBB6_4344
; %bb.4331:                             ;   in Loop: Header=BB6_3974 Depth=2
	v_and_b32_e32 v86, 0x7fffffff, v3
	v_and_b32_e32 v2, 0x80, v2
                                        ; implicit-def: $vgpr90
	s_mov_b32 s7, exec_lo
	s_delay_alu instid0(VALU_DEP_2)
	v_cmpx_gt_u64_e32 0x43e00001, v[86:87]
	s_xor_b32 s27, exec_lo, s7
	s_cbranch_execz .LBB6_4341
; %bb.4332:                             ;   in Loop: Header=BB6_3974 Depth=2
	v_mov_b32_e32 v90, 0
	s_mov_b32 s28, exec_lo
	v_cmpx_ne_u32_e32 0, v3
	s_cbranch_execz .LBB6_4340
; %bb.4333:                             ;   in Loop: Header=BB6_3974 Depth=2
	v_bfe_u32 v31, v3, 23, 8
	v_and_b32_e32 v3, 0x7fffff, v3
	s_delay_alu instid0(VALU_DEP_2) | instskip(SKIP_1) | instid1(VALU_DEP_3)
	v_sub_nc_u32_e32 v36, 0x79, v31
	v_cmp_gt_u32_e32 vcc_lo, 0x7a, v31
	v_or_b32_e32 v48, 0x800000, v3
	s_delay_alu instid0(VALU_DEP_3) | instskip(SKIP_1) | instid1(VALU_DEP_2)
	v_cndmask_b32_e32 v36, 0, v36, vcc_lo
	v_cmp_eq_u32_e32 vcc_lo, 0, v31
	v_cndmask_b32_e64 v54, v36, 0x78, vcc_lo
	s_delay_alu instid0(VALU_DEP_1) | instskip(SKIP_1) | instid1(VALU_DEP_2)
	v_dual_cndmask_b32 v86, v48, v3, vcc_lo :: v_dual_add_nc_u32 v36, 20, v54
	v_add_nc_u32_e32 v49, 19, v54
	v_lshlrev_b64_e64 v[36:37], v36, -1
	s_delay_alu instid0(VALU_DEP_2) | instskip(NEXT) | instid1(VALU_DEP_2)
	v_lshlrev_b64_e64 v[48:49], v49, 1
	v_bfi_b32 v103, v37, 0, 0
	s_delay_alu instid0(VALU_DEP_3) | instskip(SKIP_1) | instid1(VALU_DEP_2)
	v_bfi_b32 v102, v36, 0, v86
	v_lshrrev_b64 v[36:37], v54, v[86:87]
	v_cmp_eq_u64_e64 s7, v[102:103], v[48:49]
	s_delay_alu instid0(VALU_DEP_2)
	v_mov_b64_e32 v[48:49], v[36:37]
	s_and_saveexec_b32 s29, s7
; %bb.4334:                             ;   in Loop: Header=BB6_3974 Depth=2
	v_bfe_u32 v86, v36, 20, 1
	s_delay_alu instid0(VALU_DEP_1) | instskip(NEXT) | instid1(VALU_DEP_1)
	v_add_nc_u64_e32 v[48:49], v[36:37], v[86:87]
	v_add_nc_u64_e32 v[48:49], -1, v[48:49]
; %bb.4335:                             ;   in Loop: Header=BB6_3974 Depth=2
	s_or_b32 exec_lo, exec_lo, s29
	v_add_nc_u32_e32 v3, 0xffffff81, v31
	v_lshrrev_b32_e32 v31, 23, v36
	s_mov_b32 s7, exec_lo
	s_delay_alu instid0(VALU_DEP_2) | instskip(NEXT) | instid1(VALU_DEP_1)
	v_cndmask_b32_e64 v3, v3, 0xffffff82, vcc_lo
	v_add3_u32 v31, v54, v3, v31
	v_and_b32_e32 v3, 0xfffff, v48
	s_delay_alu instid0(VALU_DEP_1) | instskip(NEXT) | instid1(VALU_DEP_1)
	v_dual_add_nc_u32 v48, 6, v31 :: v_dual_add_nc_u32 v86, v3, v36
                                        ; implicit-def: $vgpr36_vgpr37
                                        ; implicit-def: $vgpr3
	v_cmpx_ne_u32_e32 0, v48
	s_xor_b32 s7, exec_lo, s7
; %bb.4336:                             ;   in Loop: Header=BB6_3974 Depth=2
	s_delay_alu instid0(VALU_DEP_2) | instskip(SKIP_2) | instid1(VALU_DEP_2)
	v_cmp_lt_u64_e32 vcc_lo, 0xffffff, v[86:87]
	v_add_nc_u32_e32 v3, 7, v31
	v_cndmask_b32_e64 v31, 0, 1, vcc_lo
	v_cndmask_b32_e32 v3, v48, v3, vcc_lo
	s_delay_alu instid0(VALU_DEP_2)
	v_lshrrev_b64 v[36:37], v31, v[86:87]
; %bb.4337:                             ;   in Loop: Header=BB6_3974 Depth=2
	s_and_not1_saveexec_b32 s7, s7
; %bb.4338:                             ;   in Loop: Header=BB6_3974 Depth=2
	v_mov_b64_e32 v[36:37], v[86:87]
	v_bfe_u32 v3, v86, 23, 1
; %bb.4339:                             ;   in Loop: Header=BB6_3974 Depth=2
	s_or_b32 exec_lo, exec_lo, s7
	s_delay_alu instid0(VALU_DEP_2) | instskip(NEXT) | instid1(VALU_DEP_2)
	v_lshrrev_b64 v[36:37], 20, v[36:37]
	v_cmp_gt_i32_e32 vcc_lo, 16, v3
	v_min_i32_e32 v31, 15, v3
	v_cmp_eq_u32_e64 s7, 0, v3
	s_delay_alu instid0(VALU_DEP_2) | instskip(SKIP_1) | instid1(VALU_DEP_2)
	v_dual_cndmask_b32 v37, 0, v37, vcc_lo :: v_dual_lshlrev_b32 v31, 3, v31
	v_cndmask_b32_e32 v36, 7, v36, vcc_lo
	v_and_b32_e32 v31, 0xf8, v31
	s_delay_alu instid0(VALU_DEP_2) | instskip(NEXT) | instid1(VALU_DEP_2)
	v_cmp_eq_u64_e32 vcc_lo, 0, v[36:37]
	v_and_or_b32 v3, v36, 7, v31
	s_and_b32 s7, s7, vcc_lo
	s_delay_alu instid0(VALU_DEP_1) | instid1(SALU_CYCLE_1)
	v_cndmask_b32_e64 v3, v3, 0, s7
	s_delay_alu instid0(VALU_DEP_1)
	v_or_b32_e32 v90, v3, v2
.LBB6_4340:                             ;   in Loop: Header=BB6_3974 Depth=2
	s_or_b32 exec_lo, exec_lo, s28
                                        ; implicit-def: $vgpr2
.LBB6_4341:                             ;   in Loop: Header=BB6_3974 Depth=2
	s_and_not1_saveexec_b32 s7, s27
; %bb.4342:                             ;   in Loop: Header=BB6_3974 Depth=2
	v_or_b32_e32 v90, 0x7e, v2
; %bb.4343:                             ;   in Loop: Header=BB6_3974 Depth=2
	s_or_b32 exec_lo, exec_lo, s7
                                        ; implicit-def: $vgpr2
.LBB6_4344:                             ;   in Loop: Header=BB6_3974 Depth=2
	s_and_not1_saveexec_b32 s7, s26
; %bb.4345:                             ;   in Loop: Header=BB6_3974 Depth=2
	v_or_b32_e32 v90, 0x7f, v2
; %bb.4346:                             ;   in Loop: Header=BB6_3974 Depth=2
	s_or_b32 exec_lo, exec_lo, s7
	v_and_b32_e32 v31, 0xff, v51
	v_dual_mov_b32 v86, v51 :: v_dual_mov_b32 v3, 0
	v_mov_b32_e32 v2, 0
	s_mov_b32 s7, exec_lo
	s_delay_alu instid0(VALU_DEP_3)
	v_cmpx_ne_u16_e32 0, v31
	s_cbranch_execz .LBB6_4352
; %bb.4347:                             ;   in Loop: Header=BB6_3974 Depth=2
	v_bfrev_b32_e32 v2, 1
	s_mov_b32 s26, exec_lo
	v_cmpx_ne_u16_e32 0x80, v31
	s_cbranch_execz .LBB6_4351
; %bb.4348:                             ;   in Loop: Header=BB6_3974 Depth=2
	v_and_b32_e32 v31, 0x7f, v51
	v_mov_b32_e32 v2, 0x7f800001
	s_mov_b32 s27, exec_lo
	s_delay_alu instid0(VALU_DEP_2)
	v_cmpx_ne_u32_e32 0x7f, v31
	s_cbranch_execz .LBB6_4350
; %bb.4349:                             ;   in Loop: Header=BB6_3974 Depth=2
	v_cmp_gt_u32_e32 vcc_lo, 8, v31
	v_and_b32_e32 v2, 7, v51
	s_delay_alu instid0(VALU_DEP_1) | instskip(NEXT) | instid1(VALU_DEP_1)
	v_clz_i32_u32_e32 v2, v2
	v_min_u32_e32 v2, 32, v2
	v_lshrrev_b32_e32 v36, 3, v31
	s_delay_alu instid0(VALU_DEP_2) | instskip(NEXT) | instid1(VALU_DEP_1)
	v_subrev_nc_u32_e32 v37, 28, v2
	v_dual_cndmask_b32 v31, 0, v37 :: v_dual_sub_nc_u32 v2, 29, v2
	s_delay_alu instid0(VALU_DEP_1) | instskip(NEXT) | instid1(VALU_DEP_2)
	v_cndmask_b32_e32 v2, v36, v2, vcc_lo
	v_lshlrev_b64_e32 v[36:37], v31, v[86:87]
	v_lshlrev_b32_e32 v31, 24, v86
	s_delay_alu instid0(VALU_DEP_1) | instskip(NEXT) | instid1(VALU_DEP_3)
	v_and_b32_e32 v31, 0x80000000, v31
	v_lshlrev_b32_e32 v36, 20, v36
	v_lshl_add_u32 v2, v2, 23, 0x3c000000
	s_delay_alu instid0(VALU_DEP_2) | instskip(NEXT) | instid1(VALU_DEP_1)
	v_and_b32_e32 v36, 0x700000, v36
	v_or3_b32 v2, v36, v31, v2
.LBB6_4350:                             ;   in Loop: Header=BB6_3974 Depth=2
	s_or_b32 exec_lo, exec_lo, s27
.LBB6_4351:                             ;   in Loop: Header=BB6_3974 Depth=2
	s_delay_alu instid0(SALU_CYCLE_1)
	s_or_b32 exec_lo, exec_lo, s26
.LBB6_4352:                             ;   in Loop: Header=BB6_3974 Depth=2
	s_delay_alu instid0(SALU_CYCLE_1) | instskip(SKIP_2) | instid1(VALU_DEP_1)
	s_or_b32 exec_lo, exec_lo, s7
	v_and_b32_e32 v31, 0xff, v39
	s_mov_b32 s7, exec_lo
	v_cmpx_ne_u16_e32 0, v31
	s_cbranch_execz .LBB6_4358
; %bb.4353:                             ;   in Loop: Header=BB6_3974 Depth=2
	v_bfrev_b32_e32 v3, 1
	s_mov_b32 s26, exec_lo
	v_cmpx_ne_u16_e32 0x80, v31
	s_cbranch_execz .LBB6_4357
; %bb.4354:                             ;   in Loop: Header=BB6_3974 Depth=2
	v_and_b32_e32 v31, 0x7f, v39
	v_mov_b32_e32 v3, 0x7f800001
	s_mov_b32 s27, exec_lo
	s_delay_alu instid0(VALU_DEP_2)
	v_cmpx_ne_u32_e32 0x7f, v31
	s_cbranch_execz .LBB6_4356
; %bb.4355:                             ;   in Loop: Header=BB6_3974 Depth=2
	v_dual_mov_b32 v36, v39 :: v_dual_bitop2_b32 v3, 7, v39 bitop3:0x40
	v_cmp_gt_u32_e32 vcc_lo, 8, v31
	v_dual_mov_b32 v37, v87 :: v_dual_lshrrev_b32 v48, 3, v31
	s_delay_alu instid0(VALU_DEP_3) | instskip(NEXT) | instid1(VALU_DEP_1)
	v_clz_i32_u32_e32 v3, v3
	v_min_u32_e32 v3, 32, v3
	s_delay_alu instid0(VALU_DEP_1) | instskip(SKIP_1) | instid1(VALU_DEP_1)
	v_sub_nc_u32_e32 v49, 29, v3
	v_subrev_nc_u32_e32 v3, 28, v3
	v_dual_cndmask_b32 v3, 0, v3, vcc_lo :: v_dual_cndmask_b32 v31, v48, v49, vcc_lo
	s_delay_alu instid0(VALU_DEP_1) | instskip(SKIP_1) | instid1(VALU_DEP_3)
	v_lshlrev_b64_e32 v[48:49], v3, v[36:37]
	v_lshlrev_b32_e32 v3, 24, v36
	v_lshl_add_u32 v31, v31, 23, 0x3c000000
	s_delay_alu instid0(VALU_DEP_2) | instskip(NEXT) | instid1(VALU_DEP_4)
	v_and_b32_e32 v3, 0x80000000, v3
	v_lshlrev_b32_e32 v36, 20, v48
	s_delay_alu instid0(VALU_DEP_1) | instskip(NEXT) | instid1(VALU_DEP_1)
	v_and_b32_e32 v36, 0x700000, v36
	v_or3_b32 v3, v36, v3, v31
.LBB6_4356:                             ;   in Loop: Header=BB6_3974 Depth=2
	s_or_b32 exec_lo, exec_lo, s27
.LBB6_4357:                             ;   in Loop: Header=BB6_3974 Depth=2
	s_delay_alu instid0(SALU_CYCLE_1)
	s_or_b32 exec_lo, exec_lo, s26
.LBB6_4358:                             ;   in Loop: Header=BB6_3974 Depth=2
	s_delay_alu instid0(SALU_CYCLE_1) | instskip(NEXT) | instid1(VALU_DEP_1)
	s_or_b32 exec_lo, exec_lo, s7
	v_dual_mul_f32 v3, v2, v3 :: v_dual_mov_b32 v37, v87
                                        ; implicit-def: $vgpr91
	s_mov_b32 s7, exec_lo
	s_delay_alu instid0(VALU_DEP_1) | instskip(SKIP_1) | instid1(VALU_DEP_2)
	v_and_b32_e32 v36, 0x7f800000, v3
	v_lshrrev_b32_e32 v2, 24, v3
	v_cmpx_ne_u64_e32 0x7f800000, v[36:37]
	s_xor_b32 s26, exec_lo, s7
	s_cbranch_execz .LBB6_4372
; %bb.4359:                             ;   in Loop: Header=BB6_3974 Depth=2
	v_and_b32_e32 v36, 0x7fffffff, v3
	v_mov_b32_e32 v37, v87
	v_and_b32_e32 v2, 0x80, v2
                                        ; implicit-def: $vgpr91
	s_mov_b32 s7, exec_lo
	s_delay_alu instid0(VALU_DEP_2)
	v_cmpx_gt_u64_e32 0x43e00001, v[36:37]
	s_xor_b32 s27, exec_lo, s7
	s_cbranch_execz .LBB6_4369
; %bb.4360:                             ;   in Loop: Header=BB6_3974 Depth=2
	v_mov_b32_e32 v91, 0
	s_mov_b32 s28, exec_lo
	v_cmpx_ne_u32_e32 0, v3
	s_cbranch_execz .LBB6_4368
; %bb.4361:                             ;   in Loop: Header=BB6_3974 Depth=2
	v_bfe_u32 v31, v3, 23, 8
	v_and_b32_e32 v3, 0x7fffff, v3
	s_mov_b32 s29, exec_lo
	s_delay_alu instid0(VALU_DEP_2) | instskip(SKIP_1) | instid1(VALU_DEP_3)
	v_dual_mov_b32 v49, v87 :: v_dual_sub_nc_u32 v36, 0x79, v31
	v_cmp_gt_u32_e32 vcc_lo, 0x7a, v31
	v_or_b32_e32 v48, 0x800000, v3
	s_delay_alu instid0(VALU_DEP_3) | instskip(SKIP_1) | instid1(VALU_DEP_2)
	v_cndmask_b32_e32 v36, 0, v36, vcc_lo
	v_cmp_eq_u32_e32 vcc_lo, 0, v31
	v_cndmask_b32_e64 v54, v36, 0x78, vcc_lo
	s_delay_alu instid0(VALU_DEP_1) | instskip(SKIP_1) | instid1(VALU_DEP_2)
	v_dual_cndmask_b32 v48, v48, v3, vcc_lo :: v_dual_add_nc_u32 v36, 20, v54
	v_add_nc_u32_e32 v55, 19, v54
	v_lshlrev_b64_e64 v[36:37], v36, -1
	s_delay_alu instid0(VALU_DEP_2) | instskip(NEXT) | instid1(VALU_DEP_2)
	v_lshlrev_b64_e64 v[102:103], v55, 1
	v_bfi_b32 v93, v37, 0, 0
	s_delay_alu instid0(VALU_DEP_3) | instskip(SKIP_1) | instid1(VALU_DEP_1)
	v_bfi_b32 v92, v36, 0, v48
	v_lshrrev_b64 v[36:37], v54, v[48:49]
	v_mov_b64_e32 v[48:49], v[36:37]
	s_delay_alu instid0(VALU_DEP_3)
	v_cmpx_eq_u64_e64 v[92:93], v[102:103]
; %bb.4362:                             ;   in Loop: Header=BB6_3974 Depth=2
	v_bfe_u32 v48, v36, 20, 1
	v_mov_b32_e32 v49, v87
	s_delay_alu instid0(VALU_DEP_1) | instskip(NEXT) | instid1(VALU_DEP_1)
	v_add_nc_u64_e32 v[48:49], v[36:37], v[48:49]
	v_add_nc_u64_e32 v[48:49], -1, v[48:49]
; %bb.4363:                             ;   in Loop: Header=BB6_3974 Depth=2
	s_or_b32 exec_lo, exec_lo, s29
	v_add_nc_u32_e32 v3, 0xffffff81, v31
	v_lshrrev_b32_e32 v31, 23, v36
	s_mov_b32 s7, exec_lo
	v_mov_b32_e32 v37, v87
	s_delay_alu instid0(VALU_DEP_3) | instskip(NEXT) | instid1(VALU_DEP_1)
	v_cndmask_b32_e64 v3, v3, 0xffffff82, vcc_lo
	v_add3_u32 v31, v54, v3, v31
	v_and_b32_e32 v3, 0xfffff, v48
	s_delay_alu instid0(VALU_DEP_1) | instskip(NEXT) | instid1(VALU_DEP_1)
	v_dual_add_nc_u32 v48, 6, v31 :: v_dual_add_nc_u32 v36, v3, v36
                                        ; implicit-def: $vgpr3
	v_cmpx_ne_u32_e32 0, v48
	s_xor_b32 s7, exec_lo, s7
; %bb.4364:                             ;   in Loop: Header=BB6_3974 Depth=2
	s_delay_alu instid0(VALU_DEP_2) | instskip(SKIP_2) | instid1(VALU_DEP_2)
	v_cmp_lt_u64_e32 vcc_lo, 0xffffff, v[36:37]
	v_add_nc_u32_e32 v3, 7, v31
	v_cndmask_b32_e64 v31, 0, 1, vcc_lo
	v_cndmask_b32_e32 v3, v48, v3, vcc_lo
	s_delay_alu instid0(VALU_DEP_2)
	v_lshrrev_b64 v[36:37], v31, v[36:37]
; %bb.4365:                             ;   in Loop: Header=BB6_3974 Depth=2
	s_and_not1_saveexec_b32 s7, s7
; %bb.4366:                             ;   in Loop: Header=BB6_3974 Depth=2
	s_delay_alu instid0(VALU_DEP_1)
	v_bfe_u32 v3, v36, 23, 1
; %bb.4367:                             ;   in Loop: Header=BB6_3974 Depth=2
	s_or_b32 exec_lo, exec_lo, s7
	s_delay_alu instid0(VALU_DEP_2) | instskip(NEXT) | instid1(VALU_DEP_2)
	v_lshrrev_b64 v[36:37], 20, v[36:37]
	v_cmp_gt_i32_e32 vcc_lo, 16, v3
	v_min_i32_e32 v31, 15, v3
	v_cmp_eq_u32_e64 s7, 0, v3
	s_delay_alu instid0(VALU_DEP_2) | instskip(SKIP_1) | instid1(VALU_DEP_2)
	v_dual_cndmask_b32 v37, 0, v37, vcc_lo :: v_dual_lshlrev_b32 v31, 3, v31
	v_cndmask_b32_e32 v36, 7, v36, vcc_lo
	v_and_b32_e32 v31, 0xf8, v31
	s_delay_alu instid0(VALU_DEP_2) | instskip(NEXT) | instid1(VALU_DEP_2)
	v_cmp_eq_u64_e32 vcc_lo, 0, v[36:37]
	v_and_or_b32 v3, v36, 7, v31
	s_and_b32 s7, s7, vcc_lo
	s_delay_alu instid0(VALU_DEP_1) | instid1(SALU_CYCLE_1)
	v_cndmask_b32_e64 v3, v3, 0, s7
	s_delay_alu instid0(VALU_DEP_1)
	v_or_b32_e32 v91, v3, v2
.LBB6_4368:                             ;   in Loop: Header=BB6_3974 Depth=2
	s_or_b32 exec_lo, exec_lo, s28
                                        ; implicit-def: $vgpr2
.LBB6_4369:                             ;   in Loop: Header=BB6_3974 Depth=2
	s_and_not1_saveexec_b32 s7, s27
; %bb.4370:                             ;   in Loop: Header=BB6_3974 Depth=2
	v_or_b32_e32 v91, 0x7e, v2
; %bb.4371:                             ;   in Loop: Header=BB6_3974 Depth=2
	s_or_b32 exec_lo, exec_lo, s7
                                        ; implicit-def: $vgpr2
.LBB6_4372:                             ;   in Loop: Header=BB6_3974 Depth=2
	s_and_not1_saveexec_b32 s7, s26
; %bb.4373:                             ;   in Loop: Header=BB6_3974 Depth=2
	v_or_b32_e32 v91, 0x7f, v2
; %bb.4374:                             ;   in Loop: Header=BB6_3974 Depth=2
	s_or_b32 exec_lo, exec_lo, s7
	v_lshrrev_b16 v31, 8, v86
	v_dual_mov_b32 v2, 0 :: v_dual_mov_b32 v3, 0
	s_mov_b32 s7, exec_lo
	s_delay_alu instid0(VALU_DEP_2)
	v_cmpx_ne_u16_e32 0, v31
	s_cbranch_execz .LBB6_4382
; %bb.4375:                             ;   in Loop: Header=BB6_3974 Depth=2
	v_bfrev_b32_e32 v3, 1
	s_mov_b32 s26, exec_lo
	v_cmpx_ne_u16_e32 0x80, v31
	s_cbranch_execz .LBB6_4381
; %bb.4376:                             ;   in Loop: Header=BB6_3974 Depth=2
	v_and_b32_e32 v36, 0xffff, v31
	v_mov_b32_e32 v3, 0x7f800001
	s_mov_b32 s27, exec_lo
	s_delay_alu instid0(VALU_DEP_2) | instskip(NEXT) | instid1(VALU_DEP_1)
	v_and_b32_e32 v31, 0x7f, v36
	v_cmpx_ne_u32_e32 0x7f, v31
	s_cbranch_execz .LBB6_4380
; %bb.4377:                             ;   in Loop: Header=BB6_3974 Depth=2
	v_dual_mov_b32 v37, v87 :: v_dual_bitop2_b32 v36, 7, v36 bitop3:0x40
	v_lshrrev_b32_e32 v3, 3, v31
	s_mov_b32 s28, exec_lo
	v_cmpx_gt_u32_e32 8, v31
; %bb.4378:                             ;   in Loop: Header=BB6_3974 Depth=2
	s_delay_alu instid0(VALU_DEP_3) | instskip(NEXT) | instid1(VALU_DEP_1)
	v_clz_i32_u32_e32 v3, v36
	v_min_u32_e32 v3, 32, v3
	s_delay_alu instid0(VALU_DEP_1) | instskip(NEXT) | instid1(VALU_DEP_1)
	v_subrev_nc_u32_e32 v31, 28, v3
	v_lshlrev_b64_e32 v[36:37], v31, v[36:37]
	s_delay_alu instid0(VALU_DEP_1)
	v_dual_sub_nc_u32 v3, 29, v3 :: v_dual_bitop2_b32 v36, 7, v36 bitop3:0x40
; %bb.4379:                             ;   in Loop: Header=BB6_3974 Depth=2
	s_or_b32 exec_lo, exec_lo, s28
	s_delay_alu instid0(VALU_DEP_1) | instskip(NEXT) | instid1(VALU_DEP_2)
	v_dual_lshlrev_b32 v31, 16, v86 :: v_dual_lshlrev_b32 v36, 20, v36
	v_lshl_add_u32 v3, v3, 23, 0x3c000000
	s_delay_alu instid0(VALU_DEP_2) | instskip(NEXT) | instid1(VALU_DEP_1)
	v_and_b32_e32 v31, 0x80000000, v31
	v_or3_b32 v3, v36, v31, v3
.LBB6_4380:                             ;   in Loop: Header=BB6_3974 Depth=2
	s_or_b32 exec_lo, exec_lo, s27
.LBB6_4381:                             ;   in Loop: Header=BB6_3974 Depth=2
	s_delay_alu instid0(SALU_CYCLE_1)
	s_or_b32 exec_lo, exec_lo, s26
.LBB6_4382:                             ;   in Loop: Header=BB6_3974 Depth=2
	s_delay_alu instid0(SALU_CYCLE_1) | instskip(SKIP_2) | instid1(VALU_DEP_1)
	s_or_b32 exec_lo, exec_lo, s7
	v_lshrrev_b16 v31, 8, v39
	s_mov_b32 s7, exec_lo
	v_cmpx_ne_u16_e32 0, v31
	s_cbranch_execz .LBB6_4390
; %bb.4383:                             ;   in Loop: Header=BB6_3974 Depth=2
	v_bfrev_b32_e32 v2, 1
	s_mov_b32 s26, exec_lo
	v_cmpx_ne_u16_e32 0x80, v31
	s_cbranch_execz .LBB6_4389
; %bb.4384:                             ;   in Loop: Header=BB6_3974 Depth=2
	v_and_b32_e32 v36, 0xffff, v31
	v_mov_b32_e32 v2, 0x7f800001
	s_mov_b32 s27, exec_lo
	s_delay_alu instid0(VALU_DEP_2) | instskip(NEXT) | instid1(VALU_DEP_1)
	v_and_b32_e32 v31, 0x7f, v36
	v_cmpx_ne_u32_e32 0x7f, v31
	s_cbranch_execz .LBB6_4388
; %bb.4385:                             ;   in Loop: Header=BB6_3974 Depth=2
	v_dual_lshrrev_b32 v2, 3, v31 :: v_dual_bitop2_b32 v86, 7, v36 bitop3:0x40
	s_mov_b32 s28, exec_lo
	v_cmpx_gt_u32_e32 8, v31
; %bb.4386:                             ;   in Loop: Header=BB6_3974 Depth=2
	s_delay_alu instid0(VALU_DEP_2) | instskip(NEXT) | instid1(VALU_DEP_1)
	v_clz_i32_u32_e32 v2, v86
	v_min_u32_e32 v2, 32, v2
	s_delay_alu instid0(VALU_DEP_1) | instskip(NEXT) | instid1(VALU_DEP_1)
	v_subrev_nc_u32_e32 v31, 28, v2
	v_lshlrev_b64_e32 v[36:37], v31, v[86:87]
	s_delay_alu instid0(VALU_DEP_1)
	v_dual_sub_nc_u32 v2, 29, v2 :: v_dual_bitop2_b32 v86, 7, v36 bitop3:0x40
; %bb.4387:                             ;   in Loop: Header=BB6_3974 Depth=2
	s_or_b32 exec_lo, exec_lo, s28
	s_delay_alu instid0(VALU_DEP_1) | instskip(NEXT) | instid1(VALU_DEP_2)
	v_dual_lshlrev_b32 v31, 16, v39 :: v_dual_lshlrev_b32 v36, 20, v86
	v_lshl_add_u32 v2, v2, 23, 0x3c000000
	s_delay_alu instid0(VALU_DEP_2) | instskip(NEXT) | instid1(VALU_DEP_1)
	v_and_b32_e32 v31, 0x80000000, v31
	v_or3_b32 v2, v36, v31, v2
.LBB6_4388:                             ;   in Loop: Header=BB6_3974 Depth=2
	s_or_b32 exec_lo, exec_lo, s27
.LBB6_4389:                             ;   in Loop: Header=BB6_3974 Depth=2
	s_delay_alu instid0(SALU_CYCLE_1)
	s_or_b32 exec_lo, exec_lo, s26
.LBB6_4390:                             ;   in Loop: Header=BB6_3974 Depth=2
	s_delay_alu instid0(SALU_CYCLE_1) | instskip(NEXT) | instid1(VALU_DEP_1)
	s_or_b32 exec_lo, exec_lo, s7
	v_mul_f32_e32 v3, v3, v2
                                        ; implicit-def: $vgpr92
	s_mov_b32 s7, exec_lo
	s_delay_alu instid0(VALU_DEP_1) | instskip(SKIP_1) | instid1(VALU_DEP_2)
	v_and_b32_e32 v86, 0x7f800000, v3
	v_lshrrev_b32_e32 v2, 24, v3
	v_cmpx_ne_u64_e32 0x7f800000, v[86:87]
	s_xor_b32 s26, exec_lo, s7
	s_cbranch_execz .LBB6_4404
; %bb.4391:                             ;   in Loop: Header=BB6_3974 Depth=2
	v_and_b32_e32 v86, 0x7fffffff, v3
	v_and_b32_e32 v2, 0x80, v2
                                        ; implicit-def: $vgpr92
	s_mov_b32 s7, exec_lo
	s_delay_alu instid0(VALU_DEP_2)
	v_cmpx_gt_u64_e32 0x43e00001, v[86:87]
	s_xor_b32 s27, exec_lo, s7
	s_cbranch_execz .LBB6_4401
; %bb.4392:                             ;   in Loop: Header=BB6_3974 Depth=2
	v_mov_b32_e32 v92, 0
	s_mov_b32 s28, exec_lo
	v_cmpx_ne_u32_e32 0, v3
	s_cbranch_execz .LBB6_4400
; %bb.4393:                             ;   in Loop: Header=BB6_3974 Depth=2
	v_bfe_u32 v31, v3, 23, 8
	v_and_b32_e32 v3, 0x7fffff, v3
	s_delay_alu instid0(VALU_DEP_2) | instskip(SKIP_1) | instid1(VALU_DEP_3)
	v_sub_nc_u32_e32 v36, 0x79, v31
	v_cmp_gt_u32_e32 vcc_lo, 0x7a, v31
	v_or_b32_e32 v48, 0x800000, v3
	s_delay_alu instid0(VALU_DEP_3) | instskip(SKIP_1) | instid1(VALU_DEP_2)
	v_cndmask_b32_e32 v36, 0, v36, vcc_lo
	v_cmp_eq_u32_e32 vcc_lo, 0, v31
	v_cndmask_b32_e64 v54, v36, 0x78, vcc_lo
	s_delay_alu instid0(VALU_DEP_1) | instskip(SKIP_1) | instid1(VALU_DEP_2)
	v_dual_cndmask_b32 v86, v48, v3, vcc_lo :: v_dual_add_nc_u32 v36, 20, v54
	v_add_nc_u32_e32 v49, 19, v54
	v_lshlrev_b64_e64 v[36:37], v36, -1
	s_delay_alu instid0(VALU_DEP_2) | instskip(NEXT) | instid1(VALU_DEP_2)
	v_lshlrev_b64_e64 v[48:49], v49, 1
	v_bfi_b32 v103, v37, 0, 0
	s_delay_alu instid0(VALU_DEP_3) | instskip(SKIP_1) | instid1(VALU_DEP_2)
	v_bfi_b32 v102, v36, 0, v86
	v_lshrrev_b64 v[36:37], v54, v[86:87]
	v_cmp_eq_u64_e64 s7, v[102:103], v[48:49]
	s_delay_alu instid0(VALU_DEP_2)
	v_mov_b64_e32 v[48:49], v[36:37]
	s_and_saveexec_b32 s29, s7
; %bb.4394:                             ;   in Loop: Header=BB6_3974 Depth=2
	v_bfe_u32 v86, v36, 20, 1
	s_delay_alu instid0(VALU_DEP_1) | instskip(NEXT) | instid1(VALU_DEP_1)
	v_add_nc_u64_e32 v[48:49], v[36:37], v[86:87]
	v_add_nc_u64_e32 v[48:49], -1, v[48:49]
; %bb.4395:                             ;   in Loop: Header=BB6_3974 Depth=2
	s_or_b32 exec_lo, exec_lo, s29
	v_add_nc_u32_e32 v3, 0xffffff81, v31
	v_lshrrev_b32_e32 v31, 23, v36
	s_mov_b32 s7, exec_lo
	s_delay_alu instid0(VALU_DEP_2) | instskip(NEXT) | instid1(VALU_DEP_1)
	v_cndmask_b32_e64 v3, v3, 0xffffff82, vcc_lo
	v_add3_u32 v31, v54, v3, v31
	v_and_b32_e32 v3, 0xfffff, v48
	s_delay_alu instid0(VALU_DEP_1) | instskip(NEXT) | instid1(VALU_DEP_1)
	v_dual_add_nc_u32 v48, 6, v31 :: v_dual_add_nc_u32 v86, v3, v36
                                        ; implicit-def: $vgpr36_vgpr37
                                        ; implicit-def: $vgpr3
	v_cmpx_ne_u32_e32 0, v48
	s_xor_b32 s7, exec_lo, s7
; %bb.4396:                             ;   in Loop: Header=BB6_3974 Depth=2
	s_delay_alu instid0(VALU_DEP_2) | instskip(SKIP_2) | instid1(VALU_DEP_2)
	v_cmp_lt_u64_e32 vcc_lo, 0xffffff, v[86:87]
	v_add_nc_u32_e32 v3, 7, v31
	v_cndmask_b32_e64 v31, 0, 1, vcc_lo
	v_cndmask_b32_e32 v3, v48, v3, vcc_lo
	s_delay_alu instid0(VALU_DEP_2)
	v_lshrrev_b64 v[36:37], v31, v[86:87]
; %bb.4397:                             ;   in Loop: Header=BB6_3974 Depth=2
	s_and_not1_saveexec_b32 s7, s7
; %bb.4398:                             ;   in Loop: Header=BB6_3974 Depth=2
	v_mov_b64_e32 v[36:37], v[86:87]
	v_bfe_u32 v3, v86, 23, 1
; %bb.4399:                             ;   in Loop: Header=BB6_3974 Depth=2
	s_or_b32 exec_lo, exec_lo, s7
	s_delay_alu instid0(VALU_DEP_2) | instskip(NEXT) | instid1(VALU_DEP_2)
	v_lshrrev_b64 v[36:37], 20, v[36:37]
	v_cmp_gt_i32_e32 vcc_lo, 16, v3
	v_min_i32_e32 v31, 15, v3
	v_cmp_eq_u32_e64 s7, 0, v3
	s_delay_alu instid0(VALU_DEP_2) | instskip(SKIP_1) | instid1(VALU_DEP_2)
	v_dual_cndmask_b32 v37, 0, v37, vcc_lo :: v_dual_lshlrev_b32 v31, 3, v31
	v_cndmask_b32_e32 v36, 7, v36, vcc_lo
	v_and_b32_e32 v31, 0xf8, v31
	s_delay_alu instid0(VALU_DEP_2) | instskip(NEXT) | instid1(VALU_DEP_2)
	v_cmp_eq_u64_e32 vcc_lo, 0, v[36:37]
	v_and_or_b32 v3, v36, 7, v31
	s_and_b32 s7, s7, vcc_lo
	s_delay_alu instid0(VALU_DEP_1) | instid1(SALU_CYCLE_1)
	v_cndmask_b32_e64 v3, v3, 0, s7
	s_delay_alu instid0(VALU_DEP_1)
	v_or_b32_e32 v92, v3, v2
.LBB6_4400:                             ;   in Loop: Header=BB6_3974 Depth=2
	s_or_b32 exec_lo, exec_lo, s28
                                        ; implicit-def: $vgpr2
.LBB6_4401:                             ;   in Loop: Header=BB6_3974 Depth=2
	s_and_not1_saveexec_b32 s7, s27
; %bb.4402:                             ;   in Loop: Header=BB6_3974 Depth=2
	v_or_b32_e32 v92, 0x7e, v2
; %bb.4403:                             ;   in Loop: Header=BB6_3974 Depth=2
	s_or_b32 exec_lo, exec_lo, s7
                                        ; implicit-def: $vgpr2
.LBB6_4404:                             ;   in Loop: Header=BB6_3974 Depth=2
	s_and_not1_saveexec_b32 s7, s26
; %bb.4405:                             ;   in Loop: Header=BB6_3974 Depth=2
	v_or_b32_e32 v92, 0x7f, v2
; %bb.4406:                             ;   in Loop: Header=BB6_3974 Depth=2
	s_or_b32 exec_lo, exec_lo, s7
	v_dual_mov_b32 v2, 0 :: v_dual_lshrrev_b32 v31, 16, v51
	v_mov_b32_e32 v3, 0
	s_mov_b32 s7, exec_lo
	s_delay_alu instid0(VALU_DEP_2) | instskip(NEXT) | instid1(VALU_DEP_1)
	v_and_b32_e32 v36, 0xff, v31
	v_cmpx_ne_u16_e32 0, v36
	s_cbranch_execz .LBB6_4414
; %bb.4407:                             ;   in Loop: Header=BB6_3974 Depth=2
	v_bfrev_b32_e32 v3, 1
	s_mov_b32 s26, exec_lo
	v_cmpx_ne_u16_e32 0x80, v36
	s_cbranch_execz .LBB6_4413
; %bb.4408:                             ;   in Loop: Header=BB6_3974 Depth=2
	v_bfe_u32 v36, v51, 16, 7
	v_mov_b32_e32 v3, 0x7f800001
	s_mov_b32 s27, exec_lo
	s_delay_alu instid0(VALU_DEP_2)
	v_cmpx_ne_u32_e32 0x7f, v36
	s_cbranch_execz .LBB6_4412
; %bb.4409:                             ;   in Loop: Header=BB6_3974 Depth=2
	v_dual_lshrrev_b32 v3, 3, v36 :: v_dual_bitop2_b32 v86, 7, v31 bitop3:0x40
	s_mov_b32 s28, exec_lo
	v_cmpx_gt_u32_e32 8, v36
; %bb.4410:                             ;   in Loop: Header=BB6_3974 Depth=2
	s_delay_alu instid0(VALU_DEP_2) | instskip(NEXT) | instid1(VALU_DEP_1)
	v_clz_i32_u32_e32 v3, v86
	v_min_u32_e32 v3, 32, v3
	s_delay_alu instid0(VALU_DEP_1) | instskip(NEXT) | instid1(VALU_DEP_1)
	v_subrev_nc_u32_e32 v36, 28, v3
	v_lshlrev_b64_e32 v[36:37], v36, v[86:87]
	s_delay_alu instid0(VALU_DEP_1)
	v_dual_sub_nc_u32 v3, 29, v3 :: v_dual_bitop2_b32 v86, 7, v36 bitop3:0x40
; %bb.4411:                             ;   in Loop: Header=BB6_3974 Depth=2
	s_or_b32 exec_lo, exec_lo, s28
	s_delay_alu instid0(VALU_DEP_1) | instskip(NEXT) | instid1(VALU_DEP_2)
	v_dual_lshlrev_b32 v31, 24, v31 :: v_dual_lshlrev_b32 v36, 20, v86
	v_lshl_add_u32 v3, v3, 23, 0x3c000000
	s_delay_alu instid0(VALU_DEP_2) | instskip(NEXT) | instid1(VALU_DEP_1)
	v_and_b32_e32 v31, 0x80000000, v31
	v_or3_b32 v3, v36, v31, v3
.LBB6_4412:                             ;   in Loop: Header=BB6_3974 Depth=2
	s_or_b32 exec_lo, exec_lo, s27
.LBB6_4413:                             ;   in Loop: Header=BB6_3974 Depth=2
	s_delay_alu instid0(SALU_CYCLE_1)
	s_or_b32 exec_lo, exec_lo, s26
.LBB6_4414:                             ;   in Loop: Header=BB6_3974 Depth=2
	s_delay_alu instid0(SALU_CYCLE_1) | instskip(SKIP_2) | instid1(VALU_DEP_1)
	s_or_b32 exec_lo, exec_lo, s7
	v_lshrrev_b32_e32 v31, 16, v39
	s_mov_b32 s7, exec_lo
	v_and_b32_e32 v36, 0xff, v31
	s_delay_alu instid0(VALU_DEP_1)
	v_cmpx_ne_u16_e32 0, v36
	s_cbranch_execz .LBB6_4422
; %bb.4415:                             ;   in Loop: Header=BB6_3974 Depth=2
	v_bfrev_b32_e32 v2, 1
	s_mov_b32 s26, exec_lo
	v_cmpx_ne_u16_e32 0x80, v36
	s_cbranch_execz .LBB6_4421
; %bb.4416:                             ;   in Loop: Header=BB6_3974 Depth=2
	v_bfe_u32 v36, v39, 16, 7
	v_mov_b32_e32 v2, 0x7f800001
	s_mov_b32 s27, exec_lo
	s_delay_alu instid0(VALU_DEP_2)
	v_cmpx_ne_u32_e32 0x7f, v36
	s_cbranch_execz .LBB6_4420
; %bb.4417:                             ;   in Loop: Header=BB6_3974 Depth=2
	v_dual_lshrrev_b32 v2, 3, v36 :: v_dual_bitop2_b32 v86, 7, v31 bitop3:0x40
	s_mov_b32 s28, exec_lo
	v_cmpx_gt_u32_e32 8, v36
; %bb.4418:                             ;   in Loop: Header=BB6_3974 Depth=2
	s_delay_alu instid0(VALU_DEP_2) | instskip(NEXT) | instid1(VALU_DEP_1)
	v_clz_i32_u32_e32 v2, v86
	v_min_u32_e32 v2, 32, v2
	s_delay_alu instid0(VALU_DEP_1) | instskip(NEXT) | instid1(VALU_DEP_1)
	v_subrev_nc_u32_e32 v31, 28, v2
	v_lshlrev_b64_e32 v[36:37], v31, v[86:87]
	s_delay_alu instid0(VALU_DEP_1)
	v_dual_sub_nc_u32 v2, 29, v2 :: v_dual_bitop2_b32 v86, 7, v36 bitop3:0x40
; %bb.4419:                             ;   in Loop: Header=BB6_3974 Depth=2
	s_or_b32 exec_lo, exec_lo, s28
	s_delay_alu instid0(VALU_DEP_1) | instskip(NEXT) | instid1(VALU_DEP_2)
	v_dual_lshlrev_b32 v31, 8, v39 :: v_dual_lshlrev_b32 v36, 20, v86
	v_lshl_add_u32 v2, v2, 23, 0x3c000000
	s_delay_alu instid0(VALU_DEP_2) | instskip(NEXT) | instid1(VALU_DEP_1)
	v_and_b32_e32 v31, 0x80000000, v31
	v_or3_b32 v2, v36, v31, v2
.LBB6_4420:                             ;   in Loop: Header=BB6_3974 Depth=2
	s_or_b32 exec_lo, exec_lo, s27
.LBB6_4421:                             ;   in Loop: Header=BB6_3974 Depth=2
	s_delay_alu instid0(SALU_CYCLE_1)
	s_or_b32 exec_lo, exec_lo, s26
.LBB6_4422:                             ;   in Loop: Header=BB6_3974 Depth=2
	s_delay_alu instid0(SALU_CYCLE_1) | instskip(NEXT) | instid1(VALU_DEP_1)
	s_or_b32 exec_lo, exec_lo, s7
	v_mul_f32_e32 v3, v3, v2
                                        ; implicit-def: $vgpr48
	s_mov_b32 s7, exec_lo
	s_delay_alu instid0(VALU_DEP_1) | instskip(SKIP_1) | instid1(VALU_DEP_2)
	v_and_b32_e32 v86, 0x7f800000, v3
	v_lshrrev_b32_e32 v2, 24, v3
	v_cmpx_ne_u64_e32 0x7f800000, v[86:87]
	s_xor_b32 s26, exec_lo, s7
	s_cbranch_execz .LBB6_4436
; %bb.4423:                             ;   in Loop: Header=BB6_3974 Depth=2
	v_and_b32_e32 v86, 0x7fffffff, v3
	v_and_b32_e32 v2, 0x80, v2
                                        ; implicit-def: $vgpr48
	s_mov_b32 s7, exec_lo
	s_delay_alu instid0(VALU_DEP_2)
	v_cmpx_gt_u64_e32 0x43e00001, v[86:87]
	s_xor_b32 s27, exec_lo, s7
	s_cbranch_execz .LBB6_4433
; %bb.4424:                             ;   in Loop: Header=BB6_3974 Depth=2
	v_mov_b32_e32 v48, 0
	s_mov_b32 s28, exec_lo
	v_cmpx_ne_u32_e32 0, v3
	s_cbranch_execz .LBB6_4432
; %bb.4425:                             ;   in Loop: Header=BB6_3974 Depth=2
	v_bfe_u32 v31, v3, 23, 8
	v_and_b32_e32 v3, 0x7fffff, v3
	s_delay_alu instid0(VALU_DEP_2) | instskip(SKIP_1) | instid1(VALU_DEP_3)
	v_sub_nc_u32_e32 v36, 0x79, v31
	v_cmp_gt_u32_e32 vcc_lo, 0x7a, v31
	v_or_b32_e32 v48, 0x800000, v3
	s_delay_alu instid0(VALU_DEP_3) | instskip(SKIP_1) | instid1(VALU_DEP_2)
	v_cndmask_b32_e32 v36, 0, v36, vcc_lo
	v_cmp_eq_u32_e32 vcc_lo, 0, v31
	v_cndmask_b32_e64 v54, v36, 0x78, vcc_lo
	s_delay_alu instid0(VALU_DEP_1) | instskip(SKIP_1) | instid1(VALU_DEP_2)
	v_dual_cndmask_b32 v86, v48, v3, vcc_lo :: v_dual_add_nc_u32 v36, 20, v54
	v_add_nc_u32_e32 v49, 19, v54
	v_lshlrev_b64_e64 v[36:37], v36, -1
	s_delay_alu instid0(VALU_DEP_2) | instskip(NEXT) | instid1(VALU_DEP_2)
	v_lshlrev_b64_e64 v[48:49], v49, 1
	v_bfi_b32 v103, v37, 0, 0
	s_delay_alu instid0(VALU_DEP_3) | instskip(SKIP_1) | instid1(VALU_DEP_2)
	v_bfi_b32 v102, v36, 0, v86
	v_lshrrev_b64 v[36:37], v54, v[86:87]
	v_cmp_eq_u64_e64 s7, v[102:103], v[48:49]
	s_delay_alu instid0(VALU_DEP_2)
	v_mov_b64_e32 v[48:49], v[36:37]
	s_and_saveexec_b32 s29, s7
; %bb.4426:                             ;   in Loop: Header=BB6_3974 Depth=2
	v_bfe_u32 v86, v36, 20, 1
	s_delay_alu instid0(VALU_DEP_1) | instskip(NEXT) | instid1(VALU_DEP_1)
	v_add_nc_u64_e32 v[48:49], v[36:37], v[86:87]
	v_add_nc_u64_e32 v[48:49], -1, v[48:49]
; %bb.4427:                             ;   in Loop: Header=BB6_3974 Depth=2
	s_or_b32 exec_lo, exec_lo, s29
	v_add_nc_u32_e32 v3, 0xffffff81, v31
	v_lshrrev_b32_e32 v31, 23, v36
	s_mov_b32 s7, exec_lo
	s_delay_alu instid0(VALU_DEP_2) | instskip(NEXT) | instid1(VALU_DEP_1)
	v_cndmask_b32_e64 v3, v3, 0xffffff82, vcc_lo
	v_add3_u32 v31, v54, v3, v31
	v_and_b32_e32 v3, 0xfffff, v48
	s_delay_alu instid0(VALU_DEP_1) | instskip(NEXT) | instid1(VALU_DEP_1)
	v_dual_add_nc_u32 v48, 6, v31 :: v_dual_add_nc_u32 v86, v3, v36
                                        ; implicit-def: $vgpr36_vgpr37
                                        ; implicit-def: $vgpr3
	v_cmpx_ne_u32_e32 0, v48
	s_xor_b32 s7, exec_lo, s7
; %bb.4428:                             ;   in Loop: Header=BB6_3974 Depth=2
	s_delay_alu instid0(VALU_DEP_2) | instskip(SKIP_2) | instid1(VALU_DEP_2)
	v_cmp_lt_u64_e32 vcc_lo, 0xffffff, v[86:87]
	v_add_nc_u32_e32 v3, 7, v31
	v_cndmask_b32_e64 v31, 0, 1, vcc_lo
	v_cndmask_b32_e32 v3, v48, v3, vcc_lo
	s_delay_alu instid0(VALU_DEP_2)
	v_lshrrev_b64 v[36:37], v31, v[86:87]
; %bb.4429:                             ;   in Loop: Header=BB6_3974 Depth=2
	s_and_not1_saveexec_b32 s7, s7
; %bb.4430:                             ;   in Loop: Header=BB6_3974 Depth=2
	v_mov_b64_e32 v[36:37], v[86:87]
	v_bfe_u32 v3, v86, 23, 1
; %bb.4431:                             ;   in Loop: Header=BB6_3974 Depth=2
	s_or_b32 exec_lo, exec_lo, s7
	s_delay_alu instid0(VALU_DEP_2) | instskip(NEXT) | instid1(VALU_DEP_2)
	v_lshrrev_b64 v[36:37], 20, v[36:37]
	v_cmp_gt_i32_e32 vcc_lo, 16, v3
	v_min_i32_e32 v31, 15, v3
	v_cmp_eq_u32_e64 s7, 0, v3
	s_delay_alu instid0(VALU_DEP_2) | instskip(SKIP_1) | instid1(VALU_DEP_2)
	v_dual_cndmask_b32 v37, 0, v37, vcc_lo :: v_dual_lshlrev_b32 v31, 3, v31
	v_cndmask_b32_e32 v36, 7, v36, vcc_lo
	v_and_b32_e32 v31, 0xf8, v31
	s_delay_alu instid0(VALU_DEP_2) | instskip(NEXT) | instid1(VALU_DEP_2)
	v_cmp_eq_u64_e32 vcc_lo, 0, v[36:37]
	v_and_or_b32 v3, v36, 7, v31
	s_and_b32 s7, s7, vcc_lo
	s_delay_alu instid0(VALU_DEP_1) | instid1(SALU_CYCLE_1)
	v_cndmask_b32_e64 v3, v3, 0, s7
	s_delay_alu instid0(VALU_DEP_1)
	v_or_b32_e32 v48, v3, v2
.LBB6_4432:                             ;   in Loop: Header=BB6_3974 Depth=2
	s_or_b32 exec_lo, exec_lo, s28
                                        ; implicit-def: $vgpr2
.LBB6_4433:                             ;   in Loop: Header=BB6_3974 Depth=2
	s_and_not1_saveexec_b32 s7, s27
; %bb.4434:                             ;   in Loop: Header=BB6_3974 Depth=2
	v_or_b32_e32 v48, 0x7e, v2
; %bb.4435:                             ;   in Loop: Header=BB6_3974 Depth=2
	s_or_b32 exec_lo, exec_lo, s7
                                        ; implicit-def: $vgpr2
.LBB6_4436:                             ;   in Loop: Header=BB6_3974 Depth=2
	s_and_not1_saveexec_b32 s7, s26
; %bb.4437:                             ;   in Loop: Header=BB6_3974 Depth=2
	v_or_b32_e32 v48, 0x7f, v2
; %bb.4438:                             ;   in Loop: Header=BB6_3974 Depth=2
	s_or_b32 exec_lo, exec_lo, s7
	v_dual_mov_b32 v2, 0 :: v_dual_mov_b32 v3, 0
	s_mov_b32 s7, exec_lo
	v_cmpx_lt_u64_e64 s[12:13], v[50:51]
	s_cbranch_execz .LBB6_4446
; %bb.4439:                             ;   in Loop: Header=BB6_3974 Depth=2
	v_lshrrev_b32_e32 v31, 24, v51
	v_bfrev_b32_e32 v3, 1
	s_mov_b32 s26, exec_lo
	s_delay_alu instid0(VALU_DEP_2)
	v_cmpx_ne_u32_e32 0x80, v31
	s_cbranch_execz .LBB6_4445
; %bb.4440:                             ;   in Loop: Header=BB6_3974 Depth=2
	v_bfe_u32 v36, v51, 24, 7
	v_mov_b32_e32 v3, 0x7f800001
	s_mov_b32 s27, exec_lo
	s_delay_alu instid0(VALU_DEP_2)
	v_cmpx_ne_u32_e32 0x7f, v36
	s_cbranch_execz .LBB6_4444
; %bb.4441:                             ;   in Loop: Header=BB6_3974 Depth=2
	v_dual_lshrrev_b32 v3, 3, v36 :: v_dual_bitop2_b32 v86, 7, v31 bitop3:0x40
	s_mov_b32 s28, exec_lo
	v_cmpx_gt_u32_e32 8, v36
; %bb.4442:                             ;   in Loop: Header=BB6_3974 Depth=2
	s_delay_alu instid0(VALU_DEP_2) | instskip(NEXT) | instid1(VALU_DEP_1)
	v_clz_i32_u32_e32 v3, v86
	v_min_u32_e32 v3, 32, v3
	s_delay_alu instid0(VALU_DEP_1) | instskip(NEXT) | instid1(VALU_DEP_1)
	v_subrev_nc_u32_e32 v36, 28, v3
	v_lshlrev_b64_e32 v[36:37], v36, v[86:87]
	s_delay_alu instid0(VALU_DEP_1)
	v_dual_sub_nc_u32 v3, 29, v3 :: v_dual_bitop2_b32 v86, 7, v36 bitop3:0x40
; %bb.4443:                             ;   in Loop: Header=BB6_3974 Depth=2
	s_or_b32 exec_lo, exec_lo, s28
	s_delay_alu instid0(VALU_DEP_1) | instskip(NEXT) | instid1(VALU_DEP_2)
	v_dual_lshlrev_b32 v31, 24, v31 :: v_dual_lshlrev_b32 v36, 20, v86
	v_lshl_add_u32 v3, v3, 23, 0x3c000000
	s_delay_alu instid0(VALU_DEP_2) | instskip(NEXT) | instid1(VALU_DEP_1)
	v_and_b32_e32 v31, 0x80000000, v31
	v_or3_b32 v3, v36, v31, v3
.LBB6_4444:                             ;   in Loop: Header=BB6_3974 Depth=2
	s_or_b32 exec_lo, exec_lo, s27
.LBB6_4445:                             ;   in Loop: Header=BB6_3974 Depth=2
	s_delay_alu instid0(SALU_CYCLE_1)
	s_or_b32 exec_lo, exec_lo, s26
.LBB6_4446:                             ;   in Loop: Header=BB6_3974 Depth=2
	s_delay_alu instid0(SALU_CYCLE_1) | instskip(NEXT) | instid1(SALU_CYCLE_1)
	s_or_b32 exec_lo, exec_lo, s7
	s_mov_b32 s7, exec_lo
	v_cmpx_lt_u64_e64 s[12:13], v[38:39]
	s_cbranch_execz .LBB6_4454
; %bb.4447:                             ;   in Loop: Header=BB6_3974 Depth=2
	v_lshrrev_b32_e32 v31, 24, v39
	v_bfrev_b32_e32 v2, 1
	s_mov_b32 s26, exec_lo
	s_delay_alu instid0(VALU_DEP_2)
	v_cmpx_ne_u32_e32 0x80, v31
	s_cbranch_execz .LBB6_4453
; %bb.4448:                             ;   in Loop: Header=BB6_3974 Depth=2
	v_bfe_u32 v36, v39, 24, 7
	v_mov_b32_e32 v2, 0x7f800001
	s_mov_b32 s27, exec_lo
	s_delay_alu instid0(VALU_DEP_2)
	v_cmpx_ne_u32_e32 0x7f, v36
	s_cbranch_execz .LBB6_4452
; %bb.4449:                             ;   in Loop: Header=BB6_3974 Depth=2
	v_dual_lshrrev_b32 v2, 3, v36 :: v_dual_bitop2_b32 v86, 7, v31 bitop3:0x40
	s_mov_b32 s28, exec_lo
	v_cmpx_gt_u32_e32 8, v36
; %bb.4450:                             ;   in Loop: Header=BB6_3974 Depth=2
	s_delay_alu instid0(VALU_DEP_2) | instskip(NEXT) | instid1(VALU_DEP_1)
	v_clz_i32_u32_e32 v2, v86
	v_min_u32_e32 v2, 32, v2
	s_delay_alu instid0(VALU_DEP_1) | instskip(NEXT) | instid1(VALU_DEP_1)
	v_subrev_nc_u32_e32 v36, 28, v2
	v_lshlrev_b64_e32 v[36:37], v36, v[86:87]
	s_delay_alu instid0(VALU_DEP_1)
	v_dual_sub_nc_u32 v2, 29, v2 :: v_dual_bitop2_b32 v86, 7, v36 bitop3:0x40
; %bb.4451:                             ;   in Loop: Header=BB6_3974 Depth=2
	s_or_b32 exec_lo, exec_lo, s28
	s_delay_alu instid0(VALU_DEP_1) | instskip(NEXT) | instid1(VALU_DEP_2)
	v_dual_lshlrev_b32 v31, 24, v31 :: v_dual_lshlrev_b32 v36, 20, v86
	v_lshl_add_u32 v2, v2, 23, 0x3c000000
	s_delay_alu instid0(VALU_DEP_2) | instskip(NEXT) | instid1(VALU_DEP_1)
	v_and_b32_e32 v31, 0x80000000, v31
	v_or3_b32 v2, v36, v31, v2
.LBB6_4452:                             ;   in Loop: Header=BB6_3974 Depth=2
	s_or_b32 exec_lo, exec_lo, s27
.LBB6_4453:                             ;   in Loop: Header=BB6_3974 Depth=2
	s_delay_alu instid0(SALU_CYCLE_1)
	s_or_b32 exec_lo, exec_lo, s26
.LBB6_4454:                             ;   in Loop: Header=BB6_3974 Depth=2
	s_delay_alu instid0(SALU_CYCLE_1) | instskip(NEXT) | instid1(VALU_DEP_1)
	s_or_b32 exec_lo, exec_lo, s7
	v_mul_f32_e32 v3, v3, v2
                                        ; implicit-def: $vgpr49
	s_mov_b32 s7, exec_lo
	s_delay_alu instid0(VALU_DEP_1) | instskip(SKIP_1) | instid1(VALU_DEP_2)
	v_and_b32_e32 v86, 0x7f800000, v3
	v_lshrrev_b32_e32 v2, 24, v3
	v_cmpx_ne_u64_e32 0x7f800000, v[86:87]
	s_xor_b32 s26, exec_lo, s7
	s_cbranch_execz .LBB6_4468
; %bb.4455:                             ;   in Loop: Header=BB6_3974 Depth=2
	v_and_b32_e32 v86, 0x7fffffff, v3
	v_and_b32_e32 v2, 0x80, v2
                                        ; implicit-def: $vgpr49
	s_mov_b32 s7, exec_lo
	s_delay_alu instid0(VALU_DEP_2)
	v_cmpx_gt_u64_e32 0x43e00001, v[86:87]
	s_xor_b32 s27, exec_lo, s7
	s_cbranch_execz .LBB6_4465
; %bb.4456:                             ;   in Loop: Header=BB6_3974 Depth=2
	v_mov_b32_e32 v49, 0
	s_mov_b32 s28, exec_lo
	v_cmpx_ne_u32_e32 0, v3
	s_cbranch_execz .LBB6_4464
; %bb.4457:                             ;   in Loop: Header=BB6_3974 Depth=2
	v_bfe_u32 v31, v3, 23, 8
	v_and_b32_e32 v3, 0x7fffff, v3
	s_delay_alu instid0(VALU_DEP_2) | instskip(SKIP_1) | instid1(VALU_DEP_3)
	v_sub_nc_u32_e32 v36, 0x79, v31
	v_cmp_gt_u32_e32 vcc_lo, 0x7a, v31
	v_or_b32_e32 v38, 0x800000, v3
	s_delay_alu instid0(VALU_DEP_3) | instskip(SKIP_1) | instid1(VALU_DEP_2)
	v_cndmask_b32_e32 v36, 0, v36, vcc_lo
	v_cmp_eq_u32_e32 vcc_lo, 0, v31
	v_cndmask_b32_e64 v49, v36, 0x78, vcc_lo
	s_delay_alu instid0(VALU_DEP_1) | instskip(SKIP_1) | instid1(VALU_DEP_2)
	v_dual_cndmask_b32 v86, v38, v3, vcc_lo :: v_dual_add_nc_u32 v36, 20, v49
	v_add_nc_u32_e32 v39, 19, v49
	v_lshlrev_b64_e64 v[36:37], v36, -1
	s_delay_alu instid0(VALU_DEP_2) | instskip(NEXT) | instid1(VALU_DEP_2)
	v_lshlrev_b64_e64 v[38:39], v39, 1
	v_bfi_b32 v51, v37, 0, 0
	s_delay_alu instid0(VALU_DEP_3) | instskip(SKIP_1) | instid1(VALU_DEP_2)
	v_bfi_b32 v50, v36, 0, v86
	v_lshrrev_b64 v[36:37], v49, v[86:87]
	v_cmp_eq_u64_e64 s7, v[50:51], v[38:39]
	s_delay_alu instid0(VALU_DEP_2)
	v_mov_b64_e32 v[38:39], v[36:37]
	s_and_saveexec_b32 s29, s7
; %bb.4458:                             ;   in Loop: Header=BB6_3974 Depth=2
	v_bfe_u32 v86, v36, 20, 1
	s_delay_alu instid0(VALU_DEP_1) | instskip(NEXT) | instid1(VALU_DEP_1)
	v_add_nc_u64_e32 v[38:39], v[36:37], v[86:87]
	v_add_nc_u64_e32 v[38:39], -1, v[38:39]
; %bb.4459:                             ;   in Loop: Header=BB6_3974 Depth=2
	s_or_b32 exec_lo, exec_lo, s29
	v_add_nc_u32_e32 v3, 0xffffff81, v31
	v_lshrrev_b32_e32 v31, 23, v36
	s_mov_b32 s7, exec_lo
	s_delay_alu instid0(VALU_DEP_2) | instskip(NEXT) | instid1(VALU_DEP_1)
	v_cndmask_b32_e64 v3, v3, 0xffffff82, vcc_lo
	v_add3_u32 v31, v49, v3, v31
	v_and_b32_e32 v3, 0xfffff, v38
	s_delay_alu instid0(VALU_DEP_1) | instskip(NEXT) | instid1(VALU_DEP_1)
	v_dual_add_nc_u32 v38, 6, v31 :: v_dual_add_nc_u32 v86, v3, v36
                                        ; implicit-def: $vgpr36_vgpr37
                                        ; implicit-def: $vgpr3
	v_cmpx_ne_u32_e32 0, v38
	s_xor_b32 s7, exec_lo, s7
; %bb.4460:                             ;   in Loop: Header=BB6_3974 Depth=2
	s_delay_alu instid0(VALU_DEP_2) | instskip(SKIP_2) | instid1(VALU_DEP_2)
	v_cmp_lt_u64_e32 vcc_lo, 0xffffff, v[86:87]
	v_add_nc_u32_e32 v3, 7, v31
	v_cndmask_b32_e64 v31, 0, 1, vcc_lo
	v_cndmask_b32_e32 v3, v38, v3, vcc_lo
	s_delay_alu instid0(VALU_DEP_2)
	v_lshrrev_b64 v[36:37], v31, v[86:87]
; %bb.4461:                             ;   in Loop: Header=BB6_3974 Depth=2
	s_and_not1_saveexec_b32 s7, s7
; %bb.4462:                             ;   in Loop: Header=BB6_3974 Depth=2
	v_mov_b64_e32 v[36:37], v[86:87]
	v_bfe_u32 v3, v86, 23, 1
; %bb.4463:                             ;   in Loop: Header=BB6_3974 Depth=2
	s_or_b32 exec_lo, exec_lo, s7
	s_delay_alu instid0(VALU_DEP_2) | instskip(NEXT) | instid1(VALU_DEP_2)
	v_lshrrev_b64 v[36:37], 20, v[36:37]
	v_cmp_gt_i32_e32 vcc_lo, 16, v3
	v_min_i32_e32 v31, 15, v3
	v_cmp_eq_u32_e64 s7, 0, v3
	s_delay_alu instid0(VALU_DEP_2) | instskip(SKIP_1) | instid1(VALU_DEP_2)
	v_dual_cndmask_b32 v37, 0, v37, vcc_lo :: v_dual_lshlrev_b32 v31, 3, v31
	v_cndmask_b32_e32 v36, 7, v36, vcc_lo
	v_and_b32_e32 v31, 0xf8, v31
	s_delay_alu instid0(VALU_DEP_2) | instskip(NEXT) | instid1(VALU_DEP_2)
	v_cmp_eq_u64_e32 vcc_lo, 0, v[36:37]
	v_and_or_b32 v3, v36, 7, v31
	s_and_b32 s7, s7, vcc_lo
	s_delay_alu instid0(VALU_DEP_1) | instid1(SALU_CYCLE_1)
	v_cndmask_b32_e64 v3, v3, 0, s7
	s_delay_alu instid0(VALU_DEP_1)
	v_or_b32_e32 v49, v3, v2
.LBB6_4464:                             ;   in Loop: Header=BB6_3974 Depth=2
	s_or_b32 exec_lo, exec_lo, s28
                                        ; implicit-def: $vgpr2
.LBB6_4465:                             ;   in Loop: Header=BB6_3974 Depth=2
	s_and_not1_saveexec_b32 s7, s27
; %bb.4466:                             ;   in Loop: Header=BB6_3974 Depth=2
	v_or_b32_e32 v49, 0x7e, v2
; %bb.4467:                             ;   in Loop: Header=BB6_3974 Depth=2
	s_or_b32 exec_lo, exec_lo, s7
                                        ; implicit-def: $vgpr2
.LBB6_4468:                             ;   in Loop: Header=BB6_3974 Depth=2
	s_and_not1_saveexec_b32 s7, s26
; %bb.4469:                             ;   in Loop: Header=BB6_3974 Depth=2
	v_or_b32_e32 v49, 0x7f, v2
; %bb.4470:                             ;   in Loop: Header=BB6_3974 Depth=2
	s_or_b32 exec_lo, exec_lo, s7
	v_and_b32_e32 v31, 0xff, v32
	v_dual_mov_b32 v2, 0 :: v_dual_mov_b32 v3, 0
	s_mov_b32 s7, exec_lo
	s_delay_alu instid0(VALU_DEP_2)
	v_cmpx_ne_u16_e32 0, v31
	s_cbranch_execz .LBB6_4476
; %bb.4471:                             ;   in Loop: Header=BB6_3974 Depth=2
	v_bfrev_b32_e32 v3, 1
	s_mov_b32 s26, exec_lo
	v_cmpx_ne_u16_e32 0x80, v31
	s_cbranch_execz .LBB6_4475
; %bb.4472:                             ;   in Loop: Header=BB6_3974 Depth=2
	v_and_b32_e32 v31, 0x7f, v32
	v_mov_b32_e32 v3, 0x7f800001
	s_mov_b32 s27, exec_lo
	s_delay_alu instid0(VALU_DEP_2)
	v_cmpx_ne_u32_e32 0x7f, v31
	s_cbranch_execz .LBB6_4474
; %bb.4473:                             ;   in Loop: Header=BB6_3974 Depth=2
	v_dual_lshrrev_b32 v36, 3, v31 :: v_dual_bitop2_b32 v3, 7, v32 bitop3:0x40
	v_cmp_gt_u32_e32 vcc_lo, 8, v31
	s_delay_alu instid0(VALU_DEP_2) | instskip(NEXT) | instid1(VALU_DEP_1)
	v_clz_i32_u32_e32 v3, v3
	v_min_u32_e32 v3, 32, v3
	s_delay_alu instid0(VALU_DEP_1) | instskip(NEXT) | instid1(VALU_DEP_1)
	v_subrev_nc_u32_e32 v37, 28, v3
	v_dual_sub_nc_u32 v3, 29, v3 :: v_dual_cndmask_b32 v31, 0, v37, vcc_lo
	s_delay_alu instid0(VALU_DEP_1) | instskip(NEXT) | instid1(VALU_DEP_2)
	v_cndmask_b32_e32 v3, v36, v3, vcc_lo
	v_lshlrev_b64_e32 v[36:37], v31, v[32:33]
	v_lshlrev_b32_e32 v31, 24, v32
	s_delay_alu instid0(VALU_DEP_3) | instskip(NEXT) | instid1(VALU_DEP_2)
	v_lshl_add_u32 v3, v3, 23, 0x3c000000
	v_and_b32_e32 v31, 0x80000000, v31
	s_delay_alu instid0(VALU_DEP_4) | instskip(NEXT) | instid1(VALU_DEP_1)
	v_lshlrev_b32_e32 v36, 20, v36
	v_and_b32_e32 v36, 0x700000, v36
	s_delay_alu instid0(VALU_DEP_1)
	v_or3_b32 v3, v36, v31, v3
.LBB6_4474:                             ;   in Loop: Header=BB6_3974 Depth=2
	s_or_b32 exec_lo, exec_lo, s27
.LBB6_4475:                             ;   in Loop: Header=BB6_3974 Depth=2
	s_delay_alu instid0(SALU_CYCLE_1)
	s_or_b32 exec_lo, exec_lo, s26
.LBB6_4476:                             ;   in Loop: Header=BB6_3974 Depth=2
	s_delay_alu instid0(SALU_CYCLE_1) | instskip(SKIP_3) | instid1(VALU_DEP_1)
	s_or_b32 exec_lo, exec_lo, s7
	s_wait_loadcnt 0x2
	v_and_b32_e32 v31, 0xff, v26
	s_mov_b32 s7, exec_lo
	v_cmpx_ne_u16_e32 0, v31
	s_cbranch_execz .LBB6_4482
; %bb.4477:                             ;   in Loop: Header=BB6_3974 Depth=2
	v_bfrev_b32_e32 v2, 1
	s_mov_b32 s26, exec_lo
	v_cmpx_ne_u16_e32 0x80, v31
	s_cbranch_execz .LBB6_4481
; %bb.4478:                             ;   in Loop: Header=BB6_3974 Depth=2
	v_and_b32_e32 v31, 0x7f, v26
	v_mov_b32_e32 v2, 0x7f800001
	s_mov_b32 s27, exec_lo
	s_delay_alu instid0(VALU_DEP_2)
	v_cmpx_ne_u32_e32 0x7f, v31
	s_cbranch_execz .LBB6_4480
; %bb.4479:                             ;   in Loop: Header=BB6_3974 Depth=2
	v_dual_lshrrev_b32 v36, 3, v31 :: v_dual_bitop2_b32 v2, 7, v26 bitop3:0x40
	v_cmp_gt_u32_e32 vcc_lo, 8, v31
	s_delay_alu instid0(VALU_DEP_2) | instskip(NEXT) | instid1(VALU_DEP_1)
	v_clz_i32_u32_e32 v2, v2
	v_min_u32_e32 v2, 32, v2
	s_delay_alu instid0(VALU_DEP_1) | instskip(NEXT) | instid1(VALU_DEP_1)
	v_subrev_nc_u32_e32 v37, 28, v2
	v_dual_cndmask_b32 v31, 0, v37 :: v_dual_sub_nc_u32 v2, 29, v2
	s_delay_alu instid0(VALU_DEP_1) | instskip(NEXT) | instid1(VALU_DEP_2)
	v_cndmask_b32_e32 v2, v36, v2, vcc_lo
	v_lshlrev_b64_e32 v[36:37], v31, v[26:27]
	v_lshlrev_b32_e32 v31, 24, v26
	s_delay_alu instid0(VALU_DEP_1) | instskip(NEXT) | instid1(VALU_DEP_3)
	v_and_b32_e32 v31, 0x80000000, v31
	v_lshlrev_b32_e32 v36, 20, v36
	v_lshl_add_u32 v2, v2, 23, 0x3c000000
	s_delay_alu instid0(VALU_DEP_2) | instskip(NEXT) | instid1(VALU_DEP_1)
	v_and_b32_e32 v36, 0x700000, v36
	v_or3_b32 v2, v36, v31, v2
.LBB6_4480:                             ;   in Loop: Header=BB6_3974 Depth=2
	s_or_b32 exec_lo, exec_lo, s27
.LBB6_4481:                             ;   in Loop: Header=BB6_3974 Depth=2
	s_delay_alu instid0(SALU_CYCLE_1)
	s_or_b32 exec_lo, exec_lo, s26
.LBB6_4482:                             ;   in Loop: Header=BB6_3974 Depth=2
	s_delay_alu instid0(SALU_CYCLE_1) | instskip(NEXT) | instid1(VALU_DEP_1)
	s_or_b32 exec_lo, exec_lo, s7
	v_mul_f32_e32 v3, v3, v2
                                        ; implicit-def: $vgpr50
	s_mov_b32 s7, exec_lo
	s_delay_alu instid0(VALU_DEP_1) | instskip(SKIP_1) | instid1(VALU_DEP_2)
	v_and_b32_e32 v86, 0x7f800000, v3
	v_lshrrev_b32_e32 v2, 24, v3
	v_cmpx_ne_u64_e32 0x7f800000, v[86:87]
	s_xor_b32 s26, exec_lo, s7
	s_cbranch_execz .LBB6_4496
; %bb.4483:                             ;   in Loop: Header=BB6_3974 Depth=2
	v_and_b32_e32 v86, 0x7fffffff, v3
	v_and_b32_e32 v2, 0x80, v2
                                        ; implicit-def: $vgpr50
	s_mov_b32 s7, exec_lo
	s_delay_alu instid0(VALU_DEP_2)
	v_cmpx_gt_u64_e32 0x43e00001, v[86:87]
	s_xor_b32 s27, exec_lo, s7
	s_cbranch_execz .LBB6_4493
; %bb.4484:                             ;   in Loop: Header=BB6_3974 Depth=2
	v_mov_b32_e32 v50, 0
	s_mov_b32 s28, exec_lo
	v_cmpx_ne_u32_e32 0, v3
	s_cbranch_execz .LBB6_4492
; %bb.4485:                             ;   in Loop: Header=BB6_3974 Depth=2
	v_bfe_u32 v31, v3, 23, 8
	v_and_b32_e32 v3, 0x7fffff, v3
	s_delay_alu instid0(VALU_DEP_2) | instskip(SKIP_1) | instid1(VALU_DEP_3)
	v_sub_nc_u32_e32 v36, 0x79, v31
	v_cmp_gt_u32_e32 vcc_lo, 0x7a, v31
	v_or_b32_e32 v38, 0x800000, v3
	s_delay_alu instid0(VALU_DEP_3) | instskip(SKIP_1) | instid1(VALU_DEP_2)
	v_cndmask_b32_e32 v36, 0, v36, vcc_lo
	v_cmp_eq_u32_e32 vcc_lo, 0, v31
	v_cndmask_b32_e64 v50, v36, 0x78, vcc_lo
	s_delay_alu instid0(VALU_DEP_1) | instskip(SKIP_1) | instid1(VALU_DEP_2)
	v_dual_cndmask_b32 v86, v38, v3, vcc_lo :: v_dual_add_nc_u32 v36, 20, v50
	v_add_nc_u32_e32 v39, 19, v50
	v_lshlrev_b64_e64 v[36:37], v36, -1
	s_delay_alu instid0(VALU_DEP_2) | instskip(NEXT) | instid1(VALU_DEP_2)
	v_lshlrev_b64_e64 v[38:39], v39, 1
	v_bfi_b32 v55, v37, 0, 0
	s_delay_alu instid0(VALU_DEP_3) | instskip(SKIP_1) | instid1(VALU_DEP_2)
	v_bfi_b32 v54, v36, 0, v86
	v_lshrrev_b64 v[36:37], v50, v[86:87]
	v_cmp_eq_u64_e64 s7, v[54:55], v[38:39]
	s_delay_alu instid0(VALU_DEP_2)
	v_mov_b64_e32 v[38:39], v[36:37]
	s_and_saveexec_b32 s29, s7
; %bb.4486:                             ;   in Loop: Header=BB6_3974 Depth=2
	v_bfe_u32 v86, v36, 20, 1
	s_delay_alu instid0(VALU_DEP_1) | instskip(NEXT) | instid1(VALU_DEP_1)
	v_add_nc_u64_e32 v[38:39], v[36:37], v[86:87]
	v_add_nc_u64_e32 v[38:39], -1, v[38:39]
; %bb.4487:                             ;   in Loop: Header=BB6_3974 Depth=2
	s_or_b32 exec_lo, exec_lo, s29
	v_add_nc_u32_e32 v3, 0xffffff81, v31
	v_lshrrev_b32_e32 v31, 23, v36
	s_mov_b32 s7, exec_lo
	s_delay_alu instid0(VALU_DEP_2) | instskip(NEXT) | instid1(VALU_DEP_1)
	v_cndmask_b32_e64 v3, v3, 0xffffff82, vcc_lo
	v_add3_u32 v31, v50, v3, v31
	v_and_b32_e32 v3, 0xfffff, v38
	s_delay_alu instid0(VALU_DEP_1) | instskip(NEXT) | instid1(VALU_DEP_1)
	v_dual_add_nc_u32 v38, 6, v31 :: v_dual_add_nc_u32 v86, v3, v36
                                        ; implicit-def: $vgpr36_vgpr37
                                        ; implicit-def: $vgpr3
	v_cmpx_ne_u32_e32 0, v38
	s_xor_b32 s7, exec_lo, s7
; %bb.4488:                             ;   in Loop: Header=BB6_3974 Depth=2
	s_delay_alu instid0(VALU_DEP_2) | instskip(SKIP_2) | instid1(VALU_DEP_2)
	v_cmp_lt_u64_e32 vcc_lo, 0xffffff, v[86:87]
	v_add_nc_u32_e32 v3, 7, v31
	v_cndmask_b32_e64 v31, 0, 1, vcc_lo
	v_cndmask_b32_e32 v3, v38, v3, vcc_lo
	s_delay_alu instid0(VALU_DEP_2)
	v_lshrrev_b64 v[36:37], v31, v[86:87]
; %bb.4489:                             ;   in Loop: Header=BB6_3974 Depth=2
	s_and_not1_saveexec_b32 s7, s7
; %bb.4490:                             ;   in Loop: Header=BB6_3974 Depth=2
	v_mov_b64_e32 v[36:37], v[86:87]
	v_bfe_u32 v3, v86, 23, 1
; %bb.4491:                             ;   in Loop: Header=BB6_3974 Depth=2
	s_or_b32 exec_lo, exec_lo, s7
	s_delay_alu instid0(VALU_DEP_2) | instskip(NEXT) | instid1(VALU_DEP_2)
	v_lshrrev_b64 v[36:37], 20, v[36:37]
	v_cmp_gt_i32_e32 vcc_lo, 16, v3
	v_min_i32_e32 v31, 15, v3
	v_cmp_eq_u32_e64 s7, 0, v3
	s_delay_alu instid0(VALU_DEP_2) | instskip(SKIP_1) | instid1(VALU_DEP_2)
	v_dual_cndmask_b32 v37, 0, v37, vcc_lo :: v_dual_lshlrev_b32 v31, 3, v31
	v_cndmask_b32_e32 v36, 7, v36, vcc_lo
	v_and_b32_e32 v31, 0xf8, v31
	s_delay_alu instid0(VALU_DEP_2) | instskip(NEXT) | instid1(VALU_DEP_2)
	v_cmp_eq_u64_e32 vcc_lo, 0, v[36:37]
	v_and_or_b32 v3, v36, 7, v31
	s_and_b32 s7, s7, vcc_lo
	s_delay_alu instid0(VALU_DEP_1) | instid1(SALU_CYCLE_1)
	v_cndmask_b32_e64 v3, v3, 0, s7
	s_delay_alu instid0(VALU_DEP_1)
	v_or_b32_e32 v50, v3, v2
.LBB6_4492:                             ;   in Loop: Header=BB6_3974 Depth=2
	s_or_b32 exec_lo, exec_lo, s28
                                        ; implicit-def: $vgpr2
.LBB6_4493:                             ;   in Loop: Header=BB6_3974 Depth=2
	s_and_not1_saveexec_b32 s7, s27
; %bb.4494:                             ;   in Loop: Header=BB6_3974 Depth=2
	v_or_b32_e32 v50, 0x7e, v2
; %bb.4495:                             ;   in Loop: Header=BB6_3974 Depth=2
	s_or_b32 exec_lo, exec_lo, s7
                                        ; implicit-def: $vgpr2
.LBB6_4496:                             ;   in Loop: Header=BB6_3974 Depth=2
	s_and_not1_saveexec_b32 s7, s26
; %bb.4497:                             ;   in Loop: Header=BB6_3974 Depth=2
	v_or_b32_e32 v50, 0x7f, v2
; %bb.4498:                             ;   in Loop: Header=BB6_3974 Depth=2
	s_or_b32 exec_lo, exec_lo, s7
	v_lshrrev_b16 v31, 8, v32
	v_dual_mov_b32 v2, 0 :: v_dual_mov_b32 v3, 0
	s_mov_b32 s7, exec_lo
	s_delay_alu instid0(VALU_DEP_2)
	v_cmpx_ne_u16_e32 0, v31
	s_cbranch_execz .LBB6_4506
; %bb.4499:                             ;   in Loop: Header=BB6_3974 Depth=2
	v_bfrev_b32_e32 v3, 1
	s_mov_b32 s26, exec_lo
	v_cmpx_ne_u16_e32 0x80, v31
	s_cbranch_execz .LBB6_4505
; %bb.4500:                             ;   in Loop: Header=BB6_3974 Depth=2
	v_and_b32_e32 v36, 0xffff, v31
	v_mov_b32_e32 v3, 0x7f800001
	s_mov_b32 s27, exec_lo
	s_delay_alu instid0(VALU_DEP_2) | instskip(NEXT) | instid1(VALU_DEP_1)
	v_and_b32_e32 v31, 0x7f, v36
	v_cmpx_ne_u32_e32 0x7f, v31
	s_cbranch_execz .LBB6_4504
; %bb.4501:                             ;   in Loop: Header=BB6_3974 Depth=2
	v_dual_lshrrev_b32 v3, 3, v31 :: v_dual_bitop2_b32 v86, 7, v36 bitop3:0x40
	s_mov_b32 s28, exec_lo
	v_cmpx_gt_u32_e32 8, v31
; %bb.4502:                             ;   in Loop: Header=BB6_3974 Depth=2
	s_delay_alu instid0(VALU_DEP_2) | instskip(NEXT) | instid1(VALU_DEP_1)
	v_clz_i32_u32_e32 v3, v86
	v_min_u32_e32 v3, 32, v3
	s_delay_alu instid0(VALU_DEP_1) | instskip(NEXT) | instid1(VALU_DEP_1)
	v_subrev_nc_u32_e32 v31, 28, v3
	v_lshlrev_b64_e32 v[36:37], v31, v[86:87]
	s_delay_alu instid0(VALU_DEP_1)
	v_dual_sub_nc_u32 v3, 29, v3 :: v_dual_bitop2_b32 v86, 7, v36 bitop3:0x40
; %bb.4503:                             ;   in Loop: Header=BB6_3974 Depth=2
	s_or_b32 exec_lo, exec_lo, s28
	s_delay_alu instid0(VALU_DEP_1) | instskip(NEXT) | instid1(VALU_DEP_2)
	v_dual_lshlrev_b32 v31, 16, v32 :: v_dual_lshlrev_b32 v36, 20, v86
	v_lshl_add_u32 v3, v3, 23, 0x3c000000
	s_delay_alu instid0(VALU_DEP_2) | instskip(NEXT) | instid1(VALU_DEP_1)
	v_and_b32_e32 v31, 0x80000000, v31
	v_or3_b32 v3, v36, v31, v3
.LBB6_4504:                             ;   in Loop: Header=BB6_3974 Depth=2
	s_or_b32 exec_lo, exec_lo, s27
.LBB6_4505:                             ;   in Loop: Header=BB6_3974 Depth=2
	s_delay_alu instid0(SALU_CYCLE_1)
	s_or_b32 exec_lo, exec_lo, s26
.LBB6_4506:                             ;   in Loop: Header=BB6_3974 Depth=2
	s_delay_alu instid0(SALU_CYCLE_1) | instskip(SKIP_2) | instid1(VALU_DEP_1)
	s_or_b32 exec_lo, exec_lo, s7
	v_lshrrev_b16 v31, 8, v26
	s_mov_b32 s7, exec_lo
	v_cmpx_ne_u16_e32 0, v31
	s_cbranch_execz .LBB6_4514
; %bb.4507:                             ;   in Loop: Header=BB6_3974 Depth=2
	v_bfrev_b32_e32 v2, 1
	s_mov_b32 s26, exec_lo
	v_cmpx_ne_u16_e32 0x80, v31
	s_cbranch_execz .LBB6_4513
; %bb.4508:                             ;   in Loop: Header=BB6_3974 Depth=2
	v_and_b32_e32 v36, 0xffff, v31
	v_mov_b32_e32 v2, 0x7f800001
	s_mov_b32 s27, exec_lo
	s_delay_alu instid0(VALU_DEP_2) | instskip(NEXT) | instid1(VALU_DEP_1)
	v_and_b32_e32 v31, 0x7f, v36
	v_cmpx_ne_u32_e32 0x7f, v31
	s_cbranch_execz .LBB6_4512
; %bb.4509:                             ;   in Loop: Header=BB6_3974 Depth=2
	v_dual_lshrrev_b32 v2, 3, v31 :: v_dual_bitop2_b32 v86, 7, v36 bitop3:0x40
	s_mov_b32 s28, exec_lo
	v_cmpx_gt_u32_e32 8, v31
; %bb.4510:                             ;   in Loop: Header=BB6_3974 Depth=2
	s_delay_alu instid0(VALU_DEP_2) | instskip(NEXT) | instid1(VALU_DEP_1)
	v_clz_i32_u32_e32 v2, v86
	v_min_u32_e32 v2, 32, v2
	s_delay_alu instid0(VALU_DEP_1) | instskip(NEXT) | instid1(VALU_DEP_1)
	v_subrev_nc_u32_e32 v31, 28, v2
	v_lshlrev_b64_e32 v[36:37], v31, v[86:87]
	s_delay_alu instid0(VALU_DEP_1)
	v_dual_sub_nc_u32 v2, 29, v2 :: v_dual_bitop2_b32 v86, 7, v36 bitop3:0x40
; %bb.4511:                             ;   in Loop: Header=BB6_3974 Depth=2
	s_or_b32 exec_lo, exec_lo, s28
	v_lshlrev_b32_e32 v31, 16, v26
	s_delay_alu instid0(VALU_DEP_2) | instskip(NEXT) | instid1(VALU_DEP_3)
	v_lshlrev_b32_e32 v36, 20, v86
	v_lshl_add_u32 v2, v2, 23, 0x3c000000
	s_delay_alu instid0(VALU_DEP_3) | instskip(NEXT) | instid1(VALU_DEP_1)
	v_and_b32_e32 v31, 0x80000000, v31
	v_or3_b32 v2, v36, v31, v2
.LBB6_4512:                             ;   in Loop: Header=BB6_3974 Depth=2
	s_or_b32 exec_lo, exec_lo, s27
.LBB6_4513:                             ;   in Loop: Header=BB6_3974 Depth=2
	s_delay_alu instid0(SALU_CYCLE_1)
	s_or_b32 exec_lo, exec_lo, s26
.LBB6_4514:                             ;   in Loop: Header=BB6_3974 Depth=2
	s_delay_alu instid0(SALU_CYCLE_1) | instskip(NEXT) | instid1(VALU_DEP_1)
	s_or_b32 exec_lo, exec_lo, s7
	v_mul_f32_e32 v3, v3, v2
                                        ; implicit-def: $vgpr51
	s_mov_b32 s7, exec_lo
	s_delay_alu instid0(VALU_DEP_1) | instskip(SKIP_1) | instid1(VALU_DEP_2)
	v_and_b32_e32 v86, 0x7f800000, v3
	v_lshrrev_b32_e32 v2, 24, v3
	v_cmpx_ne_u64_e32 0x7f800000, v[86:87]
	s_xor_b32 s26, exec_lo, s7
	s_cbranch_execz .LBB6_4528
; %bb.4515:                             ;   in Loop: Header=BB6_3974 Depth=2
	v_and_b32_e32 v86, 0x7fffffff, v3
	v_and_b32_e32 v2, 0x80, v2
                                        ; implicit-def: $vgpr51
	s_mov_b32 s7, exec_lo
	s_delay_alu instid0(VALU_DEP_2)
	v_cmpx_gt_u64_e32 0x43e00001, v[86:87]
	s_xor_b32 s27, exec_lo, s7
	s_cbranch_execz .LBB6_4525
; %bb.4516:                             ;   in Loop: Header=BB6_3974 Depth=2
	v_mov_b32_e32 v51, 0
	s_mov_b32 s28, exec_lo
	v_cmpx_ne_u32_e32 0, v3
	s_cbranch_execz .LBB6_4524
; %bb.4517:                             ;   in Loop: Header=BB6_3974 Depth=2
	v_bfe_u32 v31, v3, 23, 8
	v_and_b32_e32 v3, 0x7fffff, v3
	s_delay_alu instid0(VALU_DEP_2) | instskip(SKIP_1) | instid1(VALU_DEP_3)
	v_sub_nc_u32_e32 v36, 0x79, v31
	v_cmp_gt_u32_e32 vcc_lo, 0x7a, v31
	v_or_b32_e32 v38, 0x800000, v3
	s_delay_alu instid0(VALU_DEP_3) | instskip(SKIP_1) | instid1(VALU_DEP_2)
	v_cndmask_b32_e32 v36, 0, v36, vcc_lo
	v_cmp_eq_u32_e32 vcc_lo, 0, v31
	v_cndmask_b32_e64 v51, v36, 0x78, vcc_lo
	s_delay_alu instid0(VALU_DEP_4) | instskip(NEXT) | instid1(VALU_DEP_2)
	v_cndmask_b32_e32 v86, v38, v3, vcc_lo
	v_dual_add_nc_u32 v36, 20, v51 :: v_dual_add_nc_u32 v39, 19, v51
	s_delay_alu instid0(VALU_DEP_1) | instskip(NEXT) | instid1(VALU_DEP_2)
	v_lshlrev_b64_e64 v[36:37], v36, -1
	v_lshlrev_b64_e64 v[38:39], v39, 1
	s_delay_alu instid0(VALU_DEP_2) | instskip(NEXT) | instid1(VALU_DEP_3)
	v_bfi_b32 v55, v37, 0, 0
	v_bfi_b32 v54, v36, 0, v86
	v_lshrrev_b64 v[36:37], v51, v[86:87]
	s_delay_alu instid0(VALU_DEP_2) | instskip(NEXT) | instid1(VALU_DEP_2)
	v_cmp_eq_u64_e64 s7, v[54:55], v[38:39]
	v_mov_b64_e32 v[38:39], v[36:37]
	s_and_saveexec_b32 s29, s7
; %bb.4518:                             ;   in Loop: Header=BB6_3974 Depth=2
	v_bfe_u32 v86, v36, 20, 1
	s_delay_alu instid0(VALU_DEP_1) | instskip(NEXT) | instid1(VALU_DEP_1)
	v_add_nc_u64_e32 v[38:39], v[36:37], v[86:87]
	v_add_nc_u64_e32 v[38:39], -1, v[38:39]
; %bb.4519:                             ;   in Loop: Header=BB6_3974 Depth=2
	s_or_b32 exec_lo, exec_lo, s29
	v_add_nc_u32_e32 v3, 0xffffff81, v31
	v_lshrrev_b32_e32 v31, 23, v36
	s_mov_b32 s7, exec_lo
	s_delay_alu instid0(VALU_DEP_2) | instskip(NEXT) | instid1(VALU_DEP_1)
	v_cndmask_b32_e64 v3, v3, 0xffffff82, vcc_lo
	v_add3_u32 v31, v51, v3, v31
	v_and_b32_e32 v3, 0xfffff, v38
	s_delay_alu instid0(VALU_DEP_1) | instskip(NEXT) | instid1(VALU_DEP_1)
	v_dual_add_nc_u32 v38, 6, v31 :: v_dual_add_nc_u32 v86, v3, v36
                                        ; implicit-def: $vgpr36_vgpr37
                                        ; implicit-def: $vgpr3
	v_cmpx_ne_u32_e32 0, v38
	s_xor_b32 s7, exec_lo, s7
; %bb.4520:                             ;   in Loop: Header=BB6_3974 Depth=2
	s_delay_alu instid0(VALU_DEP_2) | instskip(SKIP_2) | instid1(VALU_DEP_2)
	v_cmp_lt_u64_e32 vcc_lo, 0xffffff, v[86:87]
	v_add_nc_u32_e32 v3, 7, v31
	v_cndmask_b32_e64 v31, 0, 1, vcc_lo
	v_cndmask_b32_e32 v3, v38, v3, vcc_lo
	s_delay_alu instid0(VALU_DEP_2)
	v_lshrrev_b64 v[36:37], v31, v[86:87]
; %bb.4521:                             ;   in Loop: Header=BB6_3974 Depth=2
	s_and_not1_saveexec_b32 s7, s7
; %bb.4522:                             ;   in Loop: Header=BB6_3974 Depth=2
	v_mov_b64_e32 v[36:37], v[86:87]
	v_bfe_u32 v3, v86, 23, 1
; %bb.4523:                             ;   in Loop: Header=BB6_3974 Depth=2
	s_or_b32 exec_lo, exec_lo, s7
	s_delay_alu instid0(VALU_DEP_2) | instskip(NEXT) | instid1(VALU_DEP_2)
	v_lshrrev_b64 v[36:37], 20, v[36:37]
	v_cmp_gt_i32_e32 vcc_lo, 16, v3
	v_min_i32_e32 v31, 15, v3
	v_cmp_eq_u32_e64 s7, 0, v3
	s_delay_alu instid0(VALU_DEP_2) | instskip(SKIP_1) | instid1(VALU_DEP_2)
	v_dual_cndmask_b32 v37, 0, v37, vcc_lo :: v_dual_lshlrev_b32 v31, 3, v31
	v_cndmask_b32_e32 v36, 7, v36, vcc_lo
	v_and_b32_e32 v31, 0xf8, v31
	s_delay_alu instid0(VALU_DEP_2) | instskip(NEXT) | instid1(VALU_DEP_2)
	v_cmp_eq_u64_e32 vcc_lo, 0, v[36:37]
	v_and_or_b32 v3, v36, 7, v31
	s_and_b32 s7, s7, vcc_lo
	s_delay_alu instid0(VALU_DEP_1) | instid1(SALU_CYCLE_1)
	v_cndmask_b32_e64 v3, v3, 0, s7
	s_delay_alu instid0(VALU_DEP_1)
	v_or_b32_e32 v51, v3, v2
.LBB6_4524:                             ;   in Loop: Header=BB6_3974 Depth=2
	s_or_b32 exec_lo, exec_lo, s28
                                        ; implicit-def: $vgpr2
.LBB6_4525:                             ;   in Loop: Header=BB6_3974 Depth=2
	s_and_not1_saveexec_b32 s7, s27
; %bb.4526:                             ;   in Loop: Header=BB6_3974 Depth=2
	v_or_b32_e32 v51, 0x7e, v2
; %bb.4527:                             ;   in Loop: Header=BB6_3974 Depth=2
	s_or_b32 exec_lo, exec_lo, s7
                                        ; implicit-def: $vgpr2
.LBB6_4528:                             ;   in Loop: Header=BB6_3974 Depth=2
	s_and_not1_saveexec_b32 s7, s26
; %bb.4529:                             ;   in Loop: Header=BB6_3974 Depth=2
	v_or_b32_e32 v51, 0x7f, v2
; %bb.4530:                             ;   in Loop: Header=BB6_3974 Depth=2
	s_or_b32 exec_lo, exec_lo, s7
	v_dual_mov_b32 v2, 0 :: v_dual_lshrrev_b32 v31, 16, v32
	v_mov_b32_e32 v3, 0
	s_mov_b32 s7, exec_lo
	s_delay_alu instid0(VALU_DEP_2) | instskip(NEXT) | instid1(VALU_DEP_1)
	v_and_b32_e32 v36, 0xff, v31
	v_cmpx_ne_u16_e32 0, v36
	s_cbranch_execz .LBB6_4538
; %bb.4531:                             ;   in Loop: Header=BB6_3974 Depth=2
	v_bfrev_b32_e32 v3, 1
	s_mov_b32 s26, exec_lo
	v_cmpx_ne_u16_e32 0x80, v36
	s_cbranch_execz .LBB6_4537
; %bb.4532:                             ;   in Loop: Header=BB6_3974 Depth=2
	v_bfe_u32 v36, v32, 16, 7
	v_mov_b32_e32 v3, 0x7f800001
	s_mov_b32 s27, exec_lo
	s_delay_alu instid0(VALU_DEP_2)
	v_cmpx_ne_u32_e32 0x7f, v36
	s_cbranch_execz .LBB6_4536
; %bb.4533:                             ;   in Loop: Header=BB6_3974 Depth=2
	v_dual_lshrrev_b32 v3, 3, v36 :: v_dual_bitop2_b32 v86, 7, v31 bitop3:0x40
	s_mov_b32 s28, exec_lo
	v_cmpx_gt_u32_e32 8, v36
; %bb.4534:                             ;   in Loop: Header=BB6_3974 Depth=2
	s_delay_alu instid0(VALU_DEP_2) | instskip(NEXT) | instid1(VALU_DEP_1)
	v_clz_i32_u32_e32 v3, v86
	v_min_u32_e32 v3, 32, v3
	s_delay_alu instid0(VALU_DEP_1) | instskip(NEXT) | instid1(VALU_DEP_1)
	v_subrev_nc_u32_e32 v36, 28, v3
	v_lshlrev_b64_e32 v[36:37], v36, v[86:87]
	s_delay_alu instid0(VALU_DEP_1)
	v_dual_sub_nc_u32 v3, 29, v3 :: v_dual_bitop2_b32 v86, 7, v36 bitop3:0x40
; %bb.4535:                             ;   in Loop: Header=BB6_3974 Depth=2
	s_or_b32 exec_lo, exec_lo, s28
	s_delay_alu instid0(VALU_DEP_1) | instskip(NEXT) | instid1(VALU_DEP_2)
	v_dual_lshlrev_b32 v31, 24, v31 :: v_dual_lshlrev_b32 v36, 20, v86
	v_lshl_add_u32 v3, v3, 23, 0x3c000000
	s_delay_alu instid0(VALU_DEP_2) | instskip(NEXT) | instid1(VALU_DEP_1)
	v_and_b32_e32 v31, 0x80000000, v31
	v_or3_b32 v3, v36, v31, v3
.LBB6_4536:                             ;   in Loop: Header=BB6_3974 Depth=2
	s_or_b32 exec_lo, exec_lo, s27
.LBB6_4537:                             ;   in Loop: Header=BB6_3974 Depth=2
	s_delay_alu instid0(SALU_CYCLE_1)
	s_or_b32 exec_lo, exec_lo, s26
.LBB6_4538:                             ;   in Loop: Header=BB6_3974 Depth=2
	s_delay_alu instid0(SALU_CYCLE_1) | instskip(SKIP_2) | instid1(VALU_DEP_1)
	s_or_b32 exec_lo, exec_lo, s7
	v_lshrrev_b32_e32 v31, 16, v26
	s_mov_b32 s7, exec_lo
	v_and_b32_e32 v36, 0xff, v31
	s_delay_alu instid0(VALU_DEP_1)
	v_cmpx_ne_u16_e32 0, v36
	s_cbranch_execz .LBB6_4546
; %bb.4539:                             ;   in Loop: Header=BB6_3974 Depth=2
	v_bfrev_b32_e32 v2, 1
	s_mov_b32 s26, exec_lo
	v_cmpx_ne_u16_e32 0x80, v36
	s_cbranch_execz .LBB6_4545
; %bb.4540:                             ;   in Loop: Header=BB6_3974 Depth=2
	v_bfe_u32 v36, v26, 16, 7
	v_mov_b32_e32 v2, 0x7f800001
	s_mov_b32 s27, exec_lo
	s_delay_alu instid0(VALU_DEP_2)
	v_cmpx_ne_u32_e32 0x7f, v36
	s_cbranch_execz .LBB6_4544
; %bb.4541:                             ;   in Loop: Header=BB6_3974 Depth=2
	v_dual_lshrrev_b32 v2, 3, v36 :: v_dual_bitop2_b32 v86, 7, v31 bitop3:0x40
	s_mov_b32 s28, exec_lo
	v_cmpx_gt_u32_e32 8, v36
; %bb.4542:                             ;   in Loop: Header=BB6_3974 Depth=2
	s_delay_alu instid0(VALU_DEP_2) | instskip(NEXT) | instid1(VALU_DEP_1)
	v_clz_i32_u32_e32 v2, v86
	v_min_u32_e32 v2, 32, v2
	s_delay_alu instid0(VALU_DEP_1) | instskip(NEXT) | instid1(VALU_DEP_1)
	v_subrev_nc_u32_e32 v31, 28, v2
	v_lshlrev_b64_e32 v[36:37], v31, v[86:87]
	s_delay_alu instid0(VALU_DEP_1)
	v_dual_sub_nc_u32 v2, 29, v2 :: v_dual_bitop2_b32 v86, 7, v36 bitop3:0x40
; %bb.4543:                             ;   in Loop: Header=BB6_3974 Depth=2
	s_or_b32 exec_lo, exec_lo, s28
	v_lshlrev_b32_e32 v31, 8, v26
	s_delay_alu instid0(VALU_DEP_2) | instskip(NEXT) | instid1(VALU_DEP_3)
	v_lshlrev_b32_e32 v36, 20, v86
	v_lshl_add_u32 v2, v2, 23, 0x3c000000
	s_delay_alu instid0(VALU_DEP_3) | instskip(NEXT) | instid1(VALU_DEP_1)
	v_and_b32_e32 v31, 0x80000000, v31
	v_or3_b32 v2, v36, v31, v2
.LBB6_4544:                             ;   in Loop: Header=BB6_3974 Depth=2
	s_or_b32 exec_lo, exec_lo, s27
.LBB6_4545:                             ;   in Loop: Header=BB6_3974 Depth=2
	s_delay_alu instid0(SALU_CYCLE_1)
	s_or_b32 exec_lo, exec_lo, s26
.LBB6_4546:                             ;   in Loop: Header=BB6_3974 Depth=2
	s_delay_alu instid0(SALU_CYCLE_1) | instskip(NEXT) | instid1(VALU_DEP_1)
	s_or_b32 exec_lo, exec_lo, s7
	v_mul_f32_e32 v3, v3, v2
                                        ; implicit-def: $vgpr93
	s_mov_b32 s7, exec_lo
	s_delay_alu instid0(VALU_DEP_1) | instskip(SKIP_1) | instid1(VALU_DEP_2)
	v_and_b32_e32 v86, 0x7f800000, v3
	v_lshrrev_b32_e32 v2, 24, v3
	v_cmpx_ne_u64_e32 0x7f800000, v[86:87]
	s_xor_b32 s26, exec_lo, s7
	s_cbranch_execz .LBB6_4560
; %bb.4547:                             ;   in Loop: Header=BB6_3974 Depth=2
	v_and_b32_e32 v86, 0x7fffffff, v3
	v_and_b32_e32 v2, 0x80, v2
                                        ; implicit-def: $vgpr93
	s_mov_b32 s7, exec_lo
	s_delay_alu instid0(VALU_DEP_2)
	v_cmpx_gt_u64_e32 0x43e00001, v[86:87]
	s_xor_b32 s27, exec_lo, s7
	s_cbranch_execz .LBB6_4557
; %bb.4548:                             ;   in Loop: Header=BB6_3974 Depth=2
	v_mov_b32_e32 v93, 0
	s_mov_b32 s28, exec_lo
	v_cmpx_ne_u32_e32 0, v3
	s_cbranch_execz .LBB6_4556
; %bb.4549:                             ;   in Loop: Header=BB6_3974 Depth=2
	v_bfe_u32 v31, v3, 23, 8
	v_and_b32_e32 v3, 0x7fffff, v3
	s_delay_alu instid0(VALU_DEP_2) | instskip(SKIP_1) | instid1(VALU_DEP_3)
	v_sub_nc_u32_e32 v36, 0x79, v31
	v_cmp_gt_u32_e32 vcc_lo, 0x7a, v31
	v_or_b32_e32 v38, 0x800000, v3
	s_delay_alu instid0(VALU_DEP_3) | instskip(SKIP_1) | instid1(VALU_DEP_2)
	v_cndmask_b32_e32 v36, 0, v36, vcc_lo
	v_cmp_eq_u32_e32 vcc_lo, 0, v31
	v_cndmask_b32_e64 v54, v36, 0x78, vcc_lo
	s_delay_alu instid0(VALU_DEP_1) | instskip(SKIP_1) | instid1(VALU_DEP_2)
	v_dual_cndmask_b32 v86, v38, v3, vcc_lo :: v_dual_add_nc_u32 v36, 20, v54
	v_add_nc_u32_e32 v39, 19, v54
	v_lshlrev_b64_e64 v[36:37], v36, -1
	s_delay_alu instid0(VALU_DEP_2) | instskip(NEXT) | instid1(VALU_DEP_2)
	v_lshlrev_b64_e64 v[38:39], v39, 1
	v_bfi_b32 v103, v37, 0, 0
	s_delay_alu instid0(VALU_DEP_3) | instskip(SKIP_1) | instid1(VALU_DEP_2)
	v_bfi_b32 v102, v36, 0, v86
	v_lshrrev_b64 v[36:37], v54, v[86:87]
	v_cmp_eq_u64_e64 s7, v[102:103], v[38:39]
	s_delay_alu instid0(VALU_DEP_2)
	v_mov_b64_e32 v[38:39], v[36:37]
	s_and_saveexec_b32 s29, s7
; %bb.4550:                             ;   in Loop: Header=BB6_3974 Depth=2
	v_bfe_u32 v86, v36, 20, 1
	s_delay_alu instid0(VALU_DEP_1) | instskip(NEXT) | instid1(VALU_DEP_1)
	v_add_nc_u64_e32 v[38:39], v[36:37], v[86:87]
	v_add_nc_u64_e32 v[38:39], -1, v[38:39]
; %bb.4551:                             ;   in Loop: Header=BB6_3974 Depth=2
	s_or_b32 exec_lo, exec_lo, s29
	v_add_nc_u32_e32 v3, 0xffffff81, v31
	v_lshrrev_b32_e32 v31, 23, v36
	s_mov_b32 s7, exec_lo
	s_delay_alu instid0(VALU_DEP_2) | instskip(NEXT) | instid1(VALU_DEP_1)
	v_cndmask_b32_e64 v3, v3, 0xffffff82, vcc_lo
	v_add3_u32 v31, v54, v3, v31
	v_and_b32_e32 v3, 0xfffff, v38
	s_delay_alu instid0(VALU_DEP_1) | instskip(NEXT) | instid1(VALU_DEP_1)
	v_dual_add_nc_u32 v38, 6, v31 :: v_dual_add_nc_u32 v86, v3, v36
                                        ; implicit-def: $vgpr36_vgpr37
                                        ; implicit-def: $vgpr3
	v_cmpx_ne_u32_e32 0, v38
	s_xor_b32 s7, exec_lo, s7
; %bb.4552:                             ;   in Loop: Header=BB6_3974 Depth=2
	s_delay_alu instid0(VALU_DEP_2) | instskip(SKIP_2) | instid1(VALU_DEP_2)
	v_cmp_lt_u64_e32 vcc_lo, 0xffffff, v[86:87]
	v_add_nc_u32_e32 v3, 7, v31
	v_cndmask_b32_e64 v31, 0, 1, vcc_lo
	v_cndmask_b32_e32 v3, v38, v3, vcc_lo
	s_delay_alu instid0(VALU_DEP_2)
	v_lshrrev_b64 v[36:37], v31, v[86:87]
; %bb.4553:                             ;   in Loop: Header=BB6_3974 Depth=2
	s_and_not1_saveexec_b32 s7, s7
; %bb.4554:                             ;   in Loop: Header=BB6_3974 Depth=2
	v_mov_b64_e32 v[36:37], v[86:87]
	v_bfe_u32 v3, v86, 23, 1
; %bb.4555:                             ;   in Loop: Header=BB6_3974 Depth=2
	s_or_b32 exec_lo, exec_lo, s7
	s_delay_alu instid0(VALU_DEP_2) | instskip(NEXT) | instid1(VALU_DEP_2)
	v_lshrrev_b64 v[36:37], 20, v[36:37]
	v_cmp_gt_i32_e32 vcc_lo, 16, v3
	v_min_i32_e32 v31, 15, v3
	v_cmp_eq_u32_e64 s7, 0, v3
	s_delay_alu instid0(VALU_DEP_2) | instskip(SKIP_1) | instid1(VALU_DEP_2)
	v_dual_cndmask_b32 v37, 0, v37, vcc_lo :: v_dual_lshlrev_b32 v31, 3, v31
	v_cndmask_b32_e32 v36, 7, v36, vcc_lo
	v_and_b32_e32 v31, 0xf8, v31
	s_delay_alu instid0(VALU_DEP_2) | instskip(NEXT) | instid1(VALU_DEP_2)
	v_cmp_eq_u64_e32 vcc_lo, 0, v[36:37]
	v_and_or_b32 v3, v36, 7, v31
	s_and_b32 s7, s7, vcc_lo
	s_delay_alu instid0(VALU_DEP_1) | instid1(SALU_CYCLE_1)
	v_cndmask_b32_e64 v3, v3, 0, s7
	s_delay_alu instid0(VALU_DEP_1)
	v_or_b32_e32 v93, v3, v2
.LBB6_4556:                             ;   in Loop: Header=BB6_3974 Depth=2
	s_or_b32 exec_lo, exec_lo, s28
                                        ; implicit-def: $vgpr2
.LBB6_4557:                             ;   in Loop: Header=BB6_3974 Depth=2
	s_and_not1_saveexec_b32 s7, s27
; %bb.4558:                             ;   in Loop: Header=BB6_3974 Depth=2
	v_or_b32_e32 v93, 0x7e, v2
; %bb.4559:                             ;   in Loop: Header=BB6_3974 Depth=2
	s_or_b32 exec_lo, exec_lo, s7
                                        ; implicit-def: $vgpr2
.LBB6_4560:                             ;   in Loop: Header=BB6_3974 Depth=2
	s_and_not1_saveexec_b32 s7, s26
; %bb.4561:                             ;   in Loop: Header=BB6_3974 Depth=2
	v_or_b32_e32 v93, 0x7f, v2
; %bb.4562:                             ;   in Loop: Header=BB6_3974 Depth=2
	s_or_b32 exec_lo, exec_lo, s7
	v_dual_mov_b32 v2, 0 :: v_dual_mov_b32 v3, 0
	s_mov_b32 s7, exec_lo
	v_cmpx_lt_u32_e32 0xffffff, v32
	s_cbranch_execz .LBB6_4570
; %bb.4563:                             ;   in Loop: Header=BB6_3974 Depth=2
	v_lshrrev_b32_e32 v31, 24, v32
	v_bfrev_b32_e32 v3, 1
	s_mov_b32 s26, exec_lo
	s_delay_alu instid0(VALU_DEP_2)
	v_cmpx_ne_u32_e32 0x80, v31
	s_cbranch_execz .LBB6_4569
; %bb.4564:                             ;   in Loop: Header=BB6_3974 Depth=2
	v_bfe_u32 v36, v32, 24, 7
	v_mov_b32_e32 v3, 0x7f800001
	s_mov_b32 s27, exec_lo
	s_delay_alu instid0(VALU_DEP_2)
	v_cmpx_ne_u32_e32 0x7f, v36
	s_cbranch_execz .LBB6_4568
; %bb.4565:                             ;   in Loop: Header=BB6_3974 Depth=2
	v_dual_lshrrev_b32 v3, 3, v36 :: v_dual_bitop2_b32 v86, 7, v31 bitop3:0x40
	s_mov_b32 s28, exec_lo
	v_cmpx_gt_u32_e32 8, v36
; %bb.4566:                             ;   in Loop: Header=BB6_3974 Depth=2
	s_delay_alu instid0(VALU_DEP_2) | instskip(NEXT) | instid1(VALU_DEP_1)
	v_clz_i32_u32_e32 v3, v86
	v_min_u32_e32 v3, 32, v3
	s_delay_alu instid0(VALU_DEP_1) | instskip(NEXT) | instid1(VALU_DEP_1)
	v_subrev_nc_u32_e32 v36, 28, v3
	v_lshlrev_b64_e32 v[36:37], v36, v[86:87]
	s_delay_alu instid0(VALU_DEP_1)
	v_dual_sub_nc_u32 v3, 29, v3 :: v_dual_bitop2_b32 v86, 7, v36 bitop3:0x40
; %bb.4567:                             ;   in Loop: Header=BB6_3974 Depth=2
	s_or_b32 exec_lo, exec_lo, s28
	s_delay_alu instid0(VALU_DEP_1) | instskip(NEXT) | instid1(VALU_DEP_2)
	v_dual_lshlrev_b32 v31, 24, v31 :: v_dual_lshlrev_b32 v36, 20, v86
	v_lshl_add_u32 v3, v3, 23, 0x3c000000
	s_delay_alu instid0(VALU_DEP_2) | instskip(NEXT) | instid1(VALU_DEP_1)
	v_and_b32_e32 v31, 0x80000000, v31
	v_or3_b32 v3, v36, v31, v3
.LBB6_4568:                             ;   in Loop: Header=BB6_3974 Depth=2
	s_or_b32 exec_lo, exec_lo, s27
.LBB6_4569:                             ;   in Loop: Header=BB6_3974 Depth=2
	s_delay_alu instid0(SALU_CYCLE_1)
	s_or_b32 exec_lo, exec_lo, s26
.LBB6_4570:                             ;   in Loop: Header=BB6_3974 Depth=2
	s_delay_alu instid0(SALU_CYCLE_1) | instskip(NEXT) | instid1(SALU_CYCLE_1)
	s_or_b32 exec_lo, exec_lo, s7
	s_mov_b32 s7, exec_lo
	v_cmpx_lt_u32_e32 0xffffff, v26
	s_cbranch_execz .LBB6_4578
; %bb.4571:                             ;   in Loop: Header=BB6_3974 Depth=2
	v_lshrrev_b32_e32 v31, 24, v26
	v_bfrev_b32_e32 v2, 1
	s_mov_b32 s26, exec_lo
	s_delay_alu instid0(VALU_DEP_2)
	v_cmpx_ne_u32_e32 0x80, v31
	s_cbranch_execz .LBB6_4577
; %bb.4572:                             ;   in Loop: Header=BB6_3974 Depth=2
	v_bfe_u32 v36, v26, 24, 7
	v_mov_b32_e32 v2, 0x7f800001
	s_mov_b32 s27, exec_lo
	s_delay_alu instid0(VALU_DEP_2)
	v_cmpx_ne_u32_e32 0x7f, v36
	s_cbranch_execz .LBB6_4576
; %bb.4573:                             ;   in Loop: Header=BB6_3974 Depth=2
	v_dual_lshrrev_b32 v2, 3, v36 :: v_dual_bitop2_b32 v86, 7, v31 bitop3:0x40
	s_mov_b32 s28, exec_lo
	v_cmpx_gt_u32_e32 8, v36
; %bb.4574:                             ;   in Loop: Header=BB6_3974 Depth=2
	s_delay_alu instid0(VALU_DEP_2) | instskip(NEXT) | instid1(VALU_DEP_1)
	v_clz_i32_u32_e32 v2, v86
	v_min_u32_e32 v2, 32, v2
	s_delay_alu instid0(VALU_DEP_1) | instskip(NEXT) | instid1(VALU_DEP_1)
	v_subrev_nc_u32_e32 v36, 28, v2
	v_lshlrev_b64_e32 v[36:37], v36, v[86:87]
	s_delay_alu instid0(VALU_DEP_1)
	v_dual_sub_nc_u32 v2, 29, v2 :: v_dual_bitop2_b32 v86, 7, v36 bitop3:0x40
; %bb.4575:                             ;   in Loop: Header=BB6_3974 Depth=2
	s_or_b32 exec_lo, exec_lo, s28
	s_delay_alu instid0(VALU_DEP_1) | instskip(NEXT) | instid1(VALU_DEP_2)
	v_dual_lshlrev_b32 v31, 24, v31 :: v_dual_lshlrev_b32 v36, 20, v86
	v_lshl_add_u32 v2, v2, 23, 0x3c000000
	s_delay_alu instid0(VALU_DEP_2) | instskip(NEXT) | instid1(VALU_DEP_1)
	v_and_b32_e32 v31, 0x80000000, v31
	v_or3_b32 v2, v36, v31, v2
.LBB6_4576:                             ;   in Loop: Header=BB6_3974 Depth=2
	s_or_b32 exec_lo, exec_lo, s27
.LBB6_4577:                             ;   in Loop: Header=BB6_3974 Depth=2
	s_delay_alu instid0(SALU_CYCLE_1)
	s_or_b32 exec_lo, exec_lo, s26
.LBB6_4578:                             ;   in Loop: Header=BB6_3974 Depth=2
	s_delay_alu instid0(SALU_CYCLE_1) | instskip(NEXT) | instid1(VALU_DEP_1)
	s_or_b32 exec_lo, exec_lo, s7
	v_mul_f32_e32 v3, v3, v2
                                        ; implicit-def: $vgpr94
	s_mov_b32 s7, exec_lo
	s_delay_alu instid0(VALU_DEP_1) | instskip(SKIP_1) | instid1(VALU_DEP_2)
	v_and_b32_e32 v86, 0x7f800000, v3
	v_lshrrev_b32_e32 v2, 24, v3
	v_cmpx_ne_u64_e32 0x7f800000, v[86:87]
	s_xor_b32 s26, exec_lo, s7
	s_cbranch_execz .LBB6_4592
; %bb.4579:                             ;   in Loop: Header=BB6_3974 Depth=2
	v_and_b32_e32 v86, 0x7fffffff, v3
	v_and_b32_e32 v2, 0x80, v2
                                        ; implicit-def: $vgpr94
	s_mov_b32 s7, exec_lo
	s_delay_alu instid0(VALU_DEP_2)
	v_cmpx_gt_u64_e32 0x43e00001, v[86:87]
	s_xor_b32 s27, exec_lo, s7
	s_cbranch_execz .LBB6_4589
; %bb.4580:                             ;   in Loop: Header=BB6_3974 Depth=2
	v_mov_b32_e32 v94, 0
	s_mov_b32 s28, exec_lo
	v_cmpx_ne_u32_e32 0, v3
	s_cbranch_execz .LBB6_4588
; %bb.4581:                             ;   in Loop: Header=BB6_3974 Depth=2
	v_bfe_u32 v31, v3, 23, 8
	v_and_b32_e32 v3, 0x7fffff, v3
	s_delay_alu instid0(VALU_DEP_2) | instskip(SKIP_1) | instid1(VALU_DEP_3)
	v_sub_nc_u32_e32 v36, 0x79, v31
	v_cmp_gt_u32_e32 vcc_lo, 0x7a, v31
	v_or_b32_e32 v38, 0x800000, v3
	s_delay_alu instid0(VALU_DEP_3) | instskip(SKIP_1) | instid1(VALU_DEP_2)
	v_cndmask_b32_e32 v36, 0, v36, vcc_lo
	v_cmp_eq_u32_e32 vcc_lo, 0, v31
	v_cndmask_b32_e64 v54, v36, 0x78, vcc_lo
	s_delay_alu instid0(VALU_DEP_1) | instskip(SKIP_1) | instid1(VALU_DEP_2)
	v_dual_cndmask_b32 v86, v38, v3, vcc_lo :: v_dual_add_nc_u32 v36, 20, v54
	v_add_nc_u32_e32 v39, 19, v54
	v_lshlrev_b64_e64 v[36:37], v36, -1
	s_delay_alu instid0(VALU_DEP_2) | instskip(NEXT) | instid1(VALU_DEP_2)
	v_lshlrev_b64_e64 v[38:39], v39, 1
	v_bfi_b32 v103, v37, 0, 0
	s_delay_alu instid0(VALU_DEP_3) | instskip(SKIP_1) | instid1(VALU_DEP_2)
	v_bfi_b32 v102, v36, 0, v86
	v_lshrrev_b64 v[36:37], v54, v[86:87]
	v_cmp_eq_u64_e64 s7, v[102:103], v[38:39]
	s_delay_alu instid0(VALU_DEP_2)
	v_mov_b64_e32 v[38:39], v[36:37]
	s_and_saveexec_b32 s29, s7
; %bb.4582:                             ;   in Loop: Header=BB6_3974 Depth=2
	v_bfe_u32 v86, v36, 20, 1
	s_delay_alu instid0(VALU_DEP_1) | instskip(NEXT) | instid1(VALU_DEP_1)
	v_add_nc_u64_e32 v[38:39], v[36:37], v[86:87]
	v_add_nc_u64_e32 v[38:39], -1, v[38:39]
; %bb.4583:                             ;   in Loop: Header=BB6_3974 Depth=2
	s_or_b32 exec_lo, exec_lo, s29
	v_add_nc_u32_e32 v3, 0xffffff81, v31
	v_lshrrev_b32_e32 v31, 23, v36
	s_mov_b32 s7, exec_lo
	s_delay_alu instid0(VALU_DEP_2) | instskip(NEXT) | instid1(VALU_DEP_1)
	v_cndmask_b32_e64 v3, v3, 0xffffff82, vcc_lo
	v_add3_u32 v31, v54, v3, v31
	v_and_b32_e32 v3, 0xfffff, v38
	s_delay_alu instid0(VALU_DEP_1) | instskip(NEXT) | instid1(VALU_DEP_1)
	v_dual_add_nc_u32 v38, 6, v31 :: v_dual_add_nc_u32 v86, v3, v36
                                        ; implicit-def: $vgpr36_vgpr37
                                        ; implicit-def: $vgpr3
	v_cmpx_ne_u32_e32 0, v38
	s_xor_b32 s7, exec_lo, s7
; %bb.4584:                             ;   in Loop: Header=BB6_3974 Depth=2
	s_delay_alu instid0(VALU_DEP_2) | instskip(SKIP_2) | instid1(VALU_DEP_2)
	v_cmp_lt_u64_e32 vcc_lo, 0xffffff, v[86:87]
	v_add_nc_u32_e32 v3, 7, v31
	v_cndmask_b32_e64 v31, 0, 1, vcc_lo
	v_cndmask_b32_e32 v3, v38, v3, vcc_lo
	s_delay_alu instid0(VALU_DEP_2)
	v_lshrrev_b64 v[36:37], v31, v[86:87]
; %bb.4585:                             ;   in Loop: Header=BB6_3974 Depth=2
	s_and_not1_saveexec_b32 s7, s7
; %bb.4586:                             ;   in Loop: Header=BB6_3974 Depth=2
	v_mov_b64_e32 v[36:37], v[86:87]
	v_bfe_u32 v3, v86, 23, 1
; %bb.4587:                             ;   in Loop: Header=BB6_3974 Depth=2
	s_or_b32 exec_lo, exec_lo, s7
	s_delay_alu instid0(VALU_DEP_2) | instskip(NEXT) | instid1(VALU_DEP_2)
	v_lshrrev_b64 v[36:37], 20, v[36:37]
	v_cmp_gt_i32_e32 vcc_lo, 16, v3
	v_min_i32_e32 v31, 15, v3
	v_cmp_eq_u32_e64 s7, 0, v3
	s_delay_alu instid0(VALU_DEP_2) | instskip(SKIP_1) | instid1(VALU_DEP_2)
	v_dual_cndmask_b32 v37, 0, v37, vcc_lo :: v_dual_lshlrev_b32 v31, 3, v31
	v_cndmask_b32_e32 v36, 7, v36, vcc_lo
	v_and_b32_e32 v31, 0xf8, v31
	s_delay_alu instid0(VALU_DEP_2) | instskip(NEXT) | instid1(VALU_DEP_2)
	v_cmp_eq_u64_e32 vcc_lo, 0, v[36:37]
	v_and_or_b32 v3, v36, 7, v31
	s_and_b32 s7, s7, vcc_lo
	s_delay_alu instid0(VALU_DEP_1) | instid1(SALU_CYCLE_1)
	v_cndmask_b32_e64 v3, v3, 0, s7
	s_delay_alu instid0(VALU_DEP_1)
	v_or_b32_e32 v94, v3, v2
.LBB6_4588:                             ;   in Loop: Header=BB6_3974 Depth=2
	s_or_b32 exec_lo, exec_lo, s28
                                        ; implicit-def: $vgpr2
.LBB6_4589:                             ;   in Loop: Header=BB6_3974 Depth=2
	s_and_not1_saveexec_b32 s7, s27
; %bb.4590:                             ;   in Loop: Header=BB6_3974 Depth=2
	v_or_b32_e32 v94, 0x7e, v2
; %bb.4591:                             ;   in Loop: Header=BB6_3974 Depth=2
	s_or_b32 exec_lo, exec_lo, s7
                                        ; implicit-def: $vgpr2
.LBB6_4592:                             ;   in Loop: Header=BB6_3974 Depth=2
	s_and_not1_saveexec_b32 s7, s26
; %bb.4593:                             ;   in Loop: Header=BB6_3974 Depth=2
	v_or_b32_e32 v94, 0x7f, v2
; %bb.4594:                             ;   in Loop: Header=BB6_3974 Depth=2
	s_or_b32 exec_lo, exec_lo, s7
	v_and_b32_e32 v31, 0xff, v33
	v_dual_mov_b32 v86, v33 :: v_dual_mov_b32 v3, 0
	v_mov_b32_e32 v2, 0
	s_mov_b32 s7, exec_lo
	s_delay_alu instid0(VALU_DEP_3)
	v_cmpx_ne_u16_e32 0, v31
	s_cbranch_execz .LBB6_4600
; %bb.4595:                             ;   in Loop: Header=BB6_3974 Depth=2
	v_bfrev_b32_e32 v2, 1
	s_mov_b32 s26, exec_lo
	v_cmpx_ne_u16_e32 0x80, v31
	s_cbranch_execz .LBB6_4599
; %bb.4596:                             ;   in Loop: Header=BB6_3974 Depth=2
	v_and_b32_e32 v31, 0x7f, v33
	v_mov_b32_e32 v2, 0x7f800001
	s_mov_b32 s27, exec_lo
	s_delay_alu instid0(VALU_DEP_2)
	v_cmpx_ne_u32_e32 0x7f, v31
	s_cbranch_execz .LBB6_4598
; %bb.4597:                             ;   in Loop: Header=BB6_3974 Depth=2
	v_dual_lshrrev_b32 v36, 3, v31 :: v_dual_bitop2_b32 v2, 7, v33 bitop3:0x40
	v_cmp_gt_u32_e32 vcc_lo, 8, v31
	s_delay_alu instid0(VALU_DEP_2) | instskip(NEXT) | instid1(VALU_DEP_1)
	v_clz_i32_u32_e32 v2, v2
	v_min_u32_e32 v2, 32, v2
	s_delay_alu instid0(VALU_DEP_1) | instskip(NEXT) | instid1(VALU_DEP_1)
	v_subrev_nc_u32_e32 v37, 28, v2
	v_dual_cndmask_b32 v31, 0, v37 :: v_dual_sub_nc_u32 v2, 29, v2
	s_delay_alu instid0(VALU_DEP_1) | instskip(NEXT) | instid1(VALU_DEP_2)
	v_cndmask_b32_e32 v2, v36, v2, vcc_lo
	v_lshlrev_b64_e32 v[36:37], v31, v[86:87]
	v_lshlrev_b32_e32 v31, 24, v86
	s_delay_alu instid0(VALU_DEP_1) | instskip(NEXT) | instid1(VALU_DEP_3)
	v_and_b32_e32 v31, 0x80000000, v31
	v_lshlrev_b32_e32 v36, 20, v36
	v_lshl_add_u32 v2, v2, 23, 0x3c000000
	s_delay_alu instid0(VALU_DEP_2) | instskip(NEXT) | instid1(VALU_DEP_1)
	v_and_b32_e32 v36, 0x700000, v36
	v_or3_b32 v2, v36, v31, v2
.LBB6_4598:                             ;   in Loop: Header=BB6_3974 Depth=2
	s_or_b32 exec_lo, exec_lo, s27
.LBB6_4599:                             ;   in Loop: Header=BB6_3974 Depth=2
	s_delay_alu instid0(SALU_CYCLE_1)
	s_or_b32 exec_lo, exec_lo, s26
.LBB6_4600:                             ;   in Loop: Header=BB6_3974 Depth=2
	s_delay_alu instid0(SALU_CYCLE_1) | instskip(SKIP_2) | instid1(VALU_DEP_1)
	s_or_b32 exec_lo, exec_lo, s7
	v_and_b32_e32 v31, 0xff, v27
	s_mov_b32 s7, exec_lo
	v_cmpx_ne_u16_e32 0, v31
	s_cbranch_execz .LBB6_4606
; %bb.4601:                             ;   in Loop: Header=BB6_3974 Depth=2
	v_bfrev_b32_e32 v3, 1
	s_mov_b32 s26, exec_lo
	v_cmpx_ne_u16_e32 0x80, v31
	s_cbranch_execz .LBB6_4605
; %bb.4602:                             ;   in Loop: Header=BB6_3974 Depth=2
	v_and_b32_e32 v31, 0x7f, v27
	v_mov_b32_e32 v3, 0x7f800001
	s_mov_b32 s27, exec_lo
	s_delay_alu instid0(VALU_DEP_2)
	v_cmpx_ne_u32_e32 0x7f, v31
	s_cbranch_execz .LBB6_4604
; %bb.4603:                             ;   in Loop: Header=BB6_3974 Depth=2
	v_dual_mov_b32 v36, v27 :: v_dual_bitop2_b32 v3, 7, v27 bitop3:0x40
	v_cmp_gt_u32_e32 vcc_lo, 8, v31
	v_dual_mov_b32 v37, v87 :: v_dual_lshrrev_b32 v38, 3, v31
	s_delay_alu instid0(VALU_DEP_3) | instskip(NEXT) | instid1(VALU_DEP_1)
	v_clz_i32_u32_e32 v3, v3
	v_min_u32_e32 v3, 32, v3
	s_delay_alu instid0(VALU_DEP_1) | instskip(SKIP_1) | instid1(VALU_DEP_1)
	v_sub_nc_u32_e32 v39, 29, v3
	v_subrev_nc_u32_e32 v3, 28, v3
	v_cndmask_b32_e32 v3, 0, v3, vcc_lo
	s_delay_alu instid0(VALU_DEP_3) | instskip(NEXT) | instid1(VALU_DEP_2)
	v_cndmask_b32_e32 v31, v38, v39, vcc_lo
	v_lshlrev_b64_e32 v[38:39], v3, v[36:37]
	v_lshlrev_b32_e32 v3, 24, v36
	s_delay_alu instid0(VALU_DEP_3) | instskip(NEXT) | instid1(VALU_DEP_2)
	v_lshl_add_u32 v31, v31, 23, 0x3c000000
	v_and_b32_e32 v3, 0x80000000, v3
	s_delay_alu instid0(VALU_DEP_4) | instskip(NEXT) | instid1(VALU_DEP_1)
	v_lshlrev_b32_e32 v36, 20, v38
	v_and_b32_e32 v36, 0x700000, v36
	s_delay_alu instid0(VALU_DEP_1)
	v_or3_b32 v3, v36, v3, v31
.LBB6_4604:                             ;   in Loop: Header=BB6_3974 Depth=2
	s_or_b32 exec_lo, exec_lo, s27
.LBB6_4605:                             ;   in Loop: Header=BB6_3974 Depth=2
	s_delay_alu instid0(SALU_CYCLE_1)
	s_or_b32 exec_lo, exec_lo, s26
.LBB6_4606:                             ;   in Loop: Header=BB6_3974 Depth=2
	s_delay_alu instid0(SALU_CYCLE_1) | instskip(NEXT) | instid1(VALU_DEP_1)
	s_or_b32 exec_lo, exec_lo, s7
	v_dual_mul_f32 v3, v2, v3 :: v_dual_mov_b32 v37, v87
                                        ; implicit-def: $vgpr95
	s_mov_b32 s7, exec_lo
	s_delay_alu instid0(VALU_DEP_1) | instskip(SKIP_1) | instid1(VALU_DEP_2)
	v_and_b32_e32 v36, 0x7f800000, v3
	v_lshrrev_b32_e32 v2, 24, v3
	v_cmpx_ne_u64_e32 0x7f800000, v[36:37]
	s_xor_b32 s26, exec_lo, s7
	s_cbranch_execz .LBB6_4620
; %bb.4607:                             ;   in Loop: Header=BB6_3974 Depth=2
	v_and_b32_e32 v36, 0x7fffffff, v3
	v_mov_b32_e32 v37, v87
	v_and_b32_e32 v2, 0x80, v2
                                        ; implicit-def: $vgpr95
	s_mov_b32 s7, exec_lo
	s_delay_alu instid0(VALU_DEP_2)
	v_cmpx_gt_u64_e32 0x43e00001, v[36:37]
	s_xor_b32 s27, exec_lo, s7
	s_cbranch_execz .LBB6_4617
; %bb.4608:                             ;   in Loop: Header=BB6_3974 Depth=2
	v_mov_b32_e32 v95, 0
	s_mov_b32 s28, exec_lo
	v_cmpx_ne_u32_e32 0, v3
	s_cbranch_execz .LBB6_4616
; %bb.4609:                             ;   in Loop: Header=BB6_3974 Depth=2
	v_bfe_u32 v31, v3, 23, 8
	v_and_b32_e32 v3, 0x7fffff, v3
	s_mov_b32 s29, exec_lo
	s_delay_alu instid0(VALU_DEP_2) | instskip(SKIP_1) | instid1(VALU_DEP_3)
	v_dual_mov_b32 v39, v87 :: v_dual_sub_nc_u32 v36, 0x79, v31
	v_cmp_gt_u32_e32 vcc_lo, 0x7a, v31
	v_or_b32_e32 v38, 0x800000, v3
	s_delay_alu instid0(VALU_DEP_3) | instskip(SKIP_1) | instid1(VALU_DEP_2)
	v_cndmask_b32_e32 v36, 0, v36, vcc_lo
	v_cmp_eq_u32_e32 vcc_lo, 0, v31
	v_cndmask_b32_e64 v54, v36, 0x78, vcc_lo
	s_delay_alu instid0(VALU_DEP_1) | instskip(SKIP_1) | instid1(VALU_DEP_2)
	v_dual_cndmask_b32 v38, v38, v3, vcc_lo :: v_dual_add_nc_u32 v36, 20, v54
	v_add_nc_u32_e32 v55, 19, v54
	v_lshlrev_b64_e64 v[36:37], v36, -1
	s_delay_alu instid0(VALU_DEP_2) | instskip(NEXT) | instid1(VALU_DEP_2)
	v_lshlrev_b64_e64 v[102:103], v55, 1
	v_bfi_b32 v105, v37, 0, 0
	s_delay_alu instid0(VALU_DEP_3) | instskip(SKIP_1) | instid1(VALU_DEP_1)
	v_bfi_b32 v104, v36, 0, v38
	v_lshrrev_b64 v[36:37], v54, v[38:39]
	v_mov_b64_e32 v[38:39], v[36:37]
	s_delay_alu instid0(VALU_DEP_3)
	v_cmpx_eq_u64_e64 v[104:105], v[102:103]
; %bb.4610:                             ;   in Loop: Header=BB6_3974 Depth=2
	v_bfe_u32 v38, v36, 20, 1
	v_mov_b32_e32 v39, v87
	s_delay_alu instid0(VALU_DEP_1) | instskip(NEXT) | instid1(VALU_DEP_1)
	v_add_nc_u64_e32 v[38:39], v[36:37], v[38:39]
	v_add_nc_u64_e32 v[38:39], -1, v[38:39]
; %bb.4611:                             ;   in Loop: Header=BB6_3974 Depth=2
	s_or_b32 exec_lo, exec_lo, s29
	v_add_nc_u32_e32 v3, 0xffffff81, v31
	v_lshrrev_b32_e32 v31, 23, v36
	s_mov_b32 s7, exec_lo
	v_mov_b32_e32 v37, v87
	s_delay_alu instid0(VALU_DEP_3) | instskip(NEXT) | instid1(VALU_DEP_1)
	v_cndmask_b32_e64 v3, v3, 0xffffff82, vcc_lo
	v_add3_u32 v31, v54, v3, v31
	v_and_b32_e32 v3, 0xfffff, v38
	s_delay_alu instid0(VALU_DEP_1) | instskip(NEXT) | instid1(VALU_DEP_1)
	v_dual_add_nc_u32 v38, 6, v31 :: v_dual_add_nc_u32 v36, v3, v36
                                        ; implicit-def: $vgpr3
	v_cmpx_ne_u32_e32 0, v38
	s_xor_b32 s7, exec_lo, s7
; %bb.4612:                             ;   in Loop: Header=BB6_3974 Depth=2
	s_delay_alu instid0(VALU_DEP_2) | instskip(SKIP_2) | instid1(VALU_DEP_2)
	v_cmp_lt_u64_e32 vcc_lo, 0xffffff, v[36:37]
	v_add_nc_u32_e32 v3, 7, v31
	v_cndmask_b32_e64 v31, 0, 1, vcc_lo
	v_cndmask_b32_e32 v3, v38, v3, vcc_lo
	s_delay_alu instid0(VALU_DEP_2)
	v_lshrrev_b64 v[36:37], v31, v[36:37]
; %bb.4613:                             ;   in Loop: Header=BB6_3974 Depth=2
	s_and_not1_saveexec_b32 s7, s7
; %bb.4614:                             ;   in Loop: Header=BB6_3974 Depth=2
	s_delay_alu instid0(VALU_DEP_1)
	v_bfe_u32 v3, v36, 23, 1
; %bb.4615:                             ;   in Loop: Header=BB6_3974 Depth=2
	s_or_b32 exec_lo, exec_lo, s7
	s_delay_alu instid0(VALU_DEP_2) | instskip(NEXT) | instid1(VALU_DEP_2)
	v_lshrrev_b64 v[36:37], 20, v[36:37]
	v_cmp_gt_i32_e32 vcc_lo, 16, v3
	v_min_i32_e32 v31, 15, v3
	v_cmp_eq_u32_e64 s7, 0, v3
	s_delay_alu instid0(VALU_DEP_2) | instskip(SKIP_1) | instid1(VALU_DEP_2)
	v_dual_cndmask_b32 v37, 0, v37, vcc_lo :: v_dual_lshlrev_b32 v31, 3, v31
	v_cndmask_b32_e32 v36, 7, v36, vcc_lo
	v_and_b32_e32 v31, 0xf8, v31
	s_delay_alu instid0(VALU_DEP_2) | instskip(NEXT) | instid1(VALU_DEP_2)
	v_cmp_eq_u64_e32 vcc_lo, 0, v[36:37]
	v_and_or_b32 v3, v36, 7, v31
	s_and_b32 s7, s7, vcc_lo
	s_delay_alu instid0(VALU_DEP_1) | instid1(SALU_CYCLE_1)
	v_cndmask_b32_e64 v3, v3, 0, s7
	s_delay_alu instid0(VALU_DEP_1)
	v_or_b32_e32 v95, v3, v2
.LBB6_4616:                             ;   in Loop: Header=BB6_3974 Depth=2
	s_or_b32 exec_lo, exec_lo, s28
                                        ; implicit-def: $vgpr2
.LBB6_4617:                             ;   in Loop: Header=BB6_3974 Depth=2
	s_and_not1_saveexec_b32 s7, s27
; %bb.4618:                             ;   in Loop: Header=BB6_3974 Depth=2
	v_or_b32_e32 v95, 0x7e, v2
; %bb.4619:                             ;   in Loop: Header=BB6_3974 Depth=2
	s_or_b32 exec_lo, exec_lo, s7
                                        ; implicit-def: $vgpr2
.LBB6_4620:                             ;   in Loop: Header=BB6_3974 Depth=2
	s_and_not1_saveexec_b32 s7, s26
; %bb.4621:                             ;   in Loop: Header=BB6_3974 Depth=2
	v_or_b32_e32 v95, 0x7f, v2
; %bb.4622:                             ;   in Loop: Header=BB6_3974 Depth=2
	s_or_b32 exec_lo, exec_lo, s7
	v_lshrrev_b16 v31, 8, v86
	v_dual_mov_b32 v2, 0 :: v_dual_mov_b32 v3, 0
	s_mov_b32 s7, exec_lo
	s_delay_alu instid0(VALU_DEP_2)
	v_cmpx_ne_u16_e32 0, v31
	s_cbranch_execz .LBB6_4630
; %bb.4623:                             ;   in Loop: Header=BB6_3974 Depth=2
	v_bfrev_b32_e32 v3, 1
	s_mov_b32 s26, exec_lo
	v_cmpx_ne_u16_e32 0x80, v31
	s_cbranch_execz .LBB6_4629
; %bb.4624:                             ;   in Loop: Header=BB6_3974 Depth=2
	v_and_b32_e32 v36, 0xffff, v31
	v_mov_b32_e32 v3, 0x7f800001
	s_mov_b32 s27, exec_lo
	s_delay_alu instid0(VALU_DEP_2) | instskip(NEXT) | instid1(VALU_DEP_1)
	v_and_b32_e32 v31, 0x7f, v36
	v_cmpx_ne_u32_e32 0x7f, v31
	s_cbranch_execz .LBB6_4628
; %bb.4625:                             ;   in Loop: Header=BB6_3974 Depth=2
	v_dual_mov_b32 v37, v87 :: v_dual_bitop2_b32 v36, 7, v36 bitop3:0x40
	v_lshrrev_b32_e32 v3, 3, v31
	s_mov_b32 s28, exec_lo
	v_cmpx_gt_u32_e32 8, v31
; %bb.4626:                             ;   in Loop: Header=BB6_3974 Depth=2
	s_delay_alu instid0(VALU_DEP_3) | instskip(NEXT) | instid1(VALU_DEP_1)
	v_clz_i32_u32_e32 v3, v36
	v_min_u32_e32 v3, 32, v3
	s_delay_alu instid0(VALU_DEP_1) | instskip(NEXT) | instid1(VALU_DEP_1)
	v_subrev_nc_u32_e32 v31, 28, v3
	v_lshlrev_b64_e32 v[36:37], v31, v[36:37]
	s_delay_alu instid0(VALU_DEP_1)
	v_dual_sub_nc_u32 v3, 29, v3 :: v_dual_bitop2_b32 v36, 7, v36 bitop3:0x40
; %bb.4627:                             ;   in Loop: Header=BB6_3974 Depth=2
	s_or_b32 exec_lo, exec_lo, s28
	s_delay_alu instid0(VALU_DEP_1) | instskip(NEXT) | instid1(VALU_DEP_2)
	v_dual_lshlrev_b32 v31, 16, v86 :: v_dual_lshlrev_b32 v36, 20, v36
	v_lshl_add_u32 v3, v3, 23, 0x3c000000
	s_delay_alu instid0(VALU_DEP_2) | instskip(NEXT) | instid1(VALU_DEP_1)
	v_and_b32_e32 v31, 0x80000000, v31
	v_or3_b32 v3, v36, v31, v3
.LBB6_4628:                             ;   in Loop: Header=BB6_3974 Depth=2
	s_or_b32 exec_lo, exec_lo, s27
.LBB6_4629:                             ;   in Loop: Header=BB6_3974 Depth=2
	s_delay_alu instid0(SALU_CYCLE_1)
	s_or_b32 exec_lo, exec_lo, s26
.LBB6_4630:                             ;   in Loop: Header=BB6_3974 Depth=2
	s_delay_alu instid0(SALU_CYCLE_1) | instskip(SKIP_2) | instid1(VALU_DEP_1)
	s_or_b32 exec_lo, exec_lo, s7
	v_lshrrev_b16 v31, 8, v27
	s_mov_b32 s7, exec_lo
	v_cmpx_ne_u16_e32 0, v31
	s_cbranch_execz .LBB6_4638
; %bb.4631:                             ;   in Loop: Header=BB6_3974 Depth=2
	v_bfrev_b32_e32 v2, 1
	s_mov_b32 s26, exec_lo
	v_cmpx_ne_u16_e32 0x80, v31
	s_cbranch_execz .LBB6_4637
; %bb.4632:                             ;   in Loop: Header=BB6_3974 Depth=2
	v_and_b32_e32 v36, 0xffff, v31
	v_mov_b32_e32 v2, 0x7f800001
	s_mov_b32 s27, exec_lo
	s_delay_alu instid0(VALU_DEP_2) | instskip(NEXT) | instid1(VALU_DEP_1)
	v_and_b32_e32 v31, 0x7f, v36
	v_cmpx_ne_u32_e32 0x7f, v31
	s_cbranch_execz .LBB6_4636
; %bb.4633:                             ;   in Loop: Header=BB6_3974 Depth=2
	v_dual_lshrrev_b32 v2, 3, v31 :: v_dual_bitop2_b32 v86, 7, v36 bitop3:0x40
	s_mov_b32 s28, exec_lo
	v_cmpx_gt_u32_e32 8, v31
; %bb.4634:                             ;   in Loop: Header=BB6_3974 Depth=2
	s_delay_alu instid0(VALU_DEP_2) | instskip(NEXT) | instid1(VALU_DEP_1)
	v_clz_i32_u32_e32 v2, v86
	v_min_u32_e32 v2, 32, v2
	s_delay_alu instid0(VALU_DEP_1) | instskip(NEXT) | instid1(VALU_DEP_1)
	v_subrev_nc_u32_e32 v31, 28, v2
	v_lshlrev_b64_e32 v[36:37], v31, v[86:87]
	s_delay_alu instid0(VALU_DEP_1)
	v_dual_sub_nc_u32 v2, 29, v2 :: v_dual_bitop2_b32 v86, 7, v36 bitop3:0x40
; %bb.4635:                             ;   in Loop: Header=BB6_3974 Depth=2
	s_or_b32 exec_lo, exec_lo, s28
	s_delay_alu instid0(VALU_DEP_1) | instskip(NEXT) | instid1(VALU_DEP_2)
	v_dual_lshlrev_b32 v31, 16, v27 :: v_dual_lshlrev_b32 v36, 20, v86
	v_lshl_add_u32 v2, v2, 23, 0x3c000000
	s_delay_alu instid0(VALU_DEP_2) | instskip(NEXT) | instid1(VALU_DEP_1)
	v_and_b32_e32 v31, 0x80000000, v31
	v_or3_b32 v2, v36, v31, v2
.LBB6_4636:                             ;   in Loop: Header=BB6_3974 Depth=2
	s_or_b32 exec_lo, exec_lo, s27
.LBB6_4637:                             ;   in Loop: Header=BB6_3974 Depth=2
	s_delay_alu instid0(SALU_CYCLE_1)
	s_or_b32 exec_lo, exec_lo, s26
.LBB6_4638:                             ;   in Loop: Header=BB6_3974 Depth=2
	s_delay_alu instid0(SALU_CYCLE_1) | instskip(NEXT) | instid1(VALU_DEP_1)
	s_or_b32 exec_lo, exec_lo, s7
	v_mul_f32_e32 v3, v3, v2
                                        ; implicit-def: $vgpr104
	s_mov_b32 s7, exec_lo
	s_delay_alu instid0(VALU_DEP_1) | instskip(SKIP_1) | instid1(VALU_DEP_2)
	v_and_b32_e32 v86, 0x7f800000, v3
	v_lshrrev_b32_e32 v2, 24, v3
	v_cmpx_ne_u64_e32 0x7f800000, v[86:87]
	s_xor_b32 s26, exec_lo, s7
	s_cbranch_execz .LBB6_4652
; %bb.4639:                             ;   in Loop: Header=BB6_3974 Depth=2
	v_and_b32_e32 v86, 0x7fffffff, v3
	v_and_b32_e32 v2, 0x80, v2
                                        ; implicit-def: $vgpr104
	s_mov_b32 s7, exec_lo
	s_delay_alu instid0(VALU_DEP_2)
	v_cmpx_gt_u64_e32 0x43e00001, v[86:87]
	s_xor_b32 s27, exec_lo, s7
	s_cbranch_execz .LBB6_4649
; %bb.4640:                             ;   in Loop: Header=BB6_3974 Depth=2
	v_mov_b32_e32 v104, 0
	s_mov_b32 s28, exec_lo
	v_cmpx_ne_u32_e32 0, v3
	s_cbranch_execz .LBB6_4648
; %bb.4641:                             ;   in Loop: Header=BB6_3974 Depth=2
	v_bfe_u32 v31, v3, 23, 8
	v_and_b32_e32 v3, 0x7fffff, v3
	s_delay_alu instid0(VALU_DEP_2) | instskip(SKIP_1) | instid1(VALU_DEP_3)
	v_sub_nc_u32_e32 v36, 0x79, v31
	v_cmp_gt_u32_e32 vcc_lo, 0x7a, v31
	v_or_b32_e32 v38, 0x800000, v3
	s_delay_alu instid0(VALU_DEP_3) | instskip(SKIP_1) | instid1(VALU_DEP_2)
	v_cndmask_b32_e32 v36, 0, v36, vcc_lo
	v_cmp_eq_u32_e32 vcc_lo, 0, v31
	v_cndmask_b32_e64 v54, v36, 0x78, vcc_lo
	s_delay_alu instid0(VALU_DEP_1) | instskip(SKIP_1) | instid1(VALU_DEP_2)
	v_dual_cndmask_b32 v86, v38, v3, vcc_lo :: v_dual_add_nc_u32 v36, 20, v54
	v_add_nc_u32_e32 v39, 19, v54
	v_lshlrev_b64_e64 v[36:37], v36, -1
	s_delay_alu instid0(VALU_DEP_2) | instskip(NEXT) | instid1(VALU_DEP_2)
	v_lshlrev_b64_e64 v[38:39], v39, 1
	v_bfi_b32 v103, v37, 0, 0
	s_delay_alu instid0(VALU_DEP_3) | instskip(SKIP_1) | instid1(VALU_DEP_2)
	v_bfi_b32 v102, v36, 0, v86
	v_lshrrev_b64 v[36:37], v54, v[86:87]
	v_cmp_eq_u64_e64 s7, v[102:103], v[38:39]
	s_delay_alu instid0(VALU_DEP_2)
	v_mov_b64_e32 v[38:39], v[36:37]
	s_and_saveexec_b32 s29, s7
; %bb.4642:                             ;   in Loop: Header=BB6_3974 Depth=2
	v_bfe_u32 v86, v36, 20, 1
	s_delay_alu instid0(VALU_DEP_1) | instskip(NEXT) | instid1(VALU_DEP_1)
	v_add_nc_u64_e32 v[38:39], v[36:37], v[86:87]
	v_add_nc_u64_e32 v[38:39], -1, v[38:39]
; %bb.4643:                             ;   in Loop: Header=BB6_3974 Depth=2
	s_or_b32 exec_lo, exec_lo, s29
	v_add_nc_u32_e32 v3, 0xffffff81, v31
	v_lshrrev_b32_e32 v31, 23, v36
	s_mov_b32 s7, exec_lo
	s_delay_alu instid0(VALU_DEP_2) | instskip(NEXT) | instid1(VALU_DEP_1)
	v_cndmask_b32_e64 v3, v3, 0xffffff82, vcc_lo
	v_add3_u32 v31, v54, v3, v31
	v_and_b32_e32 v3, 0xfffff, v38
	s_delay_alu instid0(VALU_DEP_1) | instskip(NEXT) | instid1(VALU_DEP_1)
	v_dual_add_nc_u32 v38, 6, v31 :: v_dual_add_nc_u32 v86, v3, v36
                                        ; implicit-def: $vgpr36_vgpr37
                                        ; implicit-def: $vgpr3
	v_cmpx_ne_u32_e32 0, v38
	s_xor_b32 s7, exec_lo, s7
; %bb.4644:                             ;   in Loop: Header=BB6_3974 Depth=2
	s_delay_alu instid0(VALU_DEP_2) | instskip(SKIP_2) | instid1(VALU_DEP_2)
	v_cmp_lt_u64_e32 vcc_lo, 0xffffff, v[86:87]
	v_add_nc_u32_e32 v3, 7, v31
	v_cndmask_b32_e64 v31, 0, 1, vcc_lo
	v_cndmask_b32_e32 v3, v38, v3, vcc_lo
	s_delay_alu instid0(VALU_DEP_2)
	v_lshrrev_b64 v[36:37], v31, v[86:87]
; %bb.4645:                             ;   in Loop: Header=BB6_3974 Depth=2
	s_and_not1_saveexec_b32 s7, s7
; %bb.4646:                             ;   in Loop: Header=BB6_3974 Depth=2
	v_mov_b64_e32 v[36:37], v[86:87]
	v_bfe_u32 v3, v86, 23, 1
; %bb.4647:                             ;   in Loop: Header=BB6_3974 Depth=2
	s_or_b32 exec_lo, exec_lo, s7
	s_delay_alu instid0(VALU_DEP_2) | instskip(NEXT) | instid1(VALU_DEP_2)
	v_lshrrev_b64 v[36:37], 20, v[36:37]
	v_cmp_gt_i32_e32 vcc_lo, 16, v3
	v_min_i32_e32 v31, 15, v3
	v_cmp_eq_u32_e64 s7, 0, v3
	s_delay_alu instid0(VALU_DEP_2) | instskip(SKIP_1) | instid1(VALU_DEP_2)
	v_dual_cndmask_b32 v37, 0, v37, vcc_lo :: v_dual_lshlrev_b32 v31, 3, v31
	v_cndmask_b32_e32 v36, 7, v36, vcc_lo
	v_and_b32_e32 v31, 0xf8, v31
	s_delay_alu instid0(VALU_DEP_2) | instskip(NEXT) | instid1(VALU_DEP_2)
	v_cmp_eq_u64_e32 vcc_lo, 0, v[36:37]
	v_and_or_b32 v3, v36, 7, v31
	s_and_b32 s7, s7, vcc_lo
	s_delay_alu instid0(VALU_DEP_1) | instid1(SALU_CYCLE_1)
	v_cndmask_b32_e64 v3, v3, 0, s7
	s_delay_alu instid0(VALU_DEP_1)
	v_or_b32_e32 v104, v3, v2
.LBB6_4648:                             ;   in Loop: Header=BB6_3974 Depth=2
	s_or_b32 exec_lo, exec_lo, s28
                                        ; implicit-def: $vgpr2
.LBB6_4649:                             ;   in Loop: Header=BB6_3974 Depth=2
	s_and_not1_saveexec_b32 s7, s27
; %bb.4650:                             ;   in Loop: Header=BB6_3974 Depth=2
	v_or_b32_e32 v104, 0x7e, v2
; %bb.4651:                             ;   in Loop: Header=BB6_3974 Depth=2
	s_or_b32 exec_lo, exec_lo, s7
                                        ; implicit-def: $vgpr2
.LBB6_4652:                             ;   in Loop: Header=BB6_3974 Depth=2
	s_and_not1_saveexec_b32 s7, s26
; %bb.4653:                             ;   in Loop: Header=BB6_3974 Depth=2
	v_or_b32_e32 v104, 0x7f, v2
; %bb.4654:                             ;   in Loop: Header=BB6_3974 Depth=2
	s_or_b32 exec_lo, exec_lo, s7
	v_dual_mov_b32 v2, 0 :: v_dual_lshrrev_b32 v31, 16, v33
	v_mov_b32_e32 v3, 0
	s_mov_b32 s7, exec_lo
	s_delay_alu instid0(VALU_DEP_2) | instskip(NEXT) | instid1(VALU_DEP_1)
	v_and_b32_e32 v36, 0xff, v31
	v_cmpx_ne_u16_e32 0, v36
	s_cbranch_execz .LBB6_4662
; %bb.4655:                             ;   in Loop: Header=BB6_3974 Depth=2
	v_bfrev_b32_e32 v3, 1
	s_mov_b32 s26, exec_lo
	v_cmpx_ne_u16_e32 0x80, v36
	s_cbranch_execz .LBB6_4661
; %bb.4656:                             ;   in Loop: Header=BB6_3974 Depth=2
	v_bfe_u32 v36, v33, 16, 7
	v_mov_b32_e32 v3, 0x7f800001
	s_mov_b32 s27, exec_lo
	s_delay_alu instid0(VALU_DEP_2)
	v_cmpx_ne_u32_e32 0x7f, v36
	s_cbranch_execz .LBB6_4660
; %bb.4657:                             ;   in Loop: Header=BB6_3974 Depth=2
	v_dual_lshrrev_b32 v3, 3, v36 :: v_dual_bitop2_b32 v86, 7, v31 bitop3:0x40
	s_mov_b32 s28, exec_lo
	v_cmpx_gt_u32_e32 8, v36
; %bb.4658:                             ;   in Loop: Header=BB6_3974 Depth=2
	s_delay_alu instid0(VALU_DEP_2) | instskip(NEXT) | instid1(VALU_DEP_1)
	v_clz_i32_u32_e32 v3, v86
	v_min_u32_e32 v3, 32, v3
	s_delay_alu instid0(VALU_DEP_1) | instskip(NEXT) | instid1(VALU_DEP_1)
	v_subrev_nc_u32_e32 v36, 28, v3
	v_lshlrev_b64_e32 v[36:37], v36, v[86:87]
	s_delay_alu instid0(VALU_DEP_1)
	v_dual_sub_nc_u32 v3, 29, v3 :: v_dual_bitop2_b32 v86, 7, v36 bitop3:0x40
; %bb.4659:                             ;   in Loop: Header=BB6_3974 Depth=2
	s_or_b32 exec_lo, exec_lo, s28
	s_delay_alu instid0(VALU_DEP_1) | instskip(NEXT) | instid1(VALU_DEP_2)
	v_dual_lshlrev_b32 v31, 24, v31 :: v_dual_lshlrev_b32 v36, 20, v86
	v_lshl_add_u32 v3, v3, 23, 0x3c000000
	s_delay_alu instid0(VALU_DEP_2) | instskip(NEXT) | instid1(VALU_DEP_1)
	v_and_b32_e32 v31, 0x80000000, v31
	v_or3_b32 v3, v36, v31, v3
.LBB6_4660:                             ;   in Loop: Header=BB6_3974 Depth=2
	s_or_b32 exec_lo, exec_lo, s27
.LBB6_4661:                             ;   in Loop: Header=BB6_3974 Depth=2
	s_delay_alu instid0(SALU_CYCLE_1)
	s_or_b32 exec_lo, exec_lo, s26
.LBB6_4662:                             ;   in Loop: Header=BB6_3974 Depth=2
	s_delay_alu instid0(SALU_CYCLE_1) | instskip(SKIP_2) | instid1(VALU_DEP_1)
	s_or_b32 exec_lo, exec_lo, s7
	v_lshrrev_b32_e32 v31, 16, v27
	s_mov_b32 s7, exec_lo
	v_and_b32_e32 v36, 0xff, v31
	s_delay_alu instid0(VALU_DEP_1)
	v_cmpx_ne_u16_e32 0, v36
	s_cbranch_execz .LBB6_4670
; %bb.4663:                             ;   in Loop: Header=BB6_3974 Depth=2
	v_bfrev_b32_e32 v2, 1
	s_mov_b32 s26, exec_lo
	v_cmpx_ne_u16_e32 0x80, v36
	s_cbranch_execz .LBB6_4669
; %bb.4664:                             ;   in Loop: Header=BB6_3974 Depth=2
	v_bfe_u32 v36, v27, 16, 7
	v_mov_b32_e32 v2, 0x7f800001
	s_mov_b32 s27, exec_lo
	s_delay_alu instid0(VALU_DEP_2)
	v_cmpx_ne_u32_e32 0x7f, v36
	s_cbranch_execz .LBB6_4668
; %bb.4665:                             ;   in Loop: Header=BB6_3974 Depth=2
	v_dual_lshrrev_b32 v2, 3, v36 :: v_dual_bitop2_b32 v86, 7, v31 bitop3:0x40
	s_mov_b32 s28, exec_lo
	v_cmpx_gt_u32_e32 8, v36
; %bb.4666:                             ;   in Loop: Header=BB6_3974 Depth=2
	s_delay_alu instid0(VALU_DEP_2) | instskip(NEXT) | instid1(VALU_DEP_1)
	v_clz_i32_u32_e32 v2, v86
	v_min_u32_e32 v2, 32, v2
	s_delay_alu instid0(VALU_DEP_1) | instskip(NEXT) | instid1(VALU_DEP_1)
	v_subrev_nc_u32_e32 v31, 28, v2
	v_lshlrev_b64_e32 v[36:37], v31, v[86:87]
	s_delay_alu instid0(VALU_DEP_1)
	v_dual_sub_nc_u32 v2, 29, v2 :: v_dual_bitop2_b32 v86, 7, v36 bitop3:0x40
; %bb.4667:                             ;   in Loop: Header=BB6_3974 Depth=2
	s_or_b32 exec_lo, exec_lo, s28
	s_delay_alu instid0(VALU_DEP_1) | instskip(NEXT) | instid1(VALU_DEP_2)
	v_dual_lshlrev_b32 v31, 8, v27 :: v_dual_lshlrev_b32 v36, 20, v86
	v_lshl_add_u32 v2, v2, 23, 0x3c000000
	s_delay_alu instid0(VALU_DEP_2) | instskip(NEXT) | instid1(VALU_DEP_1)
	v_and_b32_e32 v31, 0x80000000, v31
	v_or3_b32 v2, v36, v31, v2
.LBB6_4668:                             ;   in Loop: Header=BB6_3974 Depth=2
	s_or_b32 exec_lo, exec_lo, s27
.LBB6_4669:                             ;   in Loop: Header=BB6_3974 Depth=2
	s_delay_alu instid0(SALU_CYCLE_1)
	s_or_b32 exec_lo, exec_lo, s26
.LBB6_4670:                             ;   in Loop: Header=BB6_3974 Depth=2
	s_delay_alu instid0(SALU_CYCLE_1) | instskip(NEXT) | instid1(VALU_DEP_1)
	s_or_b32 exec_lo, exec_lo, s7
	v_mul_f32_e32 v3, v3, v2
                                        ; implicit-def: $vgpr36
	s_mov_b32 s7, exec_lo
	s_delay_alu instid0(VALU_DEP_1) | instskip(SKIP_1) | instid1(VALU_DEP_2)
	v_and_b32_e32 v86, 0x7f800000, v3
	v_lshrrev_b32_e32 v2, 24, v3
	v_cmpx_ne_u64_e32 0x7f800000, v[86:87]
	s_xor_b32 s26, exec_lo, s7
	s_cbranch_execz .LBB6_4684
; %bb.4671:                             ;   in Loop: Header=BB6_3974 Depth=2
	v_and_b32_e32 v86, 0x7fffffff, v3
	v_and_b32_e32 v2, 0x80, v2
                                        ; implicit-def: $vgpr36
	s_mov_b32 s7, exec_lo
	s_delay_alu instid0(VALU_DEP_2)
	v_cmpx_gt_u64_e32 0x43e00001, v[86:87]
	s_xor_b32 s27, exec_lo, s7
	s_cbranch_execz .LBB6_4681
; %bb.4672:                             ;   in Loop: Header=BB6_3974 Depth=2
	v_mov_b32_e32 v36, 0
	s_mov_b32 s28, exec_lo
	v_cmpx_ne_u32_e32 0, v3
	s_cbranch_execz .LBB6_4680
; %bb.4673:                             ;   in Loop: Header=BB6_3974 Depth=2
	v_bfe_u32 v31, v3, 23, 8
	v_and_b32_e32 v3, 0x7fffff, v3
	s_delay_alu instid0(VALU_DEP_2) | instskip(SKIP_1) | instid1(VALU_DEP_3)
	v_sub_nc_u32_e32 v36, 0x79, v31
	v_cmp_gt_u32_e32 vcc_lo, 0x7a, v31
	v_or_b32_e32 v38, 0x800000, v3
	s_delay_alu instid0(VALU_DEP_3) | instskip(SKIP_1) | instid1(VALU_DEP_2)
	v_cndmask_b32_e32 v36, 0, v36, vcc_lo
	v_cmp_eq_u32_e32 vcc_lo, 0, v31
	v_cndmask_b32_e64 v54, v36, 0x78, vcc_lo
	s_delay_alu instid0(VALU_DEP_1) | instskip(SKIP_1) | instid1(VALU_DEP_2)
	v_dual_cndmask_b32 v86, v38, v3, vcc_lo :: v_dual_add_nc_u32 v36, 20, v54
	v_add_nc_u32_e32 v39, 19, v54
	v_lshlrev_b64_e64 v[36:37], v36, -1
	s_delay_alu instid0(VALU_DEP_2) | instskip(NEXT) | instid1(VALU_DEP_2)
	v_lshlrev_b64_e64 v[38:39], v39, 1
	v_bfi_b32 v103, v37, 0, 0
	s_delay_alu instid0(VALU_DEP_3) | instskip(SKIP_1) | instid1(VALU_DEP_2)
	v_bfi_b32 v102, v36, 0, v86
	v_lshrrev_b64 v[36:37], v54, v[86:87]
	v_cmp_eq_u64_e64 s7, v[102:103], v[38:39]
	s_delay_alu instid0(VALU_DEP_2)
	v_mov_b64_e32 v[38:39], v[36:37]
	s_and_saveexec_b32 s29, s7
; %bb.4674:                             ;   in Loop: Header=BB6_3974 Depth=2
	v_bfe_u32 v86, v36, 20, 1
	s_delay_alu instid0(VALU_DEP_1) | instskip(NEXT) | instid1(VALU_DEP_1)
	v_add_nc_u64_e32 v[38:39], v[36:37], v[86:87]
	v_add_nc_u64_e32 v[38:39], -1, v[38:39]
; %bb.4675:                             ;   in Loop: Header=BB6_3974 Depth=2
	s_or_b32 exec_lo, exec_lo, s29
	v_add_nc_u32_e32 v3, 0xffffff81, v31
	v_lshrrev_b32_e32 v31, 23, v36
	s_mov_b32 s7, exec_lo
	s_delay_alu instid0(VALU_DEP_2) | instskip(NEXT) | instid1(VALU_DEP_1)
	v_cndmask_b32_e64 v3, v3, 0xffffff82, vcc_lo
	v_add3_u32 v31, v54, v3, v31
	v_and_b32_e32 v3, 0xfffff, v38
	s_delay_alu instid0(VALU_DEP_1) | instskip(NEXT) | instid1(VALU_DEP_1)
	v_dual_add_nc_u32 v38, 6, v31 :: v_dual_add_nc_u32 v86, v3, v36
                                        ; implicit-def: $vgpr36_vgpr37
                                        ; implicit-def: $vgpr3
	v_cmpx_ne_u32_e32 0, v38
	s_xor_b32 s7, exec_lo, s7
; %bb.4676:                             ;   in Loop: Header=BB6_3974 Depth=2
	s_delay_alu instid0(VALU_DEP_2) | instskip(SKIP_2) | instid1(VALU_DEP_2)
	v_cmp_lt_u64_e32 vcc_lo, 0xffffff, v[86:87]
	v_add_nc_u32_e32 v3, 7, v31
	v_cndmask_b32_e64 v31, 0, 1, vcc_lo
	v_cndmask_b32_e32 v3, v38, v3, vcc_lo
	s_delay_alu instid0(VALU_DEP_2)
	v_lshrrev_b64 v[36:37], v31, v[86:87]
; %bb.4677:                             ;   in Loop: Header=BB6_3974 Depth=2
	s_and_not1_saveexec_b32 s7, s7
; %bb.4678:                             ;   in Loop: Header=BB6_3974 Depth=2
	v_mov_b64_e32 v[36:37], v[86:87]
	v_bfe_u32 v3, v86, 23, 1
; %bb.4679:                             ;   in Loop: Header=BB6_3974 Depth=2
	s_or_b32 exec_lo, exec_lo, s7
	s_delay_alu instid0(VALU_DEP_2) | instskip(NEXT) | instid1(VALU_DEP_2)
	v_lshrrev_b64 v[36:37], 20, v[36:37]
	v_cmp_gt_i32_e32 vcc_lo, 16, v3
	v_min_i32_e32 v31, 15, v3
	v_cmp_eq_u32_e64 s7, 0, v3
	s_delay_alu instid0(VALU_DEP_2) | instskip(SKIP_1) | instid1(VALU_DEP_2)
	v_dual_cndmask_b32 v37, 0, v37, vcc_lo :: v_dual_lshlrev_b32 v31, 3, v31
	v_cndmask_b32_e32 v36, 7, v36, vcc_lo
	v_and_b32_e32 v31, 0xf8, v31
	s_delay_alu instid0(VALU_DEP_2) | instskip(NEXT) | instid1(VALU_DEP_2)
	v_cmp_eq_u64_e32 vcc_lo, 0, v[36:37]
	v_and_or_b32 v3, v36, 7, v31
	s_and_b32 s7, s7, vcc_lo
	s_delay_alu instid0(VALU_DEP_1) | instid1(SALU_CYCLE_1)
	v_cndmask_b32_e64 v3, v3, 0, s7
	s_delay_alu instid0(VALU_DEP_1)
	v_or_b32_e32 v36, v3, v2
.LBB6_4680:                             ;   in Loop: Header=BB6_3974 Depth=2
	s_or_b32 exec_lo, exec_lo, s28
                                        ; implicit-def: $vgpr2
.LBB6_4681:                             ;   in Loop: Header=BB6_3974 Depth=2
	s_and_not1_saveexec_b32 s7, s27
; %bb.4682:                             ;   in Loop: Header=BB6_3974 Depth=2
	v_or_b32_e32 v36, 0x7e, v2
; %bb.4683:                             ;   in Loop: Header=BB6_3974 Depth=2
	s_or_b32 exec_lo, exec_lo, s7
                                        ; implicit-def: $vgpr2
.LBB6_4684:                             ;   in Loop: Header=BB6_3974 Depth=2
	s_and_not1_saveexec_b32 s7, s26
; %bb.4685:                             ;   in Loop: Header=BB6_3974 Depth=2
	v_or_b32_e32 v36, 0x7f, v2
; %bb.4686:                             ;   in Loop: Header=BB6_3974 Depth=2
	s_or_b32 exec_lo, exec_lo, s7
	v_dual_mov_b32 v2, 0 :: v_dual_mov_b32 v3, 0
	s_mov_b32 s7, exec_lo
	v_cmpx_lt_u64_e64 s[12:13], v[32:33]
	s_cbranch_execz .LBB6_4694
; %bb.4687:                             ;   in Loop: Header=BB6_3974 Depth=2
	v_lshrrev_b32_e32 v31, 24, v33
	v_bfrev_b32_e32 v3, 1
	s_mov_b32 s26, exec_lo
	s_delay_alu instid0(VALU_DEP_2)
	v_cmpx_ne_u32_e32 0x80, v31
	s_cbranch_execz .LBB6_4693
; %bb.4688:                             ;   in Loop: Header=BB6_3974 Depth=2
	v_bfe_u32 v32, v33, 24, 7
	v_mov_b32_e32 v3, 0x7f800001
	s_mov_b32 s27, exec_lo
	s_delay_alu instid0(VALU_DEP_2)
	v_cmpx_ne_u32_e32 0x7f, v32
	s_cbranch_execz .LBB6_4692
; %bb.4689:                             ;   in Loop: Header=BB6_3974 Depth=2
	v_dual_lshrrev_b32 v3, 3, v32 :: v_dual_bitop2_b32 v86, 7, v31 bitop3:0x40
	s_mov_b32 s28, exec_lo
	v_cmpx_gt_u32_e32 8, v32
; %bb.4690:                             ;   in Loop: Header=BB6_3974 Depth=2
	s_delay_alu instid0(VALU_DEP_2) | instskip(NEXT) | instid1(VALU_DEP_1)
	v_clz_i32_u32_e32 v3, v86
	v_min_u32_e32 v3, 32, v3
	s_delay_alu instid0(VALU_DEP_1) | instskip(NEXT) | instid1(VALU_DEP_1)
	v_subrev_nc_u32_e32 v32, 28, v3
	v_lshlrev_b64_e32 v[32:33], v32, v[86:87]
	s_delay_alu instid0(VALU_DEP_1)
	v_dual_sub_nc_u32 v3, 29, v3 :: v_dual_bitop2_b32 v86, 7, v32 bitop3:0x40
; %bb.4691:                             ;   in Loop: Header=BB6_3974 Depth=2
	s_or_b32 exec_lo, exec_lo, s28
	s_delay_alu instid0(VALU_DEP_1) | instskip(NEXT) | instid1(VALU_DEP_2)
	v_dual_lshlrev_b32 v31, 24, v31 :: v_dual_lshlrev_b32 v32, 20, v86
	v_lshl_add_u32 v3, v3, 23, 0x3c000000
	s_delay_alu instid0(VALU_DEP_2) | instskip(NEXT) | instid1(VALU_DEP_1)
	v_and_b32_e32 v31, 0x80000000, v31
	v_or3_b32 v3, v32, v31, v3
.LBB6_4692:                             ;   in Loop: Header=BB6_3974 Depth=2
	s_or_b32 exec_lo, exec_lo, s27
.LBB6_4693:                             ;   in Loop: Header=BB6_3974 Depth=2
	s_delay_alu instid0(SALU_CYCLE_1)
	s_or_b32 exec_lo, exec_lo, s26
.LBB6_4694:                             ;   in Loop: Header=BB6_3974 Depth=2
	s_delay_alu instid0(SALU_CYCLE_1) | instskip(NEXT) | instid1(SALU_CYCLE_1)
	s_or_b32 exec_lo, exec_lo, s7
	s_mov_b32 s7, exec_lo
	v_cmpx_lt_u64_e64 s[12:13], v[26:27]
	s_cbranch_execz .LBB6_4702
; %bb.4695:                             ;   in Loop: Header=BB6_3974 Depth=2
	v_lshrrev_b32_e32 v26, 24, v27
	v_bfrev_b32_e32 v2, 1
	s_mov_b32 s26, exec_lo
	s_delay_alu instid0(VALU_DEP_2)
	v_cmpx_ne_u32_e32 0x80, v26
	s_cbranch_execz .LBB6_4701
; %bb.4696:                             ;   in Loop: Header=BB6_3974 Depth=2
	v_bfe_u32 v27, v27, 24, 7
	v_mov_b32_e32 v2, 0x7f800001
	s_mov_b32 s27, exec_lo
	s_delay_alu instid0(VALU_DEP_2)
	v_cmpx_ne_u32_e32 0x7f, v27
	s_cbranch_execz .LBB6_4700
; %bb.4697:                             ;   in Loop: Header=BB6_3974 Depth=2
	v_dual_lshrrev_b32 v2, 3, v27 :: v_dual_bitop2_b32 v86, 7, v26 bitop3:0x40
	s_mov_b32 s28, exec_lo
	v_cmpx_gt_u32_e32 8, v27
; %bb.4698:                             ;   in Loop: Header=BB6_3974 Depth=2
	s_delay_alu instid0(VALU_DEP_2) | instskip(NEXT) | instid1(VALU_DEP_1)
	v_clz_i32_u32_e32 v2, v86
	v_min_u32_e32 v2, 32, v2
	s_delay_alu instid0(VALU_DEP_1) | instskip(NEXT) | instid1(VALU_DEP_1)
	v_subrev_nc_u32_e32 v27, 28, v2
	v_lshlrev_b64_e32 v[32:33], v27, v[86:87]
	s_delay_alu instid0(VALU_DEP_1)
	v_dual_sub_nc_u32 v2, 29, v2 :: v_dual_bitop2_b32 v86, 7, v32 bitop3:0x40
; %bb.4699:                             ;   in Loop: Header=BB6_3974 Depth=2
	s_or_b32 exec_lo, exec_lo, s28
	v_lshlrev_b32_e32 v26, 24, v26
	s_delay_alu instid0(VALU_DEP_2) | instskip(NEXT) | instid1(VALU_DEP_3)
	v_lshlrev_b32_e32 v27, 20, v86
	v_lshl_add_u32 v2, v2, 23, 0x3c000000
	s_delay_alu instid0(VALU_DEP_3) | instskip(NEXT) | instid1(VALU_DEP_1)
	v_and_b32_e32 v26, 0x80000000, v26
	v_or3_b32 v2, v27, v26, v2
.LBB6_4700:                             ;   in Loop: Header=BB6_3974 Depth=2
	s_or_b32 exec_lo, exec_lo, s27
.LBB6_4701:                             ;   in Loop: Header=BB6_3974 Depth=2
	s_delay_alu instid0(SALU_CYCLE_1)
	s_or_b32 exec_lo, exec_lo, s26
.LBB6_4702:                             ;   in Loop: Header=BB6_3974 Depth=2
	s_delay_alu instid0(SALU_CYCLE_1) | instskip(NEXT) | instid1(VALU_DEP_1)
	s_or_b32 exec_lo, exec_lo, s7
	v_mul_f32_e32 v3, v3, v2
                                        ; implicit-def: $vgpr37
	s_mov_b32 s7, exec_lo
	s_delay_alu instid0(VALU_DEP_1) | instskip(SKIP_1) | instid1(VALU_DEP_2)
	v_and_b32_e32 v86, 0x7f800000, v3
	v_lshrrev_b32_e32 v2, 24, v3
	v_cmpx_ne_u64_e32 0x7f800000, v[86:87]
	s_xor_b32 s26, exec_lo, s7
	s_cbranch_execz .LBB6_4716
; %bb.4703:                             ;   in Loop: Header=BB6_3974 Depth=2
	v_and_b32_e32 v86, 0x7fffffff, v3
	v_and_b32_e32 v2, 0x80, v2
                                        ; implicit-def: $vgpr37
	s_mov_b32 s7, exec_lo
	s_delay_alu instid0(VALU_DEP_2)
	v_cmpx_gt_u64_e32 0x43e00001, v[86:87]
	s_xor_b32 s27, exec_lo, s7
	s_cbranch_execz .LBB6_4713
; %bb.4704:                             ;   in Loop: Header=BB6_3974 Depth=2
	v_mov_b32_e32 v37, 0
	s_mov_b32 s28, exec_lo
	v_cmpx_ne_u32_e32 0, v3
	s_cbranch_execz .LBB6_4712
; %bb.4705:                             ;   in Loop: Header=BB6_3974 Depth=2
	v_bfe_u32 v31, v3, 23, 8
	v_and_b32_e32 v3, 0x7fffff, v3
	s_delay_alu instid0(VALU_DEP_2) | instskip(SKIP_1) | instid1(VALU_DEP_3)
	v_sub_nc_u32_e32 v26, 0x79, v31
	v_cmp_gt_u32_e32 vcc_lo, 0x7a, v31
	v_or_b32_e32 v32, 0x800000, v3
	s_delay_alu instid0(VALU_DEP_3) | instskip(SKIP_1) | instid1(VALU_DEP_2)
	v_cndmask_b32_e32 v26, 0, v26, vcc_lo
	v_cmp_eq_u32_e32 vcc_lo, 0, v31
	v_cndmask_b32_e64 v37, v26, 0x78, vcc_lo
	s_delay_alu instid0(VALU_DEP_1) | instskip(SKIP_1) | instid1(VALU_DEP_2)
	v_dual_cndmask_b32 v86, v32, v3, vcc_lo :: v_dual_add_nc_u32 v26, 20, v37
	v_add_nc_u32_e32 v33, 19, v37
	v_lshlrev_b64_e64 v[26:27], v26, -1
	s_delay_alu instid0(VALU_DEP_2) | instskip(NEXT) | instid1(VALU_DEP_2)
	v_lshlrev_b64_e64 v[32:33], v33, 1
	v_bfi_b32 v39, v27, 0, 0
	s_delay_alu instid0(VALU_DEP_3) | instskip(SKIP_1) | instid1(VALU_DEP_2)
	v_bfi_b32 v38, v26, 0, v86
	v_lshrrev_b64 v[26:27], v37, v[86:87]
	v_cmp_eq_u64_e64 s7, v[38:39], v[32:33]
	s_delay_alu instid0(VALU_DEP_2)
	v_mov_b64_e32 v[32:33], v[26:27]
	s_and_saveexec_b32 s29, s7
; %bb.4706:                             ;   in Loop: Header=BB6_3974 Depth=2
	v_bfe_u32 v86, v26, 20, 1
	s_delay_alu instid0(VALU_DEP_1) | instskip(NEXT) | instid1(VALU_DEP_1)
	v_add_nc_u64_e32 v[32:33], v[26:27], v[86:87]
	v_add_nc_u64_e32 v[32:33], -1, v[32:33]
; %bb.4707:                             ;   in Loop: Header=BB6_3974 Depth=2
	s_or_b32 exec_lo, exec_lo, s29
	v_add_nc_u32_e32 v3, 0xffffff81, v31
	v_lshrrev_b32_e32 v27, 23, v26
	s_mov_b32 s7, exec_lo
	s_delay_alu instid0(VALU_DEP_2) | instskip(NEXT) | instid1(VALU_DEP_1)
	v_cndmask_b32_e64 v3, v3, 0xffffff82, vcc_lo
	v_add3_u32 v31, v37, v3, v27
	v_and_b32_e32 v3, 0xfffff, v32
	s_delay_alu instid0(VALU_DEP_1) | instskip(NEXT) | instid1(VALU_DEP_1)
	v_dual_add_nc_u32 v32, 6, v31 :: v_dual_add_nc_u32 v86, v3, v26
                                        ; implicit-def: $vgpr26_vgpr27
                                        ; implicit-def: $vgpr3
	v_cmpx_ne_u32_e32 0, v32
	s_xor_b32 s7, exec_lo, s7
; %bb.4708:                             ;   in Loop: Header=BB6_3974 Depth=2
	s_delay_alu instid0(VALU_DEP_2) | instskip(SKIP_2) | instid1(VALU_DEP_2)
	v_cmp_lt_u64_e32 vcc_lo, 0xffffff, v[86:87]
	v_add_nc_u32_e32 v3, 7, v31
	v_cndmask_b32_e64 v26, 0, 1, vcc_lo
	v_cndmask_b32_e32 v3, v32, v3, vcc_lo
	s_delay_alu instid0(VALU_DEP_2)
	v_lshrrev_b64 v[26:27], v26, v[86:87]
; %bb.4709:                             ;   in Loop: Header=BB6_3974 Depth=2
	s_and_not1_saveexec_b32 s7, s7
; %bb.4710:                             ;   in Loop: Header=BB6_3974 Depth=2
	v_mov_b64_e32 v[26:27], v[86:87]
	v_bfe_u32 v3, v86, 23, 1
; %bb.4711:                             ;   in Loop: Header=BB6_3974 Depth=2
	s_or_b32 exec_lo, exec_lo, s7
	s_delay_alu instid0(VALU_DEP_2) | instskip(NEXT) | instid1(VALU_DEP_2)
	v_lshrrev_b64 v[26:27], 20, v[26:27]
	v_cmp_gt_i32_e32 vcc_lo, 16, v3
	v_min_i32_e32 v31, 15, v3
	v_cmp_eq_u32_e64 s7, 0, v3
	s_delay_alu instid0(VALU_DEP_2) | instskip(SKIP_1) | instid1(VALU_DEP_2)
	v_dual_cndmask_b32 v26, 7, v26 :: v_dual_lshlrev_b32 v31, 3, v31
	v_cndmask_b32_e32 v27, 0, v27, vcc_lo
	v_and_b32_e32 v31, 0xf8, v31
	s_delay_alu instid0(VALU_DEP_2) | instskip(NEXT) | instid1(VALU_DEP_2)
	v_cmp_eq_u64_e32 vcc_lo, 0, v[26:27]
	v_and_or_b32 v3, v26, 7, v31
	s_and_b32 s7, s7, vcc_lo
	s_delay_alu instid0(VALU_DEP_1) | instid1(SALU_CYCLE_1)
	v_cndmask_b32_e64 v3, v3, 0, s7
	s_delay_alu instid0(VALU_DEP_1)
	v_or_b32_e32 v37, v3, v2
.LBB6_4712:                             ;   in Loop: Header=BB6_3974 Depth=2
	s_or_b32 exec_lo, exec_lo, s28
                                        ; implicit-def: $vgpr2
.LBB6_4713:                             ;   in Loop: Header=BB6_3974 Depth=2
	s_and_not1_saveexec_b32 s7, s27
; %bb.4714:                             ;   in Loop: Header=BB6_3974 Depth=2
	v_or_b32_e32 v37, 0x7e, v2
; %bb.4715:                             ;   in Loop: Header=BB6_3974 Depth=2
	s_or_b32 exec_lo, exec_lo, s7
                                        ; implicit-def: $vgpr2
.LBB6_4716:                             ;   in Loop: Header=BB6_3974 Depth=2
	s_and_not1_saveexec_b32 s7, s26
; %bb.4717:                             ;   in Loop: Header=BB6_3974 Depth=2
	v_or_b32_e32 v37, 0x7f, v2
; %bb.4718:                             ;   in Loop: Header=BB6_3974 Depth=2
	s_or_b32 exec_lo, exec_lo, s7
	v_and_b32_e32 v26, 0xff, v34
	v_dual_mov_b32 v2, 0 :: v_dual_mov_b32 v3, 0
	s_mov_b32 s7, exec_lo
	s_delay_alu instid0(VALU_DEP_2)
	v_cmpx_ne_u16_e32 0, v26
	s_cbranch_execz .LBB6_4724
; %bb.4719:                             ;   in Loop: Header=BB6_3974 Depth=2
	v_bfrev_b32_e32 v3, 1
	s_mov_b32 s26, exec_lo
	v_cmpx_ne_u16_e32 0x80, v26
	s_cbranch_execz .LBB6_4723
; %bb.4720:                             ;   in Loop: Header=BB6_3974 Depth=2
	v_and_b32_e32 v26, 0x7f, v34
	v_mov_b32_e32 v3, 0x7f800001
	s_mov_b32 s27, exec_lo
	s_delay_alu instid0(VALU_DEP_2)
	v_cmpx_ne_u32_e32 0x7f, v26
	s_cbranch_execz .LBB6_4722
; %bb.4721:                             ;   in Loop: Header=BB6_3974 Depth=2
	v_cmp_gt_u32_e32 vcc_lo, 8, v26
	v_and_b32_e32 v3, 7, v34
	s_delay_alu instid0(VALU_DEP_1) | instskip(NEXT) | instid1(VALU_DEP_1)
	v_clz_i32_u32_e32 v3, v3
	v_min_u32_e32 v3, 32, v3
	v_lshrrev_b32_e32 v27, 3, v26
	s_delay_alu instid0(VALU_DEP_2) | instskip(SKIP_1) | instid1(VALU_DEP_2)
	v_subrev_nc_u32_e32 v31, 28, v3
	v_sub_nc_u32_e32 v3, 29, v3
	v_cndmask_b32_e32 v26, 0, v31, vcc_lo
	s_delay_alu instid0(VALU_DEP_2) | instskip(NEXT) | instid1(VALU_DEP_2)
	v_cndmask_b32_e32 v3, v27, v3, vcc_lo
	v_lshlrev_b64_e32 v[26:27], v26, v[34:35]
	v_lshlrev_b32_e32 v27, 24, v34
	s_delay_alu instid0(VALU_DEP_3) | instskip(NEXT) | instid1(VALU_DEP_2)
	v_lshl_add_u32 v3, v3, 23, 0x3c000000
	v_and_b32_e32 v27, 0x80000000, v27
	s_delay_alu instid0(VALU_DEP_4) | instskip(NEXT) | instid1(VALU_DEP_1)
	v_lshlrev_b32_e32 v26, 20, v26
	v_and_b32_e32 v26, 0x700000, v26
	s_delay_alu instid0(VALU_DEP_1)
	v_or3_b32 v3, v26, v27, v3
.LBB6_4722:                             ;   in Loop: Header=BB6_3974 Depth=2
	s_or_b32 exec_lo, exec_lo, s27
.LBB6_4723:                             ;   in Loop: Header=BB6_3974 Depth=2
	s_delay_alu instid0(SALU_CYCLE_1)
	s_or_b32 exec_lo, exec_lo, s26
.LBB6_4724:                             ;   in Loop: Header=BB6_3974 Depth=2
	s_delay_alu instid0(SALU_CYCLE_1) | instskip(SKIP_2) | instid1(VALU_DEP_1)
	s_or_b32 exec_lo, exec_lo, s7
	v_and_b32_e32 v26, 0xff, v28
	s_mov_b32 s7, exec_lo
	v_cmpx_ne_u16_e32 0, v26
	s_cbranch_execz .LBB6_4730
; %bb.4725:                             ;   in Loop: Header=BB6_3974 Depth=2
	v_bfrev_b32_e32 v2, 1
	s_mov_b32 s26, exec_lo
	v_cmpx_ne_u16_e32 0x80, v26
	s_cbranch_execz .LBB6_4729
; %bb.4726:                             ;   in Loop: Header=BB6_3974 Depth=2
	v_and_b32_e32 v26, 0x7f, v28
	v_mov_b32_e32 v2, 0x7f800001
	s_mov_b32 s27, exec_lo
	s_delay_alu instid0(VALU_DEP_2)
	v_cmpx_ne_u32_e32 0x7f, v26
	s_cbranch_execz .LBB6_4728
; %bb.4727:                             ;   in Loop: Header=BB6_3974 Depth=2
	v_dual_lshrrev_b32 v27, 3, v26 :: v_dual_bitop2_b32 v2, 7, v28 bitop3:0x40
	v_cmp_gt_u32_e32 vcc_lo, 8, v26
	s_delay_alu instid0(VALU_DEP_2) | instskip(NEXT) | instid1(VALU_DEP_1)
	v_clz_i32_u32_e32 v2, v2
	v_min_u32_e32 v2, 32, v2
	s_delay_alu instid0(VALU_DEP_1) | instskip(NEXT) | instid1(VALU_DEP_1)
	v_subrev_nc_u32_e32 v31, 28, v2
	v_dual_sub_nc_u32 v2, 29, v2 :: v_dual_cndmask_b32 v26, 0, v31, vcc_lo
	s_delay_alu instid0(VALU_DEP_1) | instskip(NEXT) | instid1(VALU_DEP_2)
	v_cndmask_b32_e32 v2, v27, v2, vcc_lo
	v_lshlrev_b64_e32 v[26:27], v26, v[28:29]
	v_lshlrev_b32_e32 v27, 24, v28
	s_delay_alu instid0(VALU_DEP_3) | instskip(NEXT) | instid1(VALU_DEP_2)
	v_lshl_add_u32 v2, v2, 23, 0x3c000000
	v_and_b32_e32 v27, 0x80000000, v27
	s_delay_alu instid0(VALU_DEP_4) | instskip(NEXT) | instid1(VALU_DEP_1)
	v_lshlrev_b32_e32 v26, 20, v26
	v_and_b32_e32 v26, 0x700000, v26
	s_delay_alu instid0(VALU_DEP_1)
	v_or3_b32 v2, v26, v27, v2
.LBB6_4728:                             ;   in Loop: Header=BB6_3974 Depth=2
	s_or_b32 exec_lo, exec_lo, s27
.LBB6_4729:                             ;   in Loop: Header=BB6_3974 Depth=2
	s_delay_alu instid0(SALU_CYCLE_1)
	s_or_b32 exec_lo, exec_lo, s26
.LBB6_4730:                             ;   in Loop: Header=BB6_3974 Depth=2
	s_delay_alu instid0(SALU_CYCLE_1) | instskip(NEXT) | instid1(VALU_DEP_1)
	s_or_b32 exec_lo, exec_lo, s7
	v_mul_f32_e32 v3, v3, v2
                                        ; implicit-def: $vgpr38
	s_mov_b32 s7, exec_lo
	s_delay_alu instid0(VALU_DEP_1) | instskip(SKIP_1) | instid1(VALU_DEP_2)
	v_and_b32_e32 v86, 0x7f800000, v3
	v_lshrrev_b32_e32 v2, 24, v3
	v_cmpx_ne_u64_e32 0x7f800000, v[86:87]
	s_xor_b32 s26, exec_lo, s7
	s_cbranch_execz .LBB6_4744
; %bb.4731:                             ;   in Loop: Header=BB6_3974 Depth=2
	v_and_b32_e32 v86, 0x7fffffff, v3
	v_and_b32_e32 v2, 0x80, v2
                                        ; implicit-def: $vgpr38
	s_mov_b32 s7, exec_lo
	s_delay_alu instid0(VALU_DEP_2)
	v_cmpx_gt_u64_e32 0x43e00001, v[86:87]
	s_xor_b32 s27, exec_lo, s7
	s_cbranch_execz .LBB6_4741
; %bb.4732:                             ;   in Loop: Header=BB6_3974 Depth=2
	v_mov_b32_e32 v38, 0
	s_mov_b32 s28, exec_lo
	v_cmpx_ne_u32_e32 0, v3
	s_cbranch_execz .LBB6_4740
; %bb.4733:                             ;   in Loop: Header=BB6_3974 Depth=2
	v_bfe_u32 v31, v3, 23, 8
	v_and_b32_e32 v3, 0x7fffff, v3
	s_delay_alu instid0(VALU_DEP_2) | instskip(SKIP_1) | instid1(VALU_DEP_3)
	v_sub_nc_u32_e32 v26, 0x79, v31
	v_cmp_gt_u32_e32 vcc_lo, 0x7a, v31
	v_or_b32_e32 v32, 0x800000, v3
	s_delay_alu instid0(VALU_DEP_3) | instskip(SKIP_1) | instid1(VALU_DEP_3)
	v_cndmask_b32_e32 v26, 0, v26, vcc_lo
	v_cmp_eq_u32_e32 vcc_lo, 0, v31
	v_cndmask_b32_e32 v86, v32, v3, vcc_lo
	s_delay_alu instid0(VALU_DEP_3) | instskip(NEXT) | instid1(VALU_DEP_1)
	v_cndmask_b32_e64 v38, v26, 0x78, vcc_lo
	v_dual_add_nc_u32 v26, 20, v38 :: v_dual_add_nc_u32 v33, 19, v38
	s_delay_alu instid0(VALU_DEP_1) | instskip(NEXT) | instid1(VALU_DEP_2)
	v_lshlrev_b64_e64 v[26:27], v26, -1
	v_lshlrev_b64_e64 v[32:33], v33, 1
	s_delay_alu instid0(VALU_DEP_2) | instskip(NEXT) | instid1(VALU_DEP_3)
	v_bfi_b32 v55, v27, 0, 0
	v_bfi_b32 v54, v26, 0, v86
	v_lshrrev_b64 v[26:27], v38, v[86:87]
	s_delay_alu instid0(VALU_DEP_2) | instskip(NEXT) | instid1(VALU_DEP_2)
	v_cmp_eq_u64_e64 s7, v[54:55], v[32:33]
	v_mov_b64_e32 v[32:33], v[26:27]
	s_and_saveexec_b32 s29, s7
; %bb.4734:                             ;   in Loop: Header=BB6_3974 Depth=2
	v_bfe_u32 v86, v26, 20, 1
	s_delay_alu instid0(VALU_DEP_1) | instskip(NEXT) | instid1(VALU_DEP_1)
	v_add_nc_u64_e32 v[32:33], v[26:27], v[86:87]
	v_add_nc_u64_e32 v[32:33], -1, v[32:33]
; %bb.4735:                             ;   in Loop: Header=BB6_3974 Depth=2
	s_or_b32 exec_lo, exec_lo, s29
	v_add_nc_u32_e32 v3, 0xffffff81, v31
	v_lshrrev_b32_e32 v27, 23, v26
	s_mov_b32 s7, exec_lo
	s_delay_alu instid0(VALU_DEP_2) | instskip(NEXT) | instid1(VALU_DEP_1)
	v_cndmask_b32_e64 v3, v3, 0xffffff82, vcc_lo
	v_add3_u32 v31, v38, v3, v27
	v_and_b32_e32 v3, 0xfffff, v32
	s_delay_alu instid0(VALU_DEP_1) | instskip(NEXT) | instid1(VALU_DEP_1)
	v_dual_add_nc_u32 v32, 6, v31 :: v_dual_add_nc_u32 v86, v3, v26
                                        ; implicit-def: $vgpr26_vgpr27
                                        ; implicit-def: $vgpr3
	v_cmpx_ne_u32_e32 0, v32
	s_xor_b32 s7, exec_lo, s7
; %bb.4736:                             ;   in Loop: Header=BB6_3974 Depth=2
	s_delay_alu instid0(VALU_DEP_2) | instskip(SKIP_2) | instid1(VALU_DEP_2)
	v_cmp_lt_u64_e32 vcc_lo, 0xffffff, v[86:87]
	v_add_nc_u32_e32 v3, 7, v31
	v_cndmask_b32_e64 v26, 0, 1, vcc_lo
	v_cndmask_b32_e32 v3, v32, v3, vcc_lo
	s_delay_alu instid0(VALU_DEP_2)
	v_lshrrev_b64 v[26:27], v26, v[86:87]
; %bb.4737:                             ;   in Loop: Header=BB6_3974 Depth=2
	s_and_not1_saveexec_b32 s7, s7
; %bb.4738:                             ;   in Loop: Header=BB6_3974 Depth=2
	v_mov_b64_e32 v[26:27], v[86:87]
	v_bfe_u32 v3, v86, 23, 1
; %bb.4739:                             ;   in Loop: Header=BB6_3974 Depth=2
	s_or_b32 exec_lo, exec_lo, s7
	s_delay_alu instid0(VALU_DEP_2) | instskip(NEXT) | instid1(VALU_DEP_2)
	v_lshrrev_b64 v[26:27], 20, v[26:27]
	v_cmp_gt_i32_e32 vcc_lo, 16, v3
	v_min_i32_e32 v31, 15, v3
	v_cmp_eq_u32_e64 s7, 0, v3
	s_delay_alu instid0(VALU_DEP_2) | instskip(SKIP_1) | instid1(VALU_DEP_2)
	v_dual_cndmask_b32 v26, 7, v26 :: v_dual_lshlrev_b32 v31, 3, v31
	v_cndmask_b32_e32 v27, 0, v27, vcc_lo
	v_and_b32_e32 v31, 0xf8, v31
	s_delay_alu instid0(VALU_DEP_2) | instskip(NEXT) | instid1(VALU_DEP_2)
	v_cmp_eq_u64_e32 vcc_lo, 0, v[26:27]
	v_and_or_b32 v3, v26, 7, v31
	s_and_b32 s7, s7, vcc_lo
	s_delay_alu instid0(VALU_DEP_1) | instid1(SALU_CYCLE_1)
	v_cndmask_b32_e64 v3, v3, 0, s7
	s_delay_alu instid0(VALU_DEP_1)
	v_or_b32_e32 v38, v3, v2
.LBB6_4740:                             ;   in Loop: Header=BB6_3974 Depth=2
	s_or_b32 exec_lo, exec_lo, s28
                                        ; implicit-def: $vgpr2
.LBB6_4741:                             ;   in Loop: Header=BB6_3974 Depth=2
	s_and_not1_saveexec_b32 s7, s27
; %bb.4742:                             ;   in Loop: Header=BB6_3974 Depth=2
	v_or_b32_e32 v38, 0x7e, v2
; %bb.4743:                             ;   in Loop: Header=BB6_3974 Depth=2
	s_or_b32 exec_lo, exec_lo, s7
                                        ; implicit-def: $vgpr2
.LBB6_4744:                             ;   in Loop: Header=BB6_3974 Depth=2
	s_and_not1_saveexec_b32 s7, s26
; %bb.4745:                             ;   in Loop: Header=BB6_3974 Depth=2
	v_or_b32_e32 v38, 0x7f, v2
; %bb.4746:                             ;   in Loop: Header=BB6_3974 Depth=2
	s_or_b32 exec_lo, exec_lo, s7
	v_lshrrev_b16 v26, 8, v34
	v_dual_mov_b32 v2, 0 :: v_dual_mov_b32 v3, 0
	s_mov_b32 s7, exec_lo
	s_delay_alu instid0(VALU_DEP_2)
	v_cmpx_ne_u16_e32 0, v26
	s_cbranch_execz .LBB6_4754
; %bb.4747:                             ;   in Loop: Header=BB6_3974 Depth=2
	v_bfrev_b32_e32 v3, 1
	s_mov_b32 s26, exec_lo
	v_cmpx_ne_u16_e32 0x80, v26
	s_cbranch_execz .LBB6_4753
; %bb.4748:                             ;   in Loop: Header=BB6_3974 Depth=2
	v_and_b32_e32 v27, 0xffff, v26
	v_mov_b32_e32 v3, 0x7f800001
	s_mov_b32 s27, exec_lo
	s_delay_alu instid0(VALU_DEP_2) | instskip(NEXT) | instid1(VALU_DEP_1)
	v_and_b32_e32 v26, 0x7f, v27
	v_cmpx_ne_u32_e32 0x7f, v26
	s_cbranch_execz .LBB6_4752
; %bb.4749:                             ;   in Loop: Header=BB6_3974 Depth=2
	v_dual_lshrrev_b32 v3, 3, v26 :: v_dual_bitop2_b32 v86, 7, v27 bitop3:0x40
	s_mov_b32 s28, exec_lo
	v_cmpx_gt_u32_e32 8, v26
; %bb.4750:                             ;   in Loop: Header=BB6_3974 Depth=2
	s_delay_alu instid0(VALU_DEP_2) | instskip(NEXT) | instid1(VALU_DEP_1)
	v_clz_i32_u32_e32 v3, v86
	v_min_u32_e32 v3, 32, v3
	s_delay_alu instid0(VALU_DEP_1) | instskip(NEXT) | instid1(VALU_DEP_1)
	v_subrev_nc_u32_e32 v26, 28, v3
	v_lshlrev_b64_e32 v[26:27], v26, v[86:87]
	s_delay_alu instid0(VALU_DEP_1)
	v_dual_sub_nc_u32 v3, 29, v3 :: v_dual_bitop2_b32 v86, 7, v26 bitop3:0x40
; %bb.4751:                             ;   in Loop: Header=BB6_3974 Depth=2
	s_or_b32 exec_lo, exec_lo, s28
	v_lshlrev_b32_e32 v26, 16, v34
	s_delay_alu instid0(VALU_DEP_2) | instskip(NEXT) | instid1(VALU_DEP_3)
	v_lshlrev_b32_e32 v27, 20, v86
	v_lshl_add_u32 v3, v3, 23, 0x3c000000
	s_delay_alu instid0(VALU_DEP_3) | instskip(NEXT) | instid1(VALU_DEP_1)
	v_and_b32_e32 v26, 0x80000000, v26
	v_or3_b32 v3, v27, v26, v3
.LBB6_4752:                             ;   in Loop: Header=BB6_3974 Depth=2
	s_or_b32 exec_lo, exec_lo, s27
.LBB6_4753:                             ;   in Loop: Header=BB6_3974 Depth=2
	s_delay_alu instid0(SALU_CYCLE_1)
	s_or_b32 exec_lo, exec_lo, s26
.LBB6_4754:                             ;   in Loop: Header=BB6_3974 Depth=2
	s_delay_alu instid0(SALU_CYCLE_1) | instskip(SKIP_2) | instid1(VALU_DEP_1)
	s_or_b32 exec_lo, exec_lo, s7
	v_lshrrev_b16 v26, 8, v28
	s_mov_b32 s7, exec_lo
	v_cmpx_ne_u16_e32 0, v26
	s_cbranch_execz .LBB6_4762
; %bb.4755:                             ;   in Loop: Header=BB6_3974 Depth=2
	v_bfrev_b32_e32 v2, 1
	s_mov_b32 s26, exec_lo
	v_cmpx_ne_u16_e32 0x80, v26
	s_cbranch_execz .LBB6_4761
; %bb.4756:                             ;   in Loop: Header=BB6_3974 Depth=2
	v_and_b32_e32 v27, 0xffff, v26
	v_mov_b32_e32 v2, 0x7f800001
	s_mov_b32 s27, exec_lo
	s_delay_alu instid0(VALU_DEP_2) | instskip(NEXT) | instid1(VALU_DEP_1)
	v_and_b32_e32 v26, 0x7f, v27
	v_cmpx_ne_u32_e32 0x7f, v26
	s_cbranch_execz .LBB6_4760
; %bb.4757:                             ;   in Loop: Header=BB6_3974 Depth=2
	v_dual_lshrrev_b32 v2, 3, v26 :: v_dual_bitop2_b32 v86, 7, v27 bitop3:0x40
	s_mov_b32 s28, exec_lo
	v_cmpx_gt_u32_e32 8, v26
; %bb.4758:                             ;   in Loop: Header=BB6_3974 Depth=2
	s_delay_alu instid0(VALU_DEP_2) | instskip(NEXT) | instid1(VALU_DEP_1)
	v_clz_i32_u32_e32 v2, v86
	v_min_u32_e32 v2, 32, v2
	s_delay_alu instid0(VALU_DEP_1) | instskip(SKIP_1) | instid1(VALU_DEP_2)
	v_subrev_nc_u32_e32 v26, 28, v2
	v_sub_nc_u32_e32 v2, 29, v2
	v_lshlrev_b64_e32 v[26:27], v26, v[86:87]
	s_delay_alu instid0(VALU_DEP_1)
	v_and_b32_e32 v86, 7, v26
; %bb.4759:                             ;   in Loop: Header=BB6_3974 Depth=2
	s_or_b32 exec_lo, exec_lo, s28
	s_delay_alu instid0(VALU_DEP_1) | instskip(SKIP_1) | instid1(VALU_DEP_2)
	v_dual_lshlrev_b32 v26, 16, v28 :: v_dual_lshlrev_b32 v27, 20, v86
	v_lshl_add_u32 v2, v2, 23, 0x3c000000
	v_and_b32_e32 v26, 0x80000000, v26
	s_delay_alu instid0(VALU_DEP_1)
	v_or3_b32 v2, v27, v26, v2
.LBB6_4760:                             ;   in Loop: Header=BB6_3974 Depth=2
	s_or_b32 exec_lo, exec_lo, s27
.LBB6_4761:                             ;   in Loop: Header=BB6_3974 Depth=2
	s_delay_alu instid0(SALU_CYCLE_1)
	s_or_b32 exec_lo, exec_lo, s26
.LBB6_4762:                             ;   in Loop: Header=BB6_3974 Depth=2
	s_delay_alu instid0(SALU_CYCLE_1) | instskip(NEXT) | instid1(VALU_DEP_1)
	s_or_b32 exec_lo, exec_lo, s7
	v_mul_f32_e32 v3, v3, v2
                                        ; implicit-def: $vgpr39
	s_mov_b32 s7, exec_lo
	s_delay_alu instid0(VALU_DEP_1) | instskip(SKIP_1) | instid1(VALU_DEP_2)
	v_and_b32_e32 v86, 0x7f800000, v3
	v_lshrrev_b32_e32 v2, 24, v3
	v_cmpx_ne_u64_e32 0x7f800000, v[86:87]
	s_xor_b32 s26, exec_lo, s7
	s_cbranch_execz .LBB6_4776
; %bb.4763:                             ;   in Loop: Header=BB6_3974 Depth=2
	v_and_b32_e32 v86, 0x7fffffff, v3
	v_and_b32_e32 v2, 0x80, v2
                                        ; implicit-def: $vgpr39
	s_mov_b32 s7, exec_lo
	s_delay_alu instid0(VALU_DEP_2)
	v_cmpx_gt_u64_e32 0x43e00001, v[86:87]
	s_xor_b32 s27, exec_lo, s7
	s_cbranch_execz .LBB6_4773
; %bb.4764:                             ;   in Loop: Header=BB6_3974 Depth=2
	v_mov_b32_e32 v39, 0
	s_mov_b32 s28, exec_lo
	v_cmpx_ne_u32_e32 0, v3
	s_cbranch_execz .LBB6_4772
; %bb.4765:                             ;   in Loop: Header=BB6_3974 Depth=2
	v_bfe_u32 v31, v3, 23, 8
	v_and_b32_e32 v3, 0x7fffff, v3
	s_delay_alu instid0(VALU_DEP_2) | instskip(SKIP_1) | instid1(VALU_DEP_3)
	v_sub_nc_u32_e32 v26, 0x79, v31
	v_cmp_gt_u32_e32 vcc_lo, 0x7a, v31
	v_or_b32_e32 v32, 0x800000, v3
	s_delay_alu instid0(VALU_DEP_3) | instskip(SKIP_1) | instid1(VALU_DEP_2)
	v_cndmask_b32_e32 v26, 0, v26, vcc_lo
	v_cmp_eq_u32_e32 vcc_lo, 0, v31
	v_cndmask_b32_e64 v39, v26, 0x78, vcc_lo
	s_delay_alu instid0(VALU_DEP_4) | instskip(NEXT) | instid1(VALU_DEP_2)
	v_cndmask_b32_e32 v86, v32, v3, vcc_lo
	v_dual_add_nc_u32 v26, 20, v39 :: v_dual_add_nc_u32 v33, 19, v39
	s_delay_alu instid0(VALU_DEP_1) | instskip(NEXT) | instid1(VALU_DEP_2)
	v_lshlrev_b64_e64 v[26:27], v26, -1
	v_lshlrev_b64_e64 v[32:33], v33, 1
	s_delay_alu instid0(VALU_DEP_2) | instskip(NEXT) | instid1(VALU_DEP_3)
	v_bfi_b32 v55, v27, 0, 0
	v_bfi_b32 v54, v26, 0, v86
	v_lshrrev_b64 v[26:27], v39, v[86:87]
	s_delay_alu instid0(VALU_DEP_2) | instskip(NEXT) | instid1(VALU_DEP_2)
	v_cmp_eq_u64_e64 s7, v[54:55], v[32:33]
	v_mov_b64_e32 v[32:33], v[26:27]
	s_and_saveexec_b32 s29, s7
; %bb.4766:                             ;   in Loop: Header=BB6_3974 Depth=2
	v_bfe_u32 v86, v26, 20, 1
	s_delay_alu instid0(VALU_DEP_1) | instskip(NEXT) | instid1(VALU_DEP_1)
	v_add_nc_u64_e32 v[32:33], v[26:27], v[86:87]
	v_add_nc_u64_e32 v[32:33], -1, v[32:33]
; %bb.4767:                             ;   in Loop: Header=BB6_3974 Depth=2
	s_or_b32 exec_lo, exec_lo, s29
	v_add_nc_u32_e32 v3, 0xffffff81, v31
	v_lshrrev_b32_e32 v27, 23, v26
	s_mov_b32 s7, exec_lo
	s_delay_alu instid0(VALU_DEP_2) | instskip(NEXT) | instid1(VALU_DEP_1)
	v_cndmask_b32_e64 v3, v3, 0xffffff82, vcc_lo
	v_add3_u32 v31, v39, v3, v27
	v_and_b32_e32 v3, 0xfffff, v32
	s_delay_alu instid0(VALU_DEP_1) | instskip(NEXT) | instid1(VALU_DEP_1)
	v_dual_add_nc_u32 v32, 6, v31 :: v_dual_add_nc_u32 v86, v3, v26
                                        ; implicit-def: $vgpr26_vgpr27
                                        ; implicit-def: $vgpr3
	v_cmpx_ne_u32_e32 0, v32
	s_xor_b32 s7, exec_lo, s7
; %bb.4768:                             ;   in Loop: Header=BB6_3974 Depth=2
	s_delay_alu instid0(VALU_DEP_2) | instskip(SKIP_2) | instid1(VALU_DEP_2)
	v_cmp_lt_u64_e32 vcc_lo, 0xffffff, v[86:87]
	v_add_nc_u32_e32 v3, 7, v31
	v_cndmask_b32_e64 v26, 0, 1, vcc_lo
	v_cndmask_b32_e32 v3, v32, v3, vcc_lo
	s_delay_alu instid0(VALU_DEP_2)
	v_lshrrev_b64 v[26:27], v26, v[86:87]
; %bb.4769:                             ;   in Loop: Header=BB6_3974 Depth=2
	s_and_not1_saveexec_b32 s7, s7
; %bb.4770:                             ;   in Loop: Header=BB6_3974 Depth=2
	v_mov_b64_e32 v[26:27], v[86:87]
	v_bfe_u32 v3, v86, 23, 1
; %bb.4771:                             ;   in Loop: Header=BB6_3974 Depth=2
	s_or_b32 exec_lo, exec_lo, s7
	s_delay_alu instid0(VALU_DEP_2) | instskip(NEXT) | instid1(VALU_DEP_2)
	v_lshrrev_b64 v[26:27], 20, v[26:27]
	v_cmp_gt_i32_e32 vcc_lo, 16, v3
	v_min_i32_e32 v31, 15, v3
	v_cmp_eq_u32_e64 s7, 0, v3
	s_delay_alu instid0(VALU_DEP_2) | instskip(SKIP_1) | instid1(VALU_DEP_2)
	v_dual_cndmask_b32 v26, 7, v26 :: v_dual_lshlrev_b32 v31, 3, v31
	v_cndmask_b32_e32 v27, 0, v27, vcc_lo
	v_and_b32_e32 v31, 0xf8, v31
	s_delay_alu instid0(VALU_DEP_2) | instskip(NEXT) | instid1(VALU_DEP_2)
	v_cmp_eq_u64_e32 vcc_lo, 0, v[26:27]
	v_and_or_b32 v3, v26, 7, v31
	s_and_b32 s7, s7, vcc_lo
	s_delay_alu instid0(VALU_DEP_1) | instid1(SALU_CYCLE_1)
	v_cndmask_b32_e64 v3, v3, 0, s7
	s_delay_alu instid0(VALU_DEP_1)
	v_or_b32_e32 v39, v3, v2
.LBB6_4772:                             ;   in Loop: Header=BB6_3974 Depth=2
	s_or_b32 exec_lo, exec_lo, s28
                                        ; implicit-def: $vgpr2
.LBB6_4773:                             ;   in Loop: Header=BB6_3974 Depth=2
	s_and_not1_saveexec_b32 s7, s27
; %bb.4774:                             ;   in Loop: Header=BB6_3974 Depth=2
	v_or_b32_e32 v39, 0x7e, v2
; %bb.4775:                             ;   in Loop: Header=BB6_3974 Depth=2
	s_or_b32 exec_lo, exec_lo, s7
                                        ; implicit-def: $vgpr2
.LBB6_4776:                             ;   in Loop: Header=BB6_3974 Depth=2
	s_and_not1_saveexec_b32 s7, s26
; %bb.4777:                             ;   in Loop: Header=BB6_3974 Depth=2
	v_or_b32_e32 v39, 0x7f, v2
; %bb.4778:                             ;   in Loop: Header=BB6_3974 Depth=2
	s_or_b32 exec_lo, exec_lo, s7
	v_dual_lshrrev_b32 v26, 16, v34 :: v_dual_mov_b32 v2, 0
	v_mov_b32_e32 v3, 0
	s_mov_b32 s7, exec_lo
	s_delay_alu instid0(VALU_DEP_2) | instskip(NEXT) | instid1(VALU_DEP_1)
	v_and_b32_e32 v27, 0xff, v26
	v_cmpx_ne_u16_e32 0, v27
	s_cbranch_execz .LBB6_4786
; %bb.4779:                             ;   in Loop: Header=BB6_3974 Depth=2
	v_bfrev_b32_e32 v3, 1
	s_mov_b32 s26, exec_lo
	v_cmpx_ne_u16_e32 0x80, v27
	s_cbranch_execz .LBB6_4785
; %bb.4780:                             ;   in Loop: Header=BB6_3974 Depth=2
	v_bfe_u32 v27, v34, 16, 7
	v_mov_b32_e32 v3, 0x7f800001
	s_mov_b32 s27, exec_lo
	s_delay_alu instid0(VALU_DEP_2)
	v_cmpx_ne_u32_e32 0x7f, v27
	s_cbranch_execz .LBB6_4784
; %bb.4781:                             ;   in Loop: Header=BB6_3974 Depth=2
	v_dual_lshrrev_b32 v3, 3, v27 :: v_dual_bitop2_b32 v86, 7, v26 bitop3:0x40
	s_mov_b32 s28, exec_lo
	v_cmpx_gt_u32_e32 8, v27
; %bb.4782:                             ;   in Loop: Header=BB6_3974 Depth=2
	s_delay_alu instid0(VALU_DEP_2) | instskip(NEXT) | instid1(VALU_DEP_1)
	v_clz_i32_u32_e32 v3, v86
	v_min_u32_e32 v3, 32, v3
	s_delay_alu instid0(VALU_DEP_1) | instskip(NEXT) | instid1(VALU_DEP_1)
	v_subrev_nc_u32_e32 v27, 28, v3
	v_lshlrev_b64_e32 v[32:33], v27, v[86:87]
	s_delay_alu instid0(VALU_DEP_1)
	v_dual_sub_nc_u32 v3, 29, v3 :: v_dual_bitop2_b32 v86, 7, v32 bitop3:0x40
; %bb.4783:                             ;   in Loop: Header=BB6_3974 Depth=2
	s_or_b32 exec_lo, exec_lo, s28
	v_lshlrev_b32_e32 v26, 24, v26
	s_delay_alu instid0(VALU_DEP_2) | instskip(NEXT) | instid1(VALU_DEP_3)
	v_lshlrev_b32_e32 v27, 20, v86
	v_lshl_add_u32 v3, v3, 23, 0x3c000000
	s_delay_alu instid0(VALU_DEP_3) | instskip(NEXT) | instid1(VALU_DEP_1)
	v_and_b32_e32 v26, 0x80000000, v26
	v_or3_b32 v3, v27, v26, v3
.LBB6_4784:                             ;   in Loop: Header=BB6_3974 Depth=2
	s_or_b32 exec_lo, exec_lo, s27
.LBB6_4785:                             ;   in Loop: Header=BB6_3974 Depth=2
	s_delay_alu instid0(SALU_CYCLE_1)
	s_or_b32 exec_lo, exec_lo, s26
.LBB6_4786:                             ;   in Loop: Header=BB6_3974 Depth=2
	s_delay_alu instid0(SALU_CYCLE_1) | instskip(SKIP_2) | instid1(VALU_DEP_1)
	s_or_b32 exec_lo, exec_lo, s7
	v_lshrrev_b32_e32 v26, 16, v28
	s_mov_b32 s7, exec_lo
	v_and_b32_e32 v27, 0xff, v26
	s_delay_alu instid0(VALU_DEP_1)
	v_cmpx_ne_u16_e32 0, v27
	s_cbranch_execz .LBB6_4794
; %bb.4787:                             ;   in Loop: Header=BB6_3974 Depth=2
	v_bfrev_b32_e32 v2, 1
	s_mov_b32 s26, exec_lo
	v_cmpx_ne_u16_e32 0x80, v27
	s_cbranch_execz .LBB6_4793
; %bb.4788:                             ;   in Loop: Header=BB6_3974 Depth=2
	v_bfe_u32 v27, v28, 16, 7
	v_mov_b32_e32 v2, 0x7f800001
	s_mov_b32 s27, exec_lo
	s_delay_alu instid0(VALU_DEP_2)
	v_cmpx_ne_u32_e32 0x7f, v27
	s_cbranch_execz .LBB6_4792
; %bb.4789:                             ;   in Loop: Header=BB6_3974 Depth=2
	v_dual_lshrrev_b32 v2, 3, v27 :: v_dual_bitop2_b32 v86, 7, v26 bitop3:0x40
	s_mov_b32 s28, exec_lo
	v_cmpx_gt_u32_e32 8, v27
; %bb.4790:                             ;   in Loop: Header=BB6_3974 Depth=2
	s_delay_alu instid0(VALU_DEP_2) | instskip(NEXT) | instid1(VALU_DEP_1)
	v_clz_i32_u32_e32 v2, v86
	v_min_u32_e32 v2, 32, v2
	s_delay_alu instid0(VALU_DEP_1) | instskip(SKIP_1) | instid1(VALU_DEP_2)
	v_subrev_nc_u32_e32 v26, 28, v2
	v_sub_nc_u32_e32 v2, 29, v2
	v_lshlrev_b64_e32 v[26:27], v26, v[86:87]
	s_delay_alu instid0(VALU_DEP_1)
	v_and_b32_e32 v86, 7, v26
; %bb.4791:                             ;   in Loop: Header=BB6_3974 Depth=2
	s_or_b32 exec_lo, exec_lo, s28
	s_delay_alu instid0(VALU_DEP_1) | instskip(SKIP_1) | instid1(VALU_DEP_2)
	v_dual_lshlrev_b32 v26, 8, v28 :: v_dual_lshlrev_b32 v27, 20, v86
	v_lshl_add_u32 v2, v2, 23, 0x3c000000
	v_and_b32_e32 v26, 0x80000000, v26
	s_delay_alu instid0(VALU_DEP_1)
	v_or3_b32 v2, v27, v26, v2
.LBB6_4792:                             ;   in Loop: Header=BB6_3974 Depth=2
	s_or_b32 exec_lo, exec_lo, s27
.LBB6_4793:                             ;   in Loop: Header=BB6_3974 Depth=2
	s_delay_alu instid0(SALU_CYCLE_1)
	s_or_b32 exec_lo, exec_lo, s26
.LBB6_4794:                             ;   in Loop: Header=BB6_3974 Depth=2
	s_delay_alu instid0(SALU_CYCLE_1) | instskip(NEXT) | instid1(VALU_DEP_1)
	s_or_b32 exec_lo, exec_lo, s7
	v_mul_f32_e32 v3, v3, v2
                                        ; implicit-def: $vgpr105
	s_mov_b32 s7, exec_lo
	s_delay_alu instid0(VALU_DEP_1) | instskip(SKIP_1) | instid1(VALU_DEP_2)
	v_and_b32_e32 v86, 0x7f800000, v3
	v_lshrrev_b32_e32 v2, 24, v3
	v_cmpx_ne_u64_e32 0x7f800000, v[86:87]
	s_xor_b32 s26, exec_lo, s7
	s_cbranch_execz .LBB6_4808
; %bb.4795:                             ;   in Loop: Header=BB6_3974 Depth=2
	v_and_b32_e32 v86, 0x7fffffff, v3
	v_and_b32_e32 v2, 0x80, v2
                                        ; implicit-def: $vgpr105
	s_mov_b32 s7, exec_lo
	s_delay_alu instid0(VALU_DEP_2)
	v_cmpx_gt_u64_e32 0x43e00001, v[86:87]
	s_xor_b32 s27, exec_lo, s7
	s_cbranch_execz .LBB6_4805
; %bb.4796:                             ;   in Loop: Header=BB6_3974 Depth=2
	v_mov_b32_e32 v105, 0
	s_mov_b32 s28, exec_lo
	v_cmpx_ne_u32_e32 0, v3
	s_cbranch_execz .LBB6_4804
; %bb.4797:                             ;   in Loop: Header=BB6_3974 Depth=2
	v_bfe_u32 v31, v3, 23, 8
	v_and_b32_e32 v3, 0x7fffff, v3
	s_delay_alu instid0(VALU_DEP_2) | instskip(SKIP_1) | instid1(VALU_DEP_3)
	v_sub_nc_u32_e32 v26, 0x79, v31
	v_cmp_gt_u32_e32 vcc_lo, 0x7a, v31
	v_or_b32_e32 v32, 0x800000, v3
	s_delay_alu instid0(VALU_DEP_3) | instskip(SKIP_1) | instid1(VALU_DEP_3)
	v_cndmask_b32_e32 v26, 0, v26, vcc_lo
	v_cmp_eq_u32_e32 vcc_lo, 0, v31
	v_cndmask_b32_e32 v86, v32, v3, vcc_lo
	s_delay_alu instid0(VALU_DEP_3) | instskip(NEXT) | instid1(VALU_DEP_1)
	v_cndmask_b32_e64 v54, v26, 0x78, vcc_lo
	v_dual_add_nc_u32 v26, 20, v54 :: v_dual_add_nc_u32 v33, 19, v54
	s_delay_alu instid0(VALU_DEP_1) | instskip(NEXT) | instid1(VALU_DEP_2)
	v_lshlrev_b64_e64 v[26:27], v26, -1
	v_lshlrev_b64_e64 v[32:33], v33, 1
	s_delay_alu instid0(VALU_DEP_2) | instskip(NEXT) | instid1(VALU_DEP_3)
	v_bfi_b32 v103, v27, 0, 0
	v_bfi_b32 v102, v26, 0, v86
	v_lshrrev_b64 v[26:27], v54, v[86:87]
	s_delay_alu instid0(VALU_DEP_2) | instskip(NEXT) | instid1(VALU_DEP_2)
	v_cmp_eq_u64_e64 s7, v[102:103], v[32:33]
	v_mov_b64_e32 v[32:33], v[26:27]
	s_and_saveexec_b32 s29, s7
; %bb.4798:                             ;   in Loop: Header=BB6_3974 Depth=2
	v_bfe_u32 v86, v26, 20, 1
	s_delay_alu instid0(VALU_DEP_1) | instskip(NEXT) | instid1(VALU_DEP_1)
	v_add_nc_u64_e32 v[32:33], v[26:27], v[86:87]
	v_add_nc_u64_e32 v[32:33], -1, v[32:33]
; %bb.4799:                             ;   in Loop: Header=BB6_3974 Depth=2
	s_or_b32 exec_lo, exec_lo, s29
	v_add_nc_u32_e32 v3, 0xffffff81, v31
	v_lshrrev_b32_e32 v27, 23, v26
	s_mov_b32 s7, exec_lo
	s_delay_alu instid0(VALU_DEP_2) | instskip(NEXT) | instid1(VALU_DEP_1)
	v_cndmask_b32_e64 v3, v3, 0xffffff82, vcc_lo
	v_add3_u32 v31, v54, v3, v27
	v_and_b32_e32 v3, 0xfffff, v32
	s_delay_alu instid0(VALU_DEP_1) | instskip(NEXT) | instid1(VALU_DEP_1)
	v_dual_add_nc_u32 v32, 6, v31 :: v_dual_add_nc_u32 v86, v3, v26
                                        ; implicit-def: $vgpr26_vgpr27
                                        ; implicit-def: $vgpr3
	v_cmpx_ne_u32_e32 0, v32
	s_xor_b32 s7, exec_lo, s7
; %bb.4800:                             ;   in Loop: Header=BB6_3974 Depth=2
	s_delay_alu instid0(VALU_DEP_2) | instskip(SKIP_2) | instid1(VALU_DEP_2)
	v_cmp_lt_u64_e32 vcc_lo, 0xffffff, v[86:87]
	v_add_nc_u32_e32 v3, 7, v31
	v_cndmask_b32_e64 v26, 0, 1, vcc_lo
	v_cndmask_b32_e32 v3, v32, v3, vcc_lo
	s_delay_alu instid0(VALU_DEP_2)
	v_lshrrev_b64 v[26:27], v26, v[86:87]
; %bb.4801:                             ;   in Loop: Header=BB6_3974 Depth=2
	s_and_not1_saveexec_b32 s7, s7
; %bb.4802:                             ;   in Loop: Header=BB6_3974 Depth=2
	v_mov_b64_e32 v[26:27], v[86:87]
	v_bfe_u32 v3, v86, 23, 1
; %bb.4803:                             ;   in Loop: Header=BB6_3974 Depth=2
	s_or_b32 exec_lo, exec_lo, s7
	s_delay_alu instid0(VALU_DEP_2) | instskip(NEXT) | instid1(VALU_DEP_2)
	v_lshrrev_b64 v[26:27], 20, v[26:27]
	v_cmp_gt_i32_e32 vcc_lo, 16, v3
	v_min_i32_e32 v31, 15, v3
	v_cmp_eq_u32_e64 s7, 0, v3
	s_delay_alu instid0(VALU_DEP_2) | instskip(SKIP_1) | instid1(VALU_DEP_2)
	v_dual_cndmask_b32 v26, 7, v26 :: v_dual_lshlrev_b32 v31, 3, v31
	v_cndmask_b32_e32 v27, 0, v27, vcc_lo
	v_and_b32_e32 v31, 0xf8, v31
	s_delay_alu instid0(VALU_DEP_2) | instskip(NEXT) | instid1(VALU_DEP_2)
	v_cmp_eq_u64_e32 vcc_lo, 0, v[26:27]
	v_and_or_b32 v3, v26, 7, v31
	s_and_b32 s7, s7, vcc_lo
	s_delay_alu instid0(VALU_DEP_1) | instid1(SALU_CYCLE_1)
	v_cndmask_b32_e64 v3, v3, 0, s7
	s_delay_alu instid0(VALU_DEP_1)
	v_or_b32_e32 v105, v3, v2
.LBB6_4804:                             ;   in Loop: Header=BB6_3974 Depth=2
	s_or_b32 exec_lo, exec_lo, s28
                                        ; implicit-def: $vgpr2
.LBB6_4805:                             ;   in Loop: Header=BB6_3974 Depth=2
	s_and_not1_saveexec_b32 s7, s27
; %bb.4806:                             ;   in Loop: Header=BB6_3974 Depth=2
	v_or_b32_e32 v105, 0x7e, v2
; %bb.4807:                             ;   in Loop: Header=BB6_3974 Depth=2
	s_or_b32 exec_lo, exec_lo, s7
                                        ; implicit-def: $vgpr2
.LBB6_4808:                             ;   in Loop: Header=BB6_3974 Depth=2
	s_and_not1_saveexec_b32 s7, s26
; %bb.4809:                             ;   in Loop: Header=BB6_3974 Depth=2
	v_or_b32_e32 v105, 0x7f, v2
; %bb.4810:                             ;   in Loop: Header=BB6_3974 Depth=2
	s_or_b32 exec_lo, exec_lo, s7
	v_dual_mov_b32 v2, 0 :: v_dual_mov_b32 v3, 0
	s_mov_b32 s7, exec_lo
	v_cmpx_lt_u32_e32 0xffffff, v34
	s_cbranch_execz .LBB6_4818
; %bb.4811:                             ;   in Loop: Header=BB6_3974 Depth=2
	v_lshrrev_b32_e32 v26, 24, v34
	v_bfrev_b32_e32 v3, 1
	s_mov_b32 s26, exec_lo
	s_delay_alu instid0(VALU_DEP_2)
	v_cmpx_ne_u32_e32 0x80, v26
	s_cbranch_execz .LBB6_4817
; %bb.4812:                             ;   in Loop: Header=BB6_3974 Depth=2
	v_bfe_u32 v27, v34, 24, 7
	v_mov_b32_e32 v3, 0x7f800001
	s_mov_b32 s27, exec_lo
	s_delay_alu instid0(VALU_DEP_2)
	v_cmpx_ne_u32_e32 0x7f, v27
	s_cbranch_execz .LBB6_4816
; %bb.4813:                             ;   in Loop: Header=BB6_3974 Depth=2
	v_dual_lshrrev_b32 v3, 3, v27 :: v_dual_bitop2_b32 v86, 7, v26 bitop3:0x40
	s_mov_b32 s28, exec_lo
	v_cmpx_gt_u32_e32 8, v27
; %bb.4814:                             ;   in Loop: Header=BB6_3974 Depth=2
	s_delay_alu instid0(VALU_DEP_2) | instskip(NEXT) | instid1(VALU_DEP_1)
	v_clz_i32_u32_e32 v3, v86
	v_min_u32_e32 v3, 32, v3
	s_delay_alu instid0(VALU_DEP_1) | instskip(NEXT) | instid1(VALU_DEP_1)
	v_subrev_nc_u32_e32 v27, 28, v3
	v_lshlrev_b64_e32 v[32:33], v27, v[86:87]
	s_delay_alu instid0(VALU_DEP_1)
	v_dual_sub_nc_u32 v3, 29, v3 :: v_dual_bitop2_b32 v86, 7, v32 bitop3:0x40
; %bb.4815:                             ;   in Loop: Header=BB6_3974 Depth=2
	s_or_b32 exec_lo, exec_lo, s28
	v_lshlrev_b32_e32 v26, 24, v26
	s_delay_alu instid0(VALU_DEP_2) | instskip(NEXT) | instid1(VALU_DEP_3)
	v_lshlrev_b32_e32 v27, 20, v86
	v_lshl_add_u32 v3, v3, 23, 0x3c000000
	s_delay_alu instid0(VALU_DEP_3) | instskip(NEXT) | instid1(VALU_DEP_1)
	v_and_b32_e32 v26, 0x80000000, v26
	v_or3_b32 v3, v27, v26, v3
.LBB6_4816:                             ;   in Loop: Header=BB6_3974 Depth=2
	s_or_b32 exec_lo, exec_lo, s27
.LBB6_4817:                             ;   in Loop: Header=BB6_3974 Depth=2
	s_delay_alu instid0(SALU_CYCLE_1)
	s_or_b32 exec_lo, exec_lo, s26
.LBB6_4818:                             ;   in Loop: Header=BB6_3974 Depth=2
	s_delay_alu instid0(SALU_CYCLE_1) | instskip(NEXT) | instid1(SALU_CYCLE_1)
	s_or_b32 exec_lo, exec_lo, s7
	s_mov_b32 s7, exec_lo
	v_cmpx_lt_u32_e32 0xffffff, v28
	s_cbranch_execz .LBB6_4826
; %bb.4819:                             ;   in Loop: Header=BB6_3974 Depth=2
	v_lshrrev_b32_e32 v26, 24, v28
	v_bfrev_b32_e32 v2, 1
	s_mov_b32 s26, exec_lo
	s_delay_alu instid0(VALU_DEP_2)
	v_cmpx_ne_u32_e32 0x80, v26
	s_cbranch_execz .LBB6_4825
; %bb.4820:                             ;   in Loop: Header=BB6_3974 Depth=2
	v_bfe_u32 v27, v28, 24, 7
	v_mov_b32_e32 v2, 0x7f800001
	s_mov_b32 s27, exec_lo
	s_delay_alu instid0(VALU_DEP_2)
	v_cmpx_ne_u32_e32 0x7f, v27
	s_cbranch_execz .LBB6_4824
; %bb.4821:                             ;   in Loop: Header=BB6_3974 Depth=2
	v_dual_lshrrev_b32 v2, 3, v27 :: v_dual_bitop2_b32 v86, 7, v26 bitop3:0x40
	s_mov_b32 s28, exec_lo
	v_cmpx_gt_u32_e32 8, v27
; %bb.4822:                             ;   in Loop: Header=BB6_3974 Depth=2
	s_delay_alu instid0(VALU_DEP_2) | instskip(NEXT) | instid1(VALU_DEP_1)
	v_clz_i32_u32_e32 v2, v86
	v_min_u32_e32 v2, 32, v2
	s_delay_alu instid0(VALU_DEP_1) | instskip(NEXT) | instid1(VALU_DEP_1)
	v_subrev_nc_u32_e32 v27, 28, v2
	v_lshlrev_b64_e32 v[32:33], v27, v[86:87]
	s_delay_alu instid0(VALU_DEP_1)
	v_dual_sub_nc_u32 v2, 29, v2 :: v_dual_bitop2_b32 v86, 7, v32 bitop3:0x40
; %bb.4823:                             ;   in Loop: Header=BB6_3974 Depth=2
	s_or_b32 exec_lo, exec_lo, s28
	v_lshlrev_b32_e32 v26, 24, v26
	s_delay_alu instid0(VALU_DEP_2) | instskip(NEXT) | instid1(VALU_DEP_3)
	v_lshlrev_b32_e32 v27, 20, v86
	v_lshl_add_u32 v2, v2, 23, 0x3c000000
	s_delay_alu instid0(VALU_DEP_3) | instskip(NEXT) | instid1(VALU_DEP_1)
	v_and_b32_e32 v26, 0x80000000, v26
	v_or3_b32 v2, v27, v26, v2
.LBB6_4824:                             ;   in Loop: Header=BB6_3974 Depth=2
	s_or_b32 exec_lo, exec_lo, s27
.LBB6_4825:                             ;   in Loop: Header=BB6_3974 Depth=2
	s_delay_alu instid0(SALU_CYCLE_1)
	s_or_b32 exec_lo, exec_lo, s26
.LBB6_4826:                             ;   in Loop: Header=BB6_3974 Depth=2
	s_delay_alu instid0(SALU_CYCLE_1) | instskip(NEXT) | instid1(VALU_DEP_1)
	s_or_b32 exec_lo, exec_lo, s7
	v_mul_f32_e32 v3, v3, v2
                                        ; implicit-def: $vgpr106
	s_mov_b32 s7, exec_lo
	s_delay_alu instid0(VALU_DEP_1) | instskip(SKIP_1) | instid1(VALU_DEP_2)
	v_and_b32_e32 v86, 0x7f800000, v3
	v_lshrrev_b32_e32 v2, 24, v3
	v_cmpx_ne_u64_e32 0x7f800000, v[86:87]
	s_xor_b32 s26, exec_lo, s7
	s_cbranch_execz .LBB6_4840
; %bb.4827:                             ;   in Loop: Header=BB6_3974 Depth=2
	v_and_b32_e32 v86, 0x7fffffff, v3
	v_and_b32_e32 v2, 0x80, v2
                                        ; implicit-def: $vgpr106
	s_mov_b32 s7, exec_lo
	s_delay_alu instid0(VALU_DEP_2)
	v_cmpx_gt_u64_e32 0x43e00001, v[86:87]
	s_xor_b32 s27, exec_lo, s7
	s_cbranch_execz .LBB6_4837
; %bb.4828:                             ;   in Loop: Header=BB6_3974 Depth=2
	v_mov_b32_e32 v106, 0
	s_mov_b32 s28, exec_lo
	v_cmpx_ne_u32_e32 0, v3
	s_cbranch_execz .LBB6_4836
; %bb.4829:                             ;   in Loop: Header=BB6_3974 Depth=2
	v_bfe_u32 v31, v3, 23, 8
	v_and_b32_e32 v3, 0x7fffff, v3
	s_delay_alu instid0(VALU_DEP_2) | instskip(SKIP_1) | instid1(VALU_DEP_3)
	v_sub_nc_u32_e32 v26, 0x79, v31
	v_cmp_gt_u32_e32 vcc_lo, 0x7a, v31
	v_or_b32_e32 v32, 0x800000, v3
	s_delay_alu instid0(VALU_DEP_3) | instskip(SKIP_1) | instid1(VALU_DEP_3)
	v_cndmask_b32_e32 v26, 0, v26, vcc_lo
	v_cmp_eq_u32_e32 vcc_lo, 0, v31
	v_cndmask_b32_e32 v86, v32, v3, vcc_lo
	s_delay_alu instid0(VALU_DEP_3) | instskip(NEXT) | instid1(VALU_DEP_1)
	v_cndmask_b32_e64 v54, v26, 0x78, vcc_lo
	v_dual_add_nc_u32 v26, 20, v54 :: v_dual_add_nc_u32 v33, 19, v54
	s_delay_alu instid0(VALU_DEP_1) | instskip(NEXT) | instid1(VALU_DEP_2)
	v_lshlrev_b64_e64 v[26:27], v26, -1
	v_lshlrev_b64_e64 v[32:33], v33, 1
	s_delay_alu instid0(VALU_DEP_2) | instskip(NEXT) | instid1(VALU_DEP_3)
	v_bfi_b32 v103, v27, 0, 0
	v_bfi_b32 v102, v26, 0, v86
	v_lshrrev_b64 v[26:27], v54, v[86:87]
	s_delay_alu instid0(VALU_DEP_2) | instskip(NEXT) | instid1(VALU_DEP_2)
	v_cmp_eq_u64_e64 s7, v[102:103], v[32:33]
	v_mov_b64_e32 v[32:33], v[26:27]
	s_and_saveexec_b32 s29, s7
; %bb.4830:                             ;   in Loop: Header=BB6_3974 Depth=2
	v_bfe_u32 v86, v26, 20, 1
	s_delay_alu instid0(VALU_DEP_1) | instskip(NEXT) | instid1(VALU_DEP_1)
	v_add_nc_u64_e32 v[32:33], v[26:27], v[86:87]
	v_add_nc_u64_e32 v[32:33], -1, v[32:33]
; %bb.4831:                             ;   in Loop: Header=BB6_3974 Depth=2
	s_or_b32 exec_lo, exec_lo, s29
	v_add_nc_u32_e32 v3, 0xffffff81, v31
	v_lshrrev_b32_e32 v27, 23, v26
	s_mov_b32 s7, exec_lo
	s_delay_alu instid0(VALU_DEP_2) | instskip(NEXT) | instid1(VALU_DEP_1)
	v_cndmask_b32_e64 v3, v3, 0xffffff82, vcc_lo
	v_add3_u32 v31, v54, v3, v27
	v_and_b32_e32 v3, 0xfffff, v32
	s_delay_alu instid0(VALU_DEP_1) | instskip(NEXT) | instid1(VALU_DEP_1)
	v_dual_add_nc_u32 v32, 6, v31 :: v_dual_add_nc_u32 v86, v3, v26
                                        ; implicit-def: $vgpr26_vgpr27
                                        ; implicit-def: $vgpr3
	v_cmpx_ne_u32_e32 0, v32
	s_xor_b32 s7, exec_lo, s7
; %bb.4832:                             ;   in Loop: Header=BB6_3974 Depth=2
	s_delay_alu instid0(VALU_DEP_2) | instskip(SKIP_2) | instid1(VALU_DEP_2)
	v_cmp_lt_u64_e32 vcc_lo, 0xffffff, v[86:87]
	v_add_nc_u32_e32 v3, 7, v31
	v_cndmask_b32_e64 v26, 0, 1, vcc_lo
	v_cndmask_b32_e32 v3, v32, v3, vcc_lo
	s_delay_alu instid0(VALU_DEP_2)
	v_lshrrev_b64 v[26:27], v26, v[86:87]
; %bb.4833:                             ;   in Loop: Header=BB6_3974 Depth=2
	s_and_not1_saveexec_b32 s7, s7
; %bb.4834:                             ;   in Loop: Header=BB6_3974 Depth=2
	v_mov_b64_e32 v[26:27], v[86:87]
	v_bfe_u32 v3, v86, 23, 1
; %bb.4835:                             ;   in Loop: Header=BB6_3974 Depth=2
	s_or_b32 exec_lo, exec_lo, s7
	s_delay_alu instid0(VALU_DEP_2) | instskip(NEXT) | instid1(VALU_DEP_2)
	v_lshrrev_b64 v[26:27], 20, v[26:27]
	v_cmp_gt_i32_e32 vcc_lo, 16, v3
	v_min_i32_e32 v31, 15, v3
	v_cmp_eq_u32_e64 s7, 0, v3
	s_delay_alu instid0(VALU_DEP_2) | instskip(SKIP_1) | instid1(VALU_DEP_2)
	v_dual_cndmask_b32 v26, 7, v26 :: v_dual_lshlrev_b32 v31, 3, v31
	v_cndmask_b32_e32 v27, 0, v27, vcc_lo
	v_and_b32_e32 v31, 0xf8, v31
	s_delay_alu instid0(VALU_DEP_2) | instskip(NEXT) | instid1(VALU_DEP_2)
	v_cmp_eq_u64_e32 vcc_lo, 0, v[26:27]
	v_and_or_b32 v3, v26, 7, v31
	s_and_b32 s7, s7, vcc_lo
	s_delay_alu instid0(VALU_DEP_1) | instid1(SALU_CYCLE_1)
	v_cndmask_b32_e64 v3, v3, 0, s7
	s_delay_alu instid0(VALU_DEP_1)
	v_or_b32_e32 v106, v3, v2
.LBB6_4836:                             ;   in Loop: Header=BB6_3974 Depth=2
	s_or_b32 exec_lo, exec_lo, s28
                                        ; implicit-def: $vgpr2
.LBB6_4837:                             ;   in Loop: Header=BB6_3974 Depth=2
	s_and_not1_saveexec_b32 s7, s27
; %bb.4838:                             ;   in Loop: Header=BB6_3974 Depth=2
	v_or_b32_e32 v106, 0x7e, v2
; %bb.4839:                             ;   in Loop: Header=BB6_3974 Depth=2
	s_or_b32 exec_lo, exec_lo, s7
                                        ; implicit-def: $vgpr2
.LBB6_4840:                             ;   in Loop: Header=BB6_3974 Depth=2
	s_and_not1_saveexec_b32 s7, s26
; %bb.4841:                             ;   in Loop: Header=BB6_3974 Depth=2
	v_or_b32_e32 v106, 0x7f, v2
; %bb.4842:                             ;   in Loop: Header=BB6_3974 Depth=2
	s_or_b32 exec_lo, exec_lo, s7
	v_and_b32_e32 v26, 0xff, v35
	v_dual_mov_b32 v86, v35 :: v_dual_mov_b32 v3, 0
	v_mov_b32_e32 v2, 0
	s_mov_b32 s7, exec_lo
	s_delay_alu instid0(VALU_DEP_3)
	v_cmpx_ne_u16_e32 0, v26
	s_cbranch_execz .LBB6_4848
; %bb.4843:                             ;   in Loop: Header=BB6_3974 Depth=2
	v_bfrev_b32_e32 v2, 1
	s_mov_b32 s26, exec_lo
	v_cmpx_ne_u16_e32 0x80, v26
	s_cbranch_execz .LBB6_4847
; %bb.4844:                             ;   in Loop: Header=BB6_3974 Depth=2
	v_and_b32_e32 v26, 0x7f, v35
	v_mov_b32_e32 v2, 0x7f800001
	s_mov_b32 s27, exec_lo
	s_delay_alu instid0(VALU_DEP_2)
	v_cmpx_ne_u32_e32 0x7f, v26
	s_cbranch_execz .LBB6_4846
; %bb.4845:                             ;   in Loop: Header=BB6_3974 Depth=2
	v_dual_lshrrev_b32 v27, 3, v26 :: v_dual_bitop2_b32 v2, 7, v35 bitop3:0x40
	v_cmp_gt_u32_e32 vcc_lo, 8, v26
	s_delay_alu instid0(VALU_DEP_2) | instskip(NEXT) | instid1(VALU_DEP_1)
	v_clz_i32_u32_e32 v2, v2
	v_min_u32_e32 v2, 32, v2
	s_delay_alu instid0(VALU_DEP_1) | instskip(NEXT) | instid1(VALU_DEP_1)
	v_subrev_nc_u32_e32 v31, 28, v2
	v_dual_sub_nc_u32 v2, 29, v2 :: v_dual_cndmask_b32 v26, 0, v31, vcc_lo
	s_delay_alu instid0(VALU_DEP_1) | instskip(NEXT) | instid1(VALU_DEP_2)
	v_cndmask_b32_e32 v2, v27, v2, vcc_lo
	v_lshlrev_b64_e32 v[26:27], v26, v[86:87]
	v_lshlrev_b32_e32 v27, 24, v86
	s_delay_alu instid0(VALU_DEP_3) | instskip(NEXT) | instid1(VALU_DEP_2)
	v_lshl_add_u32 v2, v2, 23, 0x3c000000
	v_and_b32_e32 v27, 0x80000000, v27
	s_delay_alu instid0(VALU_DEP_4) | instskip(NEXT) | instid1(VALU_DEP_1)
	v_lshlrev_b32_e32 v26, 20, v26
	v_and_b32_e32 v26, 0x700000, v26
	s_delay_alu instid0(VALU_DEP_1)
	v_or3_b32 v2, v26, v27, v2
.LBB6_4846:                             ;   in Loop: Header=BB6_3974 Depth=2
	s_or_b32 exec_lo, exec_lo, s27
.LBB6_4847:                             ;   in Loop: Header=BB6_3974 Depth=2
	s_delay_alu instid0(SALU_CYCLE_1)
	s_or_b32 exec_lo, exec_lo, s26
.LBB6_4848:                             ;   in Loop: Header=BB6_3974 Depth=2
	s_delay_alu instid0(SALU_CYCLE_1) | instskip(SKIP_2) | instid1(VALU_DEP_1)
	s_or_b32 exec_lo, exec_lo, s7
	v_and_b32_e32 v26, 0xff, v29
	s_mov_b32 s7, exec_lo
	v_cmpx_ne_u16_e32 0, v26
	s_cbranch_execz .LBB6_4854
; %bb.4849:                             ;   in Loop: Header=BB6_3974 Depth=2
	v_bfrev_b32_e32 v3, 1
	s_mov_b32 s26, exec_lo
	v_cmpx_ne_u16_e32 0x80, v26
	s_cbranch_execz .LBB6_4853
; %bb.4850:                             ;   in Loop: Header=BB6_3974 Depth=2
	v_and_b32_e32 v26, 0x7f, v29
	v_mov_b32_e32 v3, 0x7f800001
	s_mov_b32 s27, exec_lo
	s_delay_alu instid0(VALU_DEP_2)
	v_cmpx_ne_u32_e32 0x7f, v26
	s_cbranch_execz .LBB6_4852
; %bb.4851:                             ;   in Loop: Header=BB6_3974 Depth=2
	v_dual_lshrrev_b32 v31, 3, v26 :: v_dual_bitop2_b32 v3, 7, v29 bitop3:0x40
	v_cmp_gt_u32_e32 vcc_lo, 8, v26
	v_mov_b32_e32 v26, v29
	s_delay_alu instid0(VALU_DEP_3) | instskip(NEXT) | instid1(VALU_DEP_1)
	v_clz_i32_u32_e32 v3, v3
	v_min_u32_e32 v3, 32, v3
	s_delay_alu instid0(VALU_DEP_1) | instskip(SKIP_2) | instid1(VALU_DEP_2)
	v_sub_nc_u32_e32 v32, 29, v3
	v_subrev_nc_u32_e32 v3, 28, v3
	v_mov_b32_e32 v27, v87
	v_dual_cndmask_b32 v31, v31, v32, vcc_lo :: v_dual_cndmask_b32 v3, 0, v3, vcc_lo
	s_delay_alu instid0(VALU_DEP_1) | instskip(SKIP_1) | instid1(VALU_DEP_3)
	v_lshlrev_b64_e32 v[32:33], v3, v[26:27]
	v_lshlrev_b32_e32 v3, 24, v26
	v_lshl_add_u32 v27, v31, 23, 0x3c000000
	s_delay_alu instid0(VALU_DEP_2) | instskip(NEXT) | instid1(VALU_DEP_4)
	v_and_b32_e32 v3, 0x80000000, v3
	v_lshlrev_b32_e32 v26, 20, v32
	s_delay_alu instid0(VALU_DEP_1) | instskip(NEXT) | instid1(VALU_DEP_1)
	v_and_b32_e32 v26, 0x700000, v26
	v_or3_b32 v3, v26, v3, v27
.LBB6_4852:                             ;   in Loop: Header=BB6_3974 Depth=2
	s_or_b32 exec_lo, exec_lo, s27
.LBB6_4853:                             ;   in Loop: Header=BB6_3974 Depth=2
	s_delay_alu instid0(SALU_CYCLE_1)
	s_or_b32 exec_lo, exec_lo, s26
.LBB6_4854:                             ;   in Loop: Header=BB6_3974 Depth=2
	s_delay_alu instid0(SALU_CYCLE_1) | instskip(NEXT) | instid1(VALU_DEP_1)
	s_or_b32 exec_lo, exec_lo, s7
	v_dual_mul_f32 v3, v2, v3 :: v_dual_mov_b32 v27, v87
                                        ; implicit-def: $vgpr107
	s_mov_b32 s7, exec_lo
	s_delay_alu instid0(VALU_DEP_1) | instskip(SKIP_1) | instid1(VALU_DEP_2)
	v_and_b32_e32 v26, 0x7f800000, v3
	v_lshrrev_b32_e32 v2, 24, v3
	v_cmpx_ne_u64_e32 0x7f800000, v[26:27]
	s_xor_b32 s26, exec_lo, s7
	s_cbranch_execz .LBB6_4868
; %bb.4855:                             ;   in Loop: Header=BB6_3974 Depth=2
	v_and_b32_e32 v26, 0x7fffffff, v3
	v_mov_b32_e32 v27, v87
	v_and_b32_e32 v2, 0x80, v2
                                        ; implicit-def: $vgpr107
	s_mov_b32 s7, exec_lo
	s_delay_alu instid0(VALU_DEP_2)
	v_cmpx_gt_u64_e32 0x43e00001, v[26:27]
	s_xor_b32 s27, exec_lo, s7
	s_cbranch_execz .LBB6_4865
; %bb.4856:                             ;   in Loop: Header=BB6_3974 Depth=2
	v_mov_b32_e32 v107, 0
	s_mov_b32 s28, exec_lo
	v_cmpx_ne_u32_e32 0, v3
	s_cbranch_execz .LBB6_4864
; %bb.4857:                             ;   in Loop: Header=BB6_3974 Depth=2
	v_bfe_u32 v31, v3, 23, 8
	v_and_b32_e32 v3, 0x7fffff, v3
	s_mov_b32 s29, exec_lo
	s_delay_alu instid0(VALU_DEP_2) | instskip(SKIP_1) | instid1(VALU_DEP_3)
	v_dual_mov_b32 v33, v87 :: v_dual_sub_nc_u32 v26, 0x79, v31
	v_cmp_gt_u32_e32 vcc_lo, 0x7a, v31
	v_or_b32_e32 v32, 0x800000, v3
	s_delay_alu instid0(VALU_DEP_3) | instskip(SKIP_1) | instid1(VALU_DEP_3)
	v_cndmask_b32_e32 v26, 0, v26, vcc_lo
	v_cmp_eq_u32_e32 vcc_lo, 0, v31
	v_cndmask_b32_e32 v32, v32, v3, vcc_lo
	s_delay_alu instid0(VALU_DEP_3) | instskip(NEXT) | instid1(VALU_DEP_1)
	v_cndmask_b32_e64 v54, v26, 0x78, vcc_lo
	v_dual_add_nc_u32 v26, 20, v54 :: v_dual_add_nc_u32 v55, 19, v54
	s_delay_alu instid0(VALU_DEP_1) | instskip(NEXT) | instid1(VALU_DEP_2)
	v_lshlrev_b64_e64 v[26:27], v26, -1
	v_lshlrev_b64_e64 v[102:103], v55, 1
	s_delay_alu instid0(VALU_DEP_2) | instskip(NEXT) | instid1(VALU_DEP_3)
	v_bfi_b32 v109, v27, 0, 0
	v_bfi_b32 v108, v26, 0, v32
	v_lshrrev_b64 v[26:27], v54, v[32:33]
	s_delay_alu instid0(VALU_DEP_1) | instskip(NEXT) | instid1(VALU_DEP_3)
	v_mov_b64_e32 v[32:33], v[26:27]
	v_cmpx_eq_u64_e64 v[108:109], v[102:103]
; %bb.4858:                             ;   in Loop: Header=BB6_3974 Depth=2
	v_bfe_u32 v32, v26, 20, 1
	v_mov_b32_e32 v33, v87
	s_delay_alu instid0(VALU_DEP_1) | instskip(NEXT) | instid1(VALU_DEP_1)
	v_add_nc_u64_e32 v[32:33], v[26:27], v[32:33]
	v_add_nc_u64_e32 v[32:33], -1, v[32:33]
; %bb.4859:                             ;   in Loop: Header=BB6_3974 Depth=2
	s_or_b32 exec_lo, exec_lo, s29
	v_add_nc_u32_e32 v3, 0xffffff81, v31
	v_lshrrev_b32_e32 v27, 23, v26
	s_mov_b32 s7, exec_lo
	s_delay_alu instid0(VALU_DEP_2) | instskip(NEXT) | instid1(VALU_DEP_1)
	v_cndmask_b32_e64 v3, v3, 0xffffff82, vcc_lo
	v_add3_u32 v31, v54, v3, v27
	v_and_b32_e32 v3, 0xfffff, v32
	s_delay_alu instid0(VALU_DEP_2) | instskip(NEXT) | instid1(VALU_DEP_2)
	v_dual_mov_b32 v27, v87 :: v_dual_add_nc_u32 v32, 6, v31
	v_add_nc_u32_e32 v26, v3, v26
                                        ; implicit-def: $vgpr3
	s_delay_alu instid0(VALU_DEP_2)
	v_cmpx_ne_u32_e32 0, v32
	s_xor_b32 s7, exec_lo, s7
; %bb.4860:                             ;   in Loop: Header=BB6_3974 Depth=2
	s_delay_alu instid0(VALU_DEP_2) | instskip(SKIP_2) | instid1(VALU_DEP_2)
	v_cmp_lt_u64_e32 vcc_lo, 0xffffff, v[26:27]
	v_add_nc_u32_e32 v3, 7, v31
	v_cndmask_b32_e64 v31, 0, 1, vcc_lo
	v_cndmask_b32_e32 v3, v32, v3, vcc_lo
	s_delay_alu instid0(VALU_DEP_2)
	v_lshrrev_b64 v[26:27], v31, v[26:27]
; %bb.4861:                             ;   in Loop: Header=BB6_3974 Depth=2
	s_and_not1_saveexec_b32 s7, s7
; %bb.4862:                             ;   in Loop: Header=BB6_3974 Depth=2
	s_delay_alu instid0(VALU_DEP_1)
	v_bfe_u32 v3, v26, 23, 1
; %bb.4863:                             ;   in Loop: Header=BB6_3974 Depth=2
	s_or_b32 exec_lo, exec_lo, s7
	s_delay_alu instid0(VALU_DEP_2) | instskip(NEXT) | instid1(VALU_DEP_2)
	v_lshrrev_b64 v[26:27], 20, v[26:27]
	v_cmp_gt_i32_e32 vcc_lo, 16, v3
	v_min_i32_e32 v31, 15, v3
	v_cmp_eq_u32_e64 s7, 0, v3
	s_delay_alu instid0(VALU_DEP_2) | instskip(SKIP_1) | instid1(VALU_DEP_2)
	v_dual_cndmask_b32 v26, 7, v26 :: v_dual_lshlrev_b32 v31, 3, v31
	v_cndmask_b32_e32 v27, 0, v27, vcc_lo
	v_and_b32_e32 v31, 0xf8, v31
	s_delay_alu instid0(VALU_DEP_2) | instskip(NEXT) | instid1(VALU_DEP_2)
	v_cmp_eq_u64_e32 vcc_lo, 0, v[26:27]
	v_and_or_b32 v3, v26, 7, v31
	s_and_b32 s7, s7, vcc_lo
	s_delay_alu instid0(VALU_DEP_1) | instid1(SALU_CYCLE_1)
	v_cndmask_b32_e64 v3, v3, 0, s7
	s_delay_alu instid0(VALU_DEP_1)
	v_or_b32_e32 v107, v3, v2
.LBB6_4864:                             ;   in Loop: Header=BB6_3974 Depth=2
	s_or_b32 exec_lo, exec_lo, s28
                                        ; implicit-def: $vgpr2
.LBB6_4865:                             ;   in Loop: Header=BB6_3974 Depth=2
	s_and_not1_saveexec_b32 s7, s27
; %bb.4866:                             ;   in Loop: Header=BB6_3974 Depth=2
	v_or_b32_e32 v107, 0x7e, v2
; %bb.4867:                             ;   in Loop: Header=BB6_3974 Depth=2
	s_or_b32 exec_lo, exec_lo, s7
                                        ; implicit-def: $vgpr2
.LBB6_4868:                             ;   in Loop: Header=BB6_3974 Depth=2
	s_and_not1_saveexec_b32 s7, s26
; %bb.4869:                             ;   in Loop: Header=BB6_3974 Depth=2
	v_or_b32_e32 v107, 0x7f, v2
; %bb.4870:                             ;   in Loop: Header=BB6_3974 Depth=2
	s_or_b32 exec_lo, exec_lo, s7
	v_lshrrev_b16 v26, 8, v86
	v_dual_mov_b32 v2, 0 :: v_dual_mov_b32 v3, 0
	s_mov_b32 s7, exec_lo
	s_delay_alu instid0(VALU_DEP_2)
	v_cmpx_ne_u16_e32 0, v26
	s_cbranch_execz .LBB6_4878
; %bb.4871:                             ;   in Loop: Header=BB6_3974 Depth=2
	v_bfrev_b32_e32 v3, 1
	s_mov_b32 s26, exec_lo
	v_cmpx_ne_u16_e32 0x80, v26
	s_cbranch_execz .LBB6_4877
; %bb.4872:                             ;   in Loop: Header=BB6_3974 Depth=2
	v_and_b32_e32 v26, 0xffff, v26
	v_mov_b32_e32 v3, 0x7f800001
	s_mov_b32 s27, exec_lo
	s_delay_alu instid0(VALU_DEP_2) | instskip(NEXT) | instid1(VALU_DEP_1)
	v_and_b32_e32 v31, 0x7f, v26
	v_cmpx_ne_u32_e32 0x7f, v31
	s_cbranch_execz .LBB6_4876
; %bb.4873:                             ;   in Loop: Header=BB6_3974 Depth=2
	v_dual_mov_b32 v27, v87 :: v_dual_bitop2_b32 v26, 7, v26 bitop3:0x40
	v_lshrrev_b32_e32 v3, 3, v31
	s_mov_b32 s28, exec_lo
	v_cmpx_gt_u32_e32 8, v31
; %bb.4874:                             ;   in Loop: Header=BB6_3974 Depth=2
	s_delay_alu instid0(VALU_DEP_3) | instskip(NEXT) | instid1(VALU_DEP_1)
	v_clz_i32_u32_e32 v3, v26
	v_min_u32_e32 v3, 32, v3
	s_delay_alu instid0(VALU_DEP_1) | instskip(NEXT) | instid1(VALU_DEP_1)
	v_subrev_nc_u32_e32 v31, 28, v3
	v_lshlrev_b64_e32 v[26:27], v31, v[26:27]
	s_delay_alu instid0(VALU_DEP_1)
	v_dual_sub_nc_u32 v3, 29, v3 :: v_dual_bitop2_b32 v26, 7, v26 bitop3:0x40
; %bb.4875:                             ;   in Loop: Header=BB6_3974 Depth=2
	s_or_b32 exec_lo, exec_lo, s28
	v_lshlrev_b32_e32 v27, 16, v86
	s_delay_alu instid0(VALU_DEP_2) | instskip(NEXT) | instid1(VALU_DEP_3)
	v_lshlrev_b32_e32 v26, 20, v26
	v_lshl_add_u32 v3, v3, 23, 0x3c000000
	s_delay_alu instid0(VALU_DEP_3) | instskip(NEXT) | instid1(VALU_DEP_1)
	v_and_b32_e32 v27, 0x80000000, v27
	v_or3_b32 v3, v26, v27, v3
.LBB6_4876:                             ;   in Loop: Header=BB6_3974 Depth=2
	s_or_b32 exec_lo, exec_lo, s27
.LBB6_4877:                             ;   in Loop: Header=BB6_3974 Depth=2
	s_delay_alu instid0(SALU_CYCLE_1)
	s_or_b32 exec_lo, exec_lo, s26
.LBB6_4878:                             ;   in Loop: Header=BB6_3974 Depth=2
	s_delay_alu instid0(SALU_CYCLE_1) | instskip(SKIP_2) | instid1(VALU_DEP_1)
	s_or_b32 exec_lo, exec_lo, s7
	v_lshrrev_b16 v26, 8, v29
	s_mov_b32 s7, exec_lo
	v_cmpx_ne_u16_e32 0, v26
	s_cbranch_execz .LBB6_4886
; %bb.4879:                             ;   in Loop: Header=BB6_3974 Depth=2
	v_bfrev_b32_e32 v2, 1
	s_mov_b32 s26, exec_lo
	v_cmpx_ne_u16_e32 0x80, v26
	s_cbranch_execz .LBB6_4885
; %bb.4880:                             ;   in Loop: Header=BB6_3974 Depth=2
	v_and_b32_e32 v27, 0xffff, v26
	v_mov_b32_e32 v2, 0x7f800001
	s_mov_b32 s27, exec_lo
	s_delay_alu instid0(VALU_DEP_2) | instskip(NEXT) | instid1(VALU_DEP_1)
	v_and_b32_e32 v26, 0x7f, v27
	v_cmpx_ne_u32_e32 0x7f, v26
	s_cbranch_execz .LBB6_4884
; %bb.4881:                             ;   in Loop: Header=BB6_3974 Depth=2
	v_dual_lshrrev_b32 v2, 3, v26 :: v_dual_bitop2_b32 v86, 7, v27 bitop3:0x40
	s_mov_b32 s28, exec_lo
	v_cmpx_gt_u32_e32 8, v26
; %bb.4882:                             ;   in Loop: Header=BB6_3974 Depth=2
	s_delay_alu instid0(VALU_DEP_2) | instskip(NEXT) | instid1(VALU_DEP_1)
	v_clz_i32_u32_e32 v2, v86
	v_min_u32_e32 v2, 32, v2
	s_delay_alu instid0(VALU_DEP_1) | instskip(SKIP_1) | instid1(VALU_DEP_2)
	v_subrev_nc_u32_e32 v26, 28, v2
	v_sub_nc_u32_e32 v2, 29, v2
	v_lshlrev_b64_e32 v[26:27], v26, v[86:87]
	s_delay_alu instid0(VALU_DEP_1)
	v_and_b32_e32 v86, 7, v26
; %bb.4883:                             ;   in Loop: Header=BB6_3974 Depth=2
	s_or_b32 exec_lo, exec_lo, s28
	s_delay_alu instid0(VALU_DEP_1) | instskip(SKIP_1) | instid1(VALU_DEP_2)
	v_dual_lshlrev_b32 v26, 16, v29 :: v_dual_lshlrev_b32 v27, 20, v86
	v_lshl_add_u32 v2, v2, 23, 0x3c000000
	v_and_b32_e32 v26, 0x80000000, v26
	s_delay_alu instid0(VALU_DEP_1)
	v_or3_b32 v2, v27, v26, v2
.LBB6_4884:                             ;   in Loop: Header=BB6_3974 Depth=2
	s_or_b32 exec_lo, exec_lo, s27
.LBB6_4885:                             ;   in Loop: Header=BB6_3974 Depth=2
	s_delay_alu instid0(SALU_CYCLE_1)
	s_or_b32 exec_lo, exec_lo, s26
.LBB6_4886:                             ;   in Loop: Header=BB6_3974 Depth=2
	s_delay_alu instid0(SALU_CYCLE_1) | instskip(NEXT) | instid1(VALU_DEP_1)
	s_or_b32 exec_lo, exec_lo, s7
	v_mul_f32_e32 v3, v3, v2
                                        ; implicit-def: $vgpr108
	s_mov_b32 s7, exec_lo
	s_delay_alu instid0(VALU_DEP_1) | instskip(SKIP_1) | instid1(VALU_DEP_2)
	v_and_b32_e32 v86, 0x7f800000, v3
	v_lshrrev_b32_e32 v2, 24, v3
	v_cmpx_ne_u64_e32 0x7f800000, v[86:87]
	s_xor_b32 s26, exec_lo, s7
	s_cbranch_execz .LBB6_4900
; %bb.4887:                             ;   in Loop: Header=BB6_3974 Depth=2
	v_and_b32_e32 v86, 0x7fffffff, v3
	v_and_b32_e32 v2, 0x80, v2
                                        ; implicit-def: $vgpr108
	s_mov_b32 s7, exec_lo
	s_delay_alu instid0(VALU_DEP_2)
	v_cmpx_gt_u64_e32 0x43e00001, v[86:87]
	s_xor_b32 s27, exec_lo, s7
	s_cbranch_execz .LBB6_4897
; %bb.4888:                             ;   in Loop: Header=BB6_3974 Depth=2
	v_mov_b32_e32 v108, 0
	s_mov_b32 s28, exec_lo
	v_cmpx_ne_u32_e32 0, v3
	s_cbranch_execz .LBB6_4896
; %bb.4889:                             ;   in Loop: Header=BB6_3974 Depth=2
	v_bfe_u32 v31, v3, 23, 8
	v_and_b32_e32 v3, 0x7fffff, v3
	s_delay_alu instid0(VALU_DEP_2) | instskip(SKIP_1) | instid1(VALU_DEP_3)
	v_sub_nc_u32_e32 v26, 0x79, v31
	v_cmp_gt_u32_e32 vcc_lo, 0x7a, v31
	v_or_b32_e32 v32, 0x800000, v3
	s_delay_alu instid0(VALU_DEP_3) | instskip(SKIP_1) | instid1(VALU_DEP_3)
	v_cndmask_b32_e32 v26, 0, v26, vcc_lo
	v_cmp_eq_u32_e32 vcc_lo, 0, v31
	v_cndmask_b32_e32 v86, v32, v3, vcc_lo
	s_delay_alu instid0(VALU_DEP_3) | instskip(NEXT) | instid1(VALU_DEP_1)
	v_cndmask_b32_e64 v54, v26, 0x78, vcc_lo
	v_dual_add_nc_u32 v26, 20, v54 :: v_dual_add_nc_u32 v33, 19, v54
	s_delay_alu instid0(VALU_DEP_1) | instskip(NEXT) | instid1(VALU_DEP_2)
	v_lshlrev_b64_e64 v[26:27], v26, -1
	v_lshlrev_b64_e64 v[32:33], v33, 1
	s_delay_alu instid0(VALU_DEP_2) | instskip(NEXT) | instid1(VALU_DEP_3)
	v_bfi_b32 v103, v27, 0, 0
	v_bfi_b32 v102, v26, 0, v86
	v_lshrrev_b64 v[26:27], v54, v[86:87]
	s_delay_alu instid0(VALU_DEP_2) | instskip(NEXT) | instid1(VALU_DEP_2)
	v_cmp_eq_u64_e64 s7, v[102:103], v[32:33]
	v_mov_b64_e32 v[32:33], v[26:27]
	s_and_saveexec_b32 s29, s7
; %bb.4890:                             ;   in Loop: Header=BB6_3974 Depth=2
	v_bfe_u32 v86, v26, 20, 1
	s_delay_alu instid0(VALU_DEP_1) | instskip(NEXT) | instid1(VALU_DEP_1)
	v_add_nc_u64_e32 v[32:33], v[26:27], v[86:87]
	v_add_nc_u64_e32 v[32:33], -1, v[32:33]
; %bb.4891:                             ;   in Loop: Header=BB6_3974 Depth=2
	s_or_b32 exec_lo, exec_lo, s29
	v_add_nc_u32_e32 v3, 0xffffff81, v31
	v_lshrrev_b32_e32 v27, 23, v26
	s_mov_b32 s7, exec_lo
	s_delay_alu instid0(VALU_DEP_2) | instskip(NEXT) | instid1(VALU_DEP_1)
	v_cndmask_b32_e64 v3, v3, 0xffffff82, vcc_lo
	v_add3_u32 v31, v54, v3, v27
	v_and_b32_e32 v3, 0xfffff, v32
	s_delay_alu instid0(VALU_DEP_1) | instskip(NEXT) | instid1(VALU_DEP_1)
	v_dual_add_nc_u32 v32, 6, v31 :: v_dual_add_nc_u32 v86, v3, v26
                                        ; implicit-def: $vgpr26_vgpr27
                                        ; implicit-def: $vgpr3
	v_cmpx_ne_u32_e32 0, v32
	s_xor_b32 s7, exec_lo, s7
; %bb.4892:                             ;   in Loop: Header=BB6_3974 Depth=2
	s_delay_alu instid0(VALU_DEP_2) | instskip(SKIP_2) | instid1(VALU_DEP_2)
	v_cmp_lt_u64_e32 vcc_lo, 0xffffff, v[86:87]
	v_add_nc_u32_e32 v3, 7, v31
	v_cndmask_b32_e64 v26, 0, 1, vcc_lo
	v_cndmask_b32_e32 v3, v32, v3, vcc_lo
	s_delay_alu instid0(VALU_DEP_2)
	v_lshrrev_b64 v[26:27], v26, v[86:87]
; %bb.4893:                             ;   in Loop: Header=BB6_3974 Depth=2
	s_and_not1_saveexec_b32 s7, s7
; %bb.4894:                             ;   in Loop: Header=BB6_3974 Depth=2
	v_mov_b64_e32 v[26:27], v[86:87]
	v_bfe_u32 v3, v86, 23, 1
; %bb.4895:                             ;   in Loop: Header=BB6_3974 Depth=2
	s_or_b32 exec_lo, exec_lo, s7
	s_delay_alu instid0(VALU_DEP_2) | instskip(NEXT) | instid1(VALU_DEP_2)
	v_lshrrev_b64 v[26:27], 20, v[26:27]
	v_cmp_gt_i32_e32 vcc_lo, 16, v3
	v_min_i32_e32 v31, 15, v3
	v_cmp_eq_u32_e64 s7, 0, v3
	s_delay_alu instid0(VALU_DEP_2) | instskip(SKIP_1) | instid1(VALU_DEP_2)
	v_dual_cndmask_b32 v26, 7, v26 :: v_dual_lshlrev_b32 v31, 3, v31
	v_cndmask_b32_e32 v27, 0, v27, vcc_lo
	v_and_b32_e32 v31, 0xf8, v31
	s_delay_alu instid0(VALU_DEP_2) | instskip(NEXT) | instid1(VALU_DEP_2)
	v_cmp_eq_u64_e32 vcc_lo, 0, v[26:27]
	v_and_or_b32 v3, v26, 7, v31
	s_and_b32 s7, s7, vcc_lo
	s_delay_alu instid0(VALU_DEP_1) | instid1(SALU_CYCLE_1)
	v_cndmask_b32_e64 v3, v3, 0, s7
	s_delay_alu instid0(VALU_DEP_1)
	v_or_b32_e32 v108, v3, v2
.LBB6_4896:                             ;   in Loop: Header=BB6_3974 Depth=2
	s_or_b32 exec_lo, exec_lo, s28
                                        ; implicit-def: $vgpr2
.LBB6_4897:                             ;   in Loop: Header=BB6_3974 Depth=2
	s_and_not1_saveexec_b32 s7, s27
; %bb.4898:                             ;   in Loop: Header=BB6_3974 Depth=2
	v_or_b32_e32 v108, 0x7e, v2
; %bb.4899:                             ;   in Loop: Header=BB6_3974 Depth=2
	s_or_b32 exec_lo, exec_lo, s7
                                        ; implicit-def: $vgpr2
.LBB6_4900:                             ;   in Loop: Header=BB6_3974 Depth=2
	s_and_not1_saveexec_b32 s7, s26
; %bb.4901:                             ;   in Loop: Header=BB6_3974 Depth=2
	v_or_b32_e32 v108, 0x7f, v2
; %bb.4902:                             ;   in Loop: Header=BB6_3974 Depth=2
	s_or_b32 exec_lo, exec_lo, s7
	v_dual_lshrrev_b32 v26, 16, v35 :: v_dual_mov_b32 v2, 0
	v_mov_b32_e32 v3, 0
	s_mov_b32 s7, exec_lo
	s_delay_alu instid0(VALU_DEP_2) | instskip(NEXT) | instid1(VALU_DEP_1)
	v_and_b32_e32 v27, 0xff, v26
	v_cmpx_ne_u16_e32 0, v27
	s_cbranch_execz .LBB6_4910
; %bb.4903:                             ;   in Loop: Header=BB6_3974 Depth=2
	v_bfrev_b32_e32 v3, 1
	s_mov_b32 s26, exec_lo
	v_cmpx_ne_u16_e32 0x80, v27
	s_cbranch_execz .LBB6_4909
; %bb.4904:                             ;   in Loop: Header=BB6_3974 Depth=2
	v_bfe_u32 v27, v35, 16, 7
	v_mov_b32_e32 v3, 0x7f800001
	s_mov_b32 s27, exec_lo
	s_delay_alu instid0(VALU_DEP_2)
	v_cmpx_ne_u32_e32 0x7f, v27
	s_cbranch_execz .LBB6_4908
; %bb.4905:                             ;   in Loop: Header=BB6_3974 Depth=2
	v_dual_lshrrev_b32 v3, 3, v27 :: v_dual_bitop2_b32 v86, 7, v26 bitop3:0x40
	s_mov_b32 s28, exec_lo
	v_cmpx_gt_u32_e32 8, v27
; %bb.4906:                             ;   in Loop: Header=BB6_3974 Depth=2
	s_delay_alu instid0(VALU_DEP_2) | instskip(NEXT) | instid1(VALU_DEP_1)
	v_clz_i32_u32_e32 v3, v86
	v_min_u32_e32 v3, 32, v3
	s_delay_alu instid0(VALU_DEP_1) | instskip(NEXT) | instid1(VALU_DEP_1)
	v_subrev_nc_u32_e32 v27, 28, v3
	v_lshlrev_b64_e32 v[32:33], v27, v[86:87]
	s_delay_alu instid0(VALU_DEP_1)
	v_dual_sub_nc_u32 v3, 29, v3 :: v_dual_bitop2_b32 v86, 7, v32 bitop3:0x40
; %bb.4907:                             ;   in Loop: Header=BB6_3974 Depth=2
	s_or_b32 exec_lo, exec_lo, s28
	v_lshlrev_b32_e32 v26, 24, v26
	s_delay_alu instid0(VALU_DEP_2) | instskip(NEXT) | instid1(VALU_DEP_3)
	v_lshlrev_b32_e32 v27, 20, v86
	v_lshl_add_u32 v3, v3, 23, 0x3c000000
	s_delay_alu instid0(VALU_DEP_3) | instskip(NEXT) | instid1(VALU_DEP_1)
	v_and_b32_e32 v26, 0x80000000, v26
	v_or3_b32 v3, v27, v26, v3
.LBB6_4908:                             ;   in Loop: Header=BB6_3974 Depth=2
	s_or_b32 exec_lo, exec_lo, s27
.LBB6_4909:                             ;   in Loop: Header=BB6_3974 Depth=2
	s_delay_alu instid0(SALU_CYCLE_1)
	s_or_b32 exec_lo, exec_lo, s26
.LBB6_4910:                             ;   in Loop: Header=BB6_3974 Depth=2
	s_delay_alu instid0(SALU_CYCLE_1) | instskip(SKIP_2) | instid1(VALU_DEP_1)
	s_or_b32 exec_lo, exec_lo, s7
	v_lshrrev_b32_e32 v26, 16, v29
	s_mov_b32 s7, exec_lo
	v_and_b32_e32 v27, 0xff, v26
	s_delay_alu instid0(VALU_DEP_1)
	v_cmpx_ne_u16_e32 0, v27
	s_cbranch_execz .LBB6_4918
; %bb.4911:                             ;   in Loop: Header=BB6_3974 Depth=2
	v_bfrev_b32_e32 v2, 1
	s_mov_b32 s26, exec_lo
	v_cmpx_ne_u16_e32 0x80, v27
	s_cbranch_execz .LBB6_4917
; %bb.4912:                             ;   in Loop: Header=BB6_3974 Depth=2
	v_bfe_u32 v27, v29, 16, 7
	v_mov_b32_e32 v2, 0x7f800001
	s_mov_b32 s27, exec_lo
	s_delay_alu instid0(VALU_DEP_2)
	v_cmpx_ne_u32_e32 0x7f, v27
	s_cbranch_execz .LBB6_4916
; %bb.4913:                             ;   in Loop: Header=BB6_3974 Depth=2
	v_dual_lshrrev_b32 v2, 3, v27 :: v_dual_bitop2_b32 v86, 7, v26 bitop3:0x40
	s_mov_b32 s28, exec_lo
	v_cmpx_gt_u32_e32 8, v27
; %bb.4914:                             ;   in Loop: Header=BB6_3974 Depth=2
	s_delay_alu instid0(VALU_DEP_2) | instskip(NEXT) | instid1(VALU_DEP_1)
	v_clz_i32_u32_e32 v2, v86
	v_min_u32_e32 v2, 32, v2
	s_delay_alu instid0(VALU_DEP_1) | instskip(SKIP_1) | instid1(VALU_DEP_2)
	v_subrev_nc_u32_e32 v26, 28, v2
	v_sub_nc_u32_e32 v2, 29, v2
	v_lshlrev_b64_e32 v[26:27], v26, v[86:87]
	s_delay_alu instid0(VALU_DEP_1)
	v_and_b32_e32 v86, 7, v26
; %bb.4915:                             ;   in Loop: Header=BB6_3974 Depth=2
	s_or_b32 exec_lo, exec_lo, s28
	s_delay_alu instid0(VALU_DEP_1) | instskip(SKIP_1) | instid1(VALU_DEP_2)
	v_dual_lshlrev_b32 v26, 8, v29 :: v_dual_lshlrev_b32 v27, 20, v86
	v_lshl_add_u32 v2, v2, 23, 0x3c000000
	v_and_b32_e32 v26, 0x80000000, v26
	s_delay_alu instid0(VALU_DEP_1)
	v_or3_b32 v2, v27, v26, v2
.LBB6_4916:                             ;   in Loop: Header=BB6_3974 Depth=2
	s_or_b32 exec_lo, exec_lo, s27
.LBB6_4917:                             ;   in Loop: Header=BB6_3974 Depth=2
	s_delay_alu instid0(SALU_CYCLE_1)
	s_or_b32 exec_lo, exec_lo, s26
.LBB6_4918:                             ;   in Loop: Header=BB6_3974 Depth=2
	s_delay_alu instid0(SALU_CYCLE_1) | instskip(NEXT) | instid1(VALU_DEP_1)
	s_or_b32 exec_lo, exec_lo, s7
	v_mul_f32_e32 v3, v3, v2
                                        ; implicit-def: $vgpr32
	s_mov_b32 s7, exec_lo
	s_delay_alu instid0(VALU_DEP_1) | instskip(SKIP_1) | instid1(VALU_DEP_2)
	v_and_b32_e32 v86, 0x7f800000, v3
	v_lshrrev_b32_e32 v2, 24, v3
	v_cmpx_ne_u64_e32 0x7f800000, v[86:87]
	s_xor_b32 s26, exec_lo, s7
	s_cbranch_execz .LBB6_4932
; %bb.4919:                             ;   in Loop: Header=BB6_3974 Depth=2
	v_and_b32_e32 v86, 0x7fffffff, v3
	v_and_b32_e32 v2, 0x80, v2
                                        ; implicit-def: $vgpr32
	s_mov_b32 s7, exec_lo
	s_delay_alu instid0(VALU_DEP_2)
	v_cmpx_gt_u64_e32 0x43e00001, v[86:87]
	s_xor_b32 s27, exec_lo, s7
	s_cbranch_execz .LBB6_4929
; %bb.4920:                             ;   in Loop: Header=BB6_3974 Depth=2
	v_mov_b32_e32 v32, 0
	s_mov_b32 s28, exec_lo
	v_cmpx_ne_u32_e32 0, v3
	s_cbranch_execz .LBB6_4928
; %bb.4921:                             ;   in Loop: Header=BB6_3974 Depth=2
	v_bfe_u32 v31, v3, 23, 8
	v_and_b32_e32 v3, 0x7fffff, v3
	s_delay_alu instid0(VALU_DEP_2) | instskip(SKIP_1) | instid1(VALU_DEP_3)
	v_sub_nc_u32_e32 v26, 0x79, v31
	v_cmp_gt_u32_e32 vcc_lo, 0x7a, v31
	v_or_b32_e32 v32, 0x800000, v3
	s_delay_alu instid0(VALU_DEP_3) | instskip(SKIP_1) | instid1(VALU_DEP_3)
	v_cndmask_b32_e32 v26, 0, v26, vcc_lo
	v_cmp_eq_u32_e32 vcc_lo, 0, v31
	v_cndmask_b32_e32 v86, v32, v3, vcc_lo
	s_delay_alu instid0(VALU_DEP_3) | instskip(NEXT) | instid1(VALU_DEP_1)
	v_cndmask_b32_e64 v54, v26, 0x78, vcc_lo
	v_dual_add_nc_u32 v26, 20, v54 :: v_dual_add_nc_u32 v33, 19, v54
	s_delay_alu instid0(VALU_DEP_1) | instskip(NEXT) | instid1(VALU_DEP_2)
	v_lshlrev_b64_e64 v[26:27], v26, -1
	v_lshlrev_b64_e64 v[32:33], v33, 1
	s_delay_alu instid0(VALU_DEP_2) | instskip(NEXT) | instid1(VALU_DEP_3)
	v_bfi_b32 v103, v27, 0, 0
	v_bfi_b32 v102, v26, 0, v86
	v_lshrrev_b64 v[26:27], v54, v[86:87]
	s_delay_alu instid0(VALU_DEP_2) | instskip(NEXT) | instid1(VALU_DEP_2)
	v_cmp_eq_u64_e64 s7, v[102:103], v[32:33]
	v_mov_b64_e32 v[32:33], v[26:27]
	s_and_saveexec_b32 s29, s7
; %bb.4922:                             ;   in Loop: Header=BB6_3974 Depth=2
	v_bfe_u32 v86, v26, 20, 1
	s_delay_alu instid0(VALU_DEP_1) | instskip(NEXT) | instid1(VALU_DEP_1)
	v_add_nc_u64_e32 v[32:33], v[26:27], v[86:87]
	v_add_nc_u64_e32 v[32:33], -1, v[32:33]
; %bb.4923:                             ;   in Loop: Header=BB6_3974 Depth=2
	s_or_b32 exec_lo, exec_lo, s29
	v_add_nc_u32_e32 v3, 0xffffff81, v31
	v_lshrrev_b32_e32 v27, 23, v26
	s_mov_b32 s7, exec_lo
	s_delay_alu instid0(VALU_DEP_2) | instskip(NEXT) | instid1(VALU_DEP_1)
	v_cndmask_b32_e64 v3, v3, 0xffffff82, vcc_lo
	v_add3_u32 v31, v54, v3, v27
	v_and_b32_e32 v3, 0xfffff, v32
	s_delay_alu instid0(VALU_DEP_1) | instskip(NEXT) | instid1(VALU_DEP_1)
	v_dual_add_nc_u32 v32, 6, v31 :: v_dual_add_nc_u32 v86, v3, v26
                                        ; implicit-def: $vgpr26_vgpr27
                                        ; implicit-def: $vgpr3
	v_cmpx_ne_u32_e32 0, v32
	s_xor_b32 s7, exec_lo, s7
; %bb.4924:                             ;   in Loop: Header=BB6_3974 Depth=2
	s_delay_alu instid0(VALU_DEP_2) | instskip(SKIP_2) | instid1(VALU_DEP_2)
	v_cmp_lt_u64_e32 vcc_lo, 0xffffff, v[86:87]
	v_add_nc_u32_e32 v3, 7, v31
	v_cndmask_b32_e64 v26, 0, 1, vcc_lo
	v_cndmask_b32_e32 v3, v32, v3, vcc_lo
	s_delay_alu instid0(VALU_DEP_2)
	v_lshrrev_b64 v[26:27], v26, v[86:87]
; %bb.4925:                             ;   in Loop: Header=BB6_3974 Depth=2
	s_and_not1_saveexec_b32 s7, s7
; %bb.4926:                             ;   in Loop: Header=BB6_3974 Depth=2
	v_mov_b64_e32 v[26:27], v[86:87]
	v_bfe_u32 v3, v86, 23, 1
; %bb.4927:                             ;   in Loop: Header=BB6_3974 Depth=2
	s_or_b32 exec_lo, exec_lo, s7
	s_delay_alu instid0(VALU_DEP_2) | instskip(NEXT) | instid1(VALU_DEP_2)
	v_lshrrev_b64 v[26:27], 20, v[26:27]
	v_cmp_gt_i32_e32 vcc_lo, 16, v3
	v_min_i32_e32 v31, 15, v3
	v_cmp_eq_u32_e64 s7, 0, v3
	s_delay_alu instid0(VALU_DEP_2) | instskip(SKIP_1) | instid1(VALU_DEP_2)
	v_dual_cndmask_b32 v26, 7, v26 :: v_dual_lshlrev_b32 v31, 3, v31
	v_cndmask_b32_e32 v27, 0, v27, vcc_lo
	v_and_b32_e32 v31, 0xf8, v31
	s_delay_alu instid0(VALU_DEP_2) | instskip(NEXT) | instid1(VALU_DEP_2)
	v_cmp_eq_u64_e32 vcc_lo, 0, v[26:27]
	v_and_or_b32 v3, v26, 7, v31
	s_and_b32 s7, s7, vcc_lo
	s_delay_alu instid0(VALU_DEP_1) | instid1(SALU_CYCLE_1)
	v_cndmask_b32_e64 v3, v3, 0, s7
	s_delay_alu instid0(VALU_DEP_1)
	v_or_b32_e32 v32, v3, v2
.LBB6_4928:                             ;   in Loop: Header=BB6_3974 Depth=2
	s_or_b32 exec_lo, exec_lo, s28
                                        ; implicit-def: $vgpr2
.LBB6_4929:                             ;   in Loop: Header=BB6_3974 Depth=2
	s_and_not1_saveexec_b32 s7, s27
; %bb.4930:                             ;   in Loop: Header=BB6_3974 Depth=2
	v_or_b32_e32 v32, 0x7e, v2
; %bb.4931:                             ;   in Loop: Header=BB6_3974 Depth=2
	s_or_b32 exec_lo, exec_lo, s7
                                        ; implicit-def: $vgpr2
.LBB6_4932:                             ;   in Loop: Header=BB6_3974 Depth=2
	s_and_not1_saveexec_b32 s7, s26
; %bb.4933:                             ;   in Loop: Header=BB6_3974 Depth=2
	v_or_b32_e32 v32, 0x7f, v2
; %bb.4934:                             ;   in Loop: Header=BB6_3974 Depth=2
	s_or_b32 exec_lo, exec_lo, s7
	v_dual_mov_b32 v2, 0 :: v_dual_mov_b32 v3, 0
	s_mov_b32 s7, exec_lo
	v_cmpx_lt_u64_e64 s[12:13], v[34:35]
	s_cbranch_execz .LBB6_4942
; %bb.4935:                             ;   in Loop: Header=BB6_3974 Depth=2
	v_lshrrev_b32_e32 v26, 24, v35
	v_bfrev_b32_e32 v3, 1
	s_mov_b32 s26, exec_lo
	s_delay_alu instid0(VALU_DEP_2)
	v_cmpx_ne_u32_e32 0x80, v26
	s_cbranch_execz .LBB6_4941
; %bb.4936:                             ;   in Loop: Header=BB6_3974 Depth=2
	v_bfe_u32 v27, v35, 24, 7
	v_mov_b32_e32 v3, 0x7f800001
	s_mov_b32 s27, exec_lo
	s_delay_alu instid0(VALU_DEP_2)
	v_cmpx_ne_u32_e32 0x7f, v27
	s_cbranch_execz .LBB6_4940
; %bb.4937:                             ;   in Loop: Header=BB6_3974 Depth=2
	v_dual_lshrrev_b32 v3, 3, v27 :: v_dual_bitop2_b32 v86, 7, v26 bitop3:0x40
	s_mov_b32 s28, exec_lo
	v_cmpx_gt_u32_e32 8, v27
; %bb.4938:                             ;   in Loop: Header=BB6_3974 Depth=2
	s_delay_alu instid0(VALU_DEP_2) | instskip(NEXT) | instid1(VALU_DEP_1)
	v_clz_i32_u32_e32 v3, v86
	v_min_u32_e32 v3, 32, v3
	s_delay_alu instid0(VALU_DEP_1) | instskip(NEXT) | instid1(VALU_DEP_1)
	v_subrev_nc_u32_e32 v27, 28, v3
	v_lshlrev_b64_e32 v[34:35], v27, v[86:87]
	s_delay_alu instid0(VALU_DEP_1)
	v_dual_sub_nc_u32 v3, 29, v3 :: v_dual_bitop2_b32 v86, 7, v34 bitop3:0x40
; %bb.4939:                             ;   in Loop: Header=BB6_3974 Depth=2
	s_or_b32 exec_lo, exec_lo, s28
	v_lshlrev_b32_e32 v26, 24, v26
	s_delay_alu instid0(VALU_DEP_2) | instskip(NEXT) | instid1(VALU_DEP_3)
	v_lshlrev_b32_e32 v27, 20, v86
	v_lshl_add_u32 v3, v3, 23, 0x3c000000
	s_delay_alu instid0(VALU_DEP_3) | instskip(NEXT) | instid1(VALU_DEP_1)
	v_and_b32_e32 v26, 0x80000000, v26
	v_or3_b32 v3, v27, v26, v3
.LBB6_4940:                             ;   in Loop: Header=BB6_3974 Depth=2
	s_or_b32 exec_lo, exec_lo, s27
.LBB6_4941:                             ;   in Loop: Header=BB6_3974 Depth=2
	s_delay_alu instid0(SALU_CYCLE_1)
	s_or_b32 exec_lo, exec_lo, s26
.LBB6_4942:                             ;   in Loop: Header=BB6_3974 Depth=2
	s_delay_alu instid0(SALU_CYCLE_1) | instskip(NEXT) | instid1(SALU_CYCLE_1)
	s_or_b32 exec_lo, exec_lo, s7
	s_mov_b32 s7, exec_lo
	v_cmpx_lt_u64_e64 s[12:13], v[28:29]
	s_cbranch_execz .LBB6_4950
; %bb.4943:                             ;   in Loop: Header=BB6_3974 Depth=2
	v_lshrrev_b32_e32 v26, 24, v29
	v_bfrev_b32_e32 v2, 1
	s_mov_b32 s26, exec_lo
	s_delay_alu instid0(VALU_DEP_2)
	v_cmpx_ne_u32_e32 0x80, v26
	s_cbranch_execz .LBB6_4949
; %bb.4944:                             ;   in Loop: Header=BB6_3974 Depth=2
	v_bfe_u32 v27, v29, 24, 7
	v_mov_b32_e32 v2, 0x7f800001
	s_mov_b32 s27, exec_lo
	s_delay_alu instid0(VALU_DEP_2)
	v_cmpx_ne_u32_e32 0x7f, v27
	s_cbranch_execz .LBB6_4948
; %bb.4945:                             ;   in Loop: Header=BB6_3974 Depth=2
	v_dual_lshrrev_b32 v2, 3, v27 :: v_dual_bitop2_b32 v86, 7, v26 bitop3:0x40
	s_mov_b32 s28, exec_lo
	v_cmpx_gt_u32_e32 8, v27
; %bb.4946:                             ;   in Loop: Header=BB6_3974 Depth=2
	s_delay_alu instid0(VALU_DEP_2) | instskip(NEXT) | instid1(VALU_DEP_1)
	v_clz_i32_u32_e32 v2, v86
	v_min_u32_e32 v2, 32, v2
	s_delay_alu instid0(VALU_DEP_1) | instskip(NEXT) | instid1(VALU_DEP_1)
	v_subrev_nc_u32_e32 v27, 28, v2
	v_lshlrev_b64_e32 v[28:29], v27, v[86:87]
	s_delay_alu instid0(VALU_DEP_1)
	v_dual_sub_nc_u32 v2, 29, v2 :: v_dual_bitop2_b32 v86, 7, v28 bitop3:0x40
; %bb.4947:                             ;   in Loop: Header=BB6_3974 Depth=2
	s_or_b32 exec_lo, exec_lo, s28
	v_lshlrev_b32_e32 v26, 24, v26
	s_delay_alu instid0(VALU_DEP_2) | instskip(NEXT) | instid1(VALU_DEP_3)
	v_lshlrev_b32_e32 v27, 20, v86
	v_lshl_add_u32 v2, v2, 23, 0x3c000000
	s_delay_alu instid0(VALU_DEP_3) | instskip(NEXT) | instid1(VALU_DEP_1)
	v_and_b32_e32 v26, 0x80000000, v26
	v_or3_b32 v2, v27, v26, v2
.LBB6_4948:                             ;   in Loop: Header=BB6_3974 Depth=2
	s_or_b32 exec_lo, exec_lo, s27
.LBB6_4949:                             ;   in Loop: Header=BB6_3974 Depth=2
	s_delay_alu instid0(SALU_CYCLE_1)
	s_or_b32 exec_lo, exec_lo, s26
.LBB6_4950:                             ;   in Loop: Header=BB6_3974 Depth=2
	s_delay_alu instid0(SALU_CYCLE_1) | instskip(NEXT) | instid1(VALU_DEP_1)
	s_or_b32 exec_lo, exec_lo, s7
	v_mul_f32_e32 v3, v3, v2
                                        ; implicit-def: $vgpr33
	s_mov_b32 s7, exec_lo
	s_delay_alu instid0(VALU_DEP_1) | instskip(SKIP_1) | instid1(VALU_DEP_2)
	v_and_b32_e32 v86, 0x7f800000, v3
	v_lshrrev_b32_e32 v2, 24, v3
	v_cmpx_ne_u64_e32 0x7f800000, v[86:87]
	s_xor_b32 s26, exec_lo, s7
	s_cbranch_execz .LBB6_4964
; %bb.4951:                             ;   in Loop: Header=BB6_3974 Depth=2
	v_and_b32_e32 v86, 0x7fffffff, v3
	v_and_b32_e32 v2, 0x80, v2
                                        ; implicit-def: $vgpr33
	s_mov_b32 s7, exec_lo
	s_delay_alu instid0(VALU_DEP_2)
	v_cmpx_gt_u64_e32 0x43e00001, v[86:87]
	s_xor_b32 s27, exec_lo, s7
	s_cbranch_execz .LBB6_4961
; %bb.4952:                             ;   in Loop: Header=BB6_3974 Depth=2
	v_mov_b32_e32 v33, 0
	s_mov_b32 s28, exec_lo
	v_cmpx_ne_u32_e32 0, v3
	s_cbranch_execz .LBB6_4960
; %bb.4953:                             ;   in Loop: Header=BB6_3974 Depth=2
	v_bfe_u32 v31, v3, 23, 8
	v_and_b32_e32 v3, 0x7fffff, v3
	s_delay_alu instid0(VALU_DEP_2) | instskip(SKIP_1) | instid1(VALU_DEP_3)
	v_sub_nc_u32_e32 v26, 0x79, v31
	v_cmp_gt_u32_e32 vcc_lo, 0x7a, v31
	v_or_b32_e32 v28, 0x800000, v3
	s_delay_alu instid0(VALU_DEP_3) | instskip(SKIP_1) | instid1(VALU_DEP_2)
	v_cndmask_b32_e32 v26, 0, v26, vcc_lo
	v_cmp_eq_u32_e32 vcc_lo, 0, v31
	v_cndmask_b32_e64 v33, v26, 0x78, vcc_lo
	s_delay_alu instid0(VALU_DEP_1) | instskip(SKIP_1) | instid1(VALU_DEP_2)
	v_dual_cndmask_b32 v86, v28, v3, vcc_lo :: v_dual_add_nc_u32 v26, 20, v33
	v_add_nc_u32_e32 v29, 19, v33
	v_lshlrev_b64_e64 v[26:27], v26, -1
	s_delay_alu instid0(VALU_DEP_2) | instskip(NEXT) | instid1(VALU_DEP_2)
	v_lshlrev_b64_e64 v[28:29], v29, 1
	v_bfi_b32 v35, v27, 0, 0
	s_delay_alu instid0(VALU_DEP_3) | instskip(SKIP_1) | instid1(VALU_DEP_2)
	v_bfi_b32 v34, v26, 0, v86
	v_lshrrev_b64 v[26:27], v33, v[86:87]
	v_cmp_eq_u64_e64 s7, v[34:35], v[28:29]
	s_delay_alu instid0(VALU_DEP_2)
	v_mov_b64_e32 v[28:29], v[26:27]
	s_and_saveexec_b32 s29, s7
; %bb.4954:                             ;   in Loop: Header=BB6_3974 Depth=2
	v_bfe_u32 v86, v26, 20, 1
	s_delay_alu instid0(VALU_DEP_1) | instskip(NEXT) | instid1(VALU_DEP_1)
	v_add_nc_u64_e32 v[28:29], v[26:27], v[86:87]
	v_add_nc_u64_e32 v[28:29], -1, v[28:29]
; %bb.4955:                             ;   in Loop: Header=BB6_3974 Depth=2
	s_or_b32 exec_lo, exec_lo, s29
	v_add_nc_u32_e32 v3, 0xffffff81, v31
	v_lshrrev_b32_e32 v27, 23, v26
	s_mov_b32 s7, exec_lo
	s_delay_alu instid0(VALU_DEP_2) | instskip(NEXT) | instid1(VALU_DEP_1)
	v_cndmask_b32_e64 v3, v3, 0xffffff82, vcc_lo
	v_add3_u32 v29, v33, v3, v27
	v_and_b32_e32 v3, 0xfffff, v28
	s_delay_alu instid0(VALU_DEP_1) | instskip(NEXT) | instid1(VALU_DEP_1)
	v_dual_add_nc_u32 v28, 6, v29 :: v_dual_add_nc_u32 v86, v3, v26
                                        ; implicit-def: $vgpr26_vgpr27
                                        ; implicit-def: $vgpr3
	v_cmpx_ne_u32_e32 0, v28
	s_xor_b32 s7, exec_lo, s7
; %bb.4956:                             ;   in Loop: Header=BB6_3974 Depth=2
	s_delay_alu instid0(VALU_DEP_2) | instskip(SKIP_2) | instid1(VALU_DEP_2)
	v_cmp_lt_u64_e32 vcc_lo, 0xffffff, v[86:87]
	v_add_nc_u32_e32 v3, 7, v29
	v_cndmask_b32_e64 v26, 0, 1, vcc_lo
	v_cndmask_b32_e32 v3, v28, v3, vcc_lo
	s_delay_alu instid0(VALU_DEP_2)
	v_lshrrev_b64 v[26:27], v26, v[86:87]
; %bb.4957:                             ;   in Loop: Header=BB6_3974 Depth=2
	s_and_not1_saveexec_b32 s7, s7
; %bb.4958:                             ;   in Loop: Header=BB6_3974 Depth=2
	v_mov_b64_e32 v[26:27], v[86:87]
	v_bfe_u32 v3, v86, 23, 1
; %bb.4959:                             ;   in Loop: Header=BB6_3974 Depth=2
	s_or_b32 exec_lo, exec_lo, s7
	s_delay_alu instid0(VALU_DEP_2) | instskip(NEXT) | instid1(VALU_DEP_2)
	v_lshrrev_b64 v[26:27], 20, v[26:27]
	v_cmp_gt_i32_e32 vcc_lo, 16, v3
	v_min_i32_e32 v28, 15, v3
	v_cmp_eq_u32_e64 s7, 0, v3
	s_delay_alu instid0(VALU_DEP_2) | instskip(SKIP_1) | instid1(VALU_DEP_2)
	v_dual_cndmask_b32 v26, 7, v26, vcc_lo :: v_dual_lshlrev_b32 v28, 3, v28
	v_cndmask_b32_e32 v27, 0, v27, vcc_lo
	v_and_b32_e32 v28, 0xf8, v28
	s_delay_alu instid0(VALU_DEP_2) | instskip(NEXT) | instid1(VALU_DEP_2)
	v_cmp_eq_u64_e32 vcc_lo, 0, v[26:27]
	v_and_or_b32 v3, v26, 7, v28
	s_and_b32 s7, s7, vcc_lo
	s_delay_alu instid0(VALU_DEP_1) | instid1(SALU_CYCLE_1)
	v_cndmask_b32_e64 v3, v3, 0, s7
	s_delay_alu instid0(VALU_DEP_1)
	v_or_b32_e32 v33, v3, v2
.LBB6_4960:                             ;   in Loop: Header=BB6_3974 Depth=2
	s_or_b32 exec_lo, exec_lo, s28
                                        ; implicit-def: $vgpr2
.LBB6_4961:                             ;   in Loop: Header=BB6_3974 Depth=2
	s_and_not1_saveexec_b32 s7, s27
; %bb.4962:                             ;   in Loop: Header=BB6_3974 Depth=2
	v_or_b32_e32 v33, 0x7e, v2
; %bb.4963:                             ;   in Loop: Header=BB6_3974 Depth=2
	s_or_b32 exec_lo, exec_lo, s7
                                        ; implicit-def: $vgpr2
.LBB6_4964:                             ;   in Loop: Header=BB6_3974 Depth=2
	s_and_not1_saveexec_b32 s7, s26
; %bb.4965:                             ;   in Loop: Header=BB6_3974 Depth=2
	v_or_b32_e32 v33, 0x7f, v2
; %bb.4966:                             ;   in Loop: Header=BB6_3974 Depth=2
	s_or_b32 exec_lo, exec_lo, s7
	v_and_b32_e32 v26, 0xff, v22
	v_dual_mov_b32 v2, 0 :: v_dual_mov_b32 v3, 0
	s_mov_b32 s7, exec_lo
	s_delay_alu instid0(VALU_DEP_2)
	v_cmpx_ne_u16_e32 0, v26
	s_cbranch_execz .LBB6_4972
; %bb.4967:                             ;   in Loop: Header=BB6_3974 Depth=2
	v_bfrev_b32_e32 v3, 1
	s_mov_b32 s26, exec_lo
	v_cmpx_ne_u16_e32 0x80, v26
	s_cbranch_execz .LBB6_4971
; %bb.4968:                             ;   in Loop: Header=BB6_3974 Depth=2
	v_and_b32_e32 v26, 0x7f, v22
	v_mov_b32_e32 v3, 0x7f800001
	s_mov_b32 s27, exec_lo
	s_delay_alu instid0(VALU_DEP_2)
	v_cmpx_ne_u32_e32 0x7f, v26
	s_cbranch_execz .LBB6_4970
; %bb.4969:                             ;   in Loop: Header=BB6_3974 Depth=2
	v_cmp_gt_u32_e32 vcc_lo, 8, v26
	v_and_b32_e32 v3, 7, v22
	s_delay_alu instid0(VALU_DEP_1) | instskip(NEXT) | instid1(VALU_DEP_1)
	v_clz_i32_u32_e32 v3, v3
	v_min_u32_e32 v3, 32, v3
	v_lshrrev_b32_e32 v27, 3, v26
	s_delay_alu instid0(VALU_DEP_2) | instskip(NEXT) | instid1(VALU_DEP_1)
	v_subrev_nc_u32_e32 v28, 28, v3
	v_dual_cndmask_b32 v26, 0, v28 :: v_dual_sub_nc_u32 v3, 29, v3
	s_delay_alu instid0(VALU_DEP_1) | instskip(NEXT) | instid1(VALU_DEP_2)
	v_cndmask_b32_e32 v3, v27, v3, vcc_lo
	v_lshlrev_b64_e32 v[26:27], v26, v[22:23]
	v_lshlrev_b32_e32 v27, 24, v22
	s_delay_alu instid0(VALU_DEP_3) | instskip(NEXT) | instid1(VALU_DEP_2)
	v_lshl_add_u32 v3, v3, 23, 0x3c000000
	v_and_b32_e32 v27, 0x80000000, v27
	s_delay_alu instid0(VALU_DEP_4) | instskip(NEXT) | instid1(VALU_DEP_1)
	v_lshlrev_b32_e32 v26, 20, v26
	v_and_b32_e32 v26, 0x700000, v26
	s_delay_alu instid0(VALU_DEP_1)
	v_or3_b32 v3, v26, v27, v3
.LBB6_4970:                             ;   in Loop: Header=BB6_3974 Depth=2
	s_or_b32 exec_lo, exec_lo, s27
.LBB6_4971:                             ;   in Loop: Header=BB6_3974 Depth=2
	s_delay_alu instid0(SALU_CYCLE_1)
	s_or_b32 exec_lo, exec_lo, s26
.LBB6_4972:                             ;   in Loop: Header=BB6_3974 Depth=2
	s_delay_alu instid0(SALU_CYCLE_1) | instskip(SKIP_3) | instid1(VALU_DEP_1)
	s_or_b32 exec_lo, exec_lo, s7
	s_wait_loadcnt 0x1
	v_and_b32_e32 v26, 0xff, v18
	s_mov_b32 s7, exec_lo
	v_cmpx_ne_u16_e32 0, v26
	s_cbranch_execz .LBB6_4978
; %bb.4973:                             ;   in Loop: Header=BB6_3974 Depth=2
	v_bfrev_b32_e32 v2, 1
	s_mov_b32 s26, exec_lo
	v_cmpx_ne_u16_e32 0x80, v26
	s_cbranch_execz .LBB6_4977
; %bb.4974:                             ;   in Loop: Header=BB6_3974 Depth=2
	v_and_b32_e32 v26, 0x7f, v18
	v_mov_b32_e32 v2, 0x7f800001
	s_mov_b32 s27, exec_lo
	s_delay_alu instid0(VALU_DEP_2)
	v_cmpx_ne_u32_e32 0x7f, v26
	s_cbranch_execz .LBB6_4976
; %bb.4975:                             ;   in Loop: Header=BB6_3974 Depth=2
	v_cmp_gt_u32_e32 vcc_lo, 8, v26
	v_and_b32_e32 v2, 7, v18
	v_lshrrev_b32_e32 v27, 3, v26
	s_delay_alu instid0(VALU_DEP_2) | instskip(NEXT) | instid1(VALU_DEP_1)
	v_clz_i32_u32_e32 v2, v2
	v_min_u32_e32 v2, 32, v2
	s_delay_alu instid0(VALU_DEP_1) | instskip(NEXT) | instid1(VALU_DEP_1)
	v_subrev_nc_u32_e32 v28, 28, v2
	v_dual_sub_nc_u32 v2, 29, v2 :: v_dual_cndmask_b32 v26, 0, v28, vcc_lo
	s_delay_alu instid0(VALU_DEP_1) | instskip(NEXT) | instid1(VALU_DEP_2)
	v_cndmask_b32_e32 v2, v27, v2, vcc_lo
	v_lshlrev_b64_e32 v[26:27], v26, v[18:19]
	v_lshlrev_b32_e32 v27, 24, v18
	s_delay_alu instid0(VALU_DEP_3) | instskip(NEXT) | instid1(VALU_DEP_2)
	v_lshl_add_u32 v2, v2, 23, 0x3c000000
	v_and_b32_e32 v27, 0x80000000, v27
	s_delay_alu instid0(VALU_DEP_4) | instskip(NEXT) | instid1(VALU_DEP_1)
	v_lshlrev_b32_e32 v26, 20, v26
	v_and_b32_e32 v26, 0x700000, v26
	s_delay_alu instid0(VALU_DEP_1)
	v_or3_b32 v2, v26, v27, v2
.LBB6_4976:                             ;   in Loop: Header=BB6_3974 Depth=2
	s_or_b32 exec_lo, exec_lo, s27
.LBB6_4977:                             ;   in Loop: Header=BB6_3974 Depth=2
	s_delay_alu instid0(SALU_CYCLE_1)
	s_or_b32 exec_lo, exec_lo, s26
.LBB6_4978:                             ;   in Loop: Header=BB6_3974 Depth=2
	s_delay_alu instid0(SALU_CYCLE_1) | instskip(NEXT) | instid1(VALU_DEP_1)
	s_or_b32 exec_lo, exec_lo, s7
	v_mul_f32_e32 v3, v3, v2
                                        ; implicit-def: $vgpr34
	s_mov_b32 s7, exec_lo
	s_delay_alu instid0(VALU_DEP_1) | instskip(SKIP_1) | instid1(VALU_DEP_2)
	v_and_b32_e32 v86, 0x7f800000, v3
	v_lshrrev_b32_e32 v2, 24, v3
	v_cmpx_ne_u64_e32 0x7f800000, v[86:87]
	s_xor_b32 s26, exec_lo, s7
	s_cbranch_execz .LBB6_4992
; %bb.4979:                             ;   in Loop: Header=BB6_3974 Depth=2
	v_and_b32_e32 v86, 0x7fffffff, v3
	v_and_b32_e32 v2, 0x80, v2
                                        ; implicit-def: $vgpr34
	s_mov_b32 s7, exec_lo
	s_delay_alu instid0(VALU_DEP_2)
	v_cmpx_gt_u64_e32 0x43e00001, v[86:87]
	s_xor_b32 s27, exec_lo, s7
	s_cbranch_execz .LBB6_4989
; %bb.4980:                             ;   in Loop: Header=BB6_3974 Depth=2
	v_mov_b32_e32 v34, 0
	s_mov_b32 s28, exec_lo
	v_cmpx_ne_u32_e32 0, v3
	s_cbranch_execz .LBB6_4988
; %bb.4981:                             ;   in Loop: Header=BB6_3974 Depth=2
	v_bfe_u32 v31, v3, 23, 8
	v_and_b32_e32 v3, 0x7fffff, v3
	s_delay_alu instid0(VALU_DEP_2) | instskip(SKIP_1) | instid1(VALU_DEP_3)
	v_sub_nc_u32_e32 v26, 0x79, v31
	v_cmp_gt_u32_e32 vcc_lo, 0x7a, v31
	v_or_b32_e32 v28, 0x800000, v3
	s_delay_alu instid0(VALU_DEP_3) | instskip(SKIP_1) | instid1(VALU_DEP_3)
	v_cndmask_b32_e32 v26, 0, v26, vcc_lo
	v_cmp_eq_u32_e32 vcc_lo, 0, v31
	v_cndmask_b32_e32 v86, v28, v3, vcc_lo
	s_delay_alu instid0(VALU_DEP_3) | instskip(NEXT) | instid1(VALU_DEP_1)
	v_cndmask_b32_e64 v34, v26, 0x78, vcc_lo
	v_dual_add_nc_u32 v26, 20, v34 :: v_dual_add_nc_u32 v29, 19, v34
	s_delay_alu instid0(VALU_DEP_1) | instskip(NEXT) | instid1(VALU_DEP_2)
	v_lshlrev_b64_e64 v[26:27], v26, -1
	v_lshlrev_b64_e64 v[28:29], v29, 1
	s_delay_alu instid0(VALU_DEP_2) | instskip(NEXT) | instid1(VALU_DEP_3)
	v_bfi_b32 v55, v27, 0, 0
	v_bfi_b32 v54, v26, 0, v86
	v_lshrrev_b64 v[26:27], v34, v[86:87]
	s_delay_alu instid0(VALU_DEP_2) | instskip(NEXT) | instid1(VALU_DEP_2)
	v_cmp_eq_u64_e64 s7, v[54:55], v[28:29]
	v_mov_b64_e32 v[28:29], v[26:27]
	s_and_saveexec_b32 s29, s7
; %bb.4982:                             ;   in Loop: Header=BB6_3974 Depth=2
	v_bfe_u32 v86, v26, 20, 1
	s_delay_alu instid0(VALU_DEP_1) | instskip(NEXT) | instid1(VALU_DEP_1)
	v_add_nc_u64_e32 v[28:29], v[26:27], v[86:87]
	v_add_nc_u64_e32 v[28:29], -1, v[28:29]
; %bb.4983:                             ;   in Loop: Header=BB6_3974 Depth=2
	s_or_b32 exec_lo, exec_lo, s29
	v_add_nc_u32_e32 v3, 0xffffff81, v31
	v_lshrrev_b32_e32 v27, 23, v26
	s_mov_b32 s7, exec_lo
	s_delay_alu instid0(VALU_DEP_2) | instskip(NEXT) | instid1(VALU_DEP_1)
	v_cndmask_b32_e64 v3, v3, 0xffffff82, vcc_lo
	v_add3_u32 v29, v34, v3, v27
	v_and_b32_e32 v3, 0xfffff, v28
	s_delay_alu instid0(VALU_DEP_1) | instskip(NEXT) | instid1(VALU_DEP_1)
	v_dual_add_nc_u32 v28, 6, v29 :: v_dual_add_nc_u32 v86, v3, v26
                                        ; implicit-def: $vgpr26_vgpr27
                                        ; implicit-def: $vgpr3
	v_cmpx_ne_u32_e32 0, v28
	s_xor_b32 s7, exec_lo, s7
; %bb.4984:                             ;   in Loop: Header=BB6_3974 Depth=2
	s_delay_alu instid0(VALU_DEP_2) | instskip(SKIP_2) | instid1(VALU_DEP_2)
	v_cmp_lt_u64_e32 vcc_lo, 0xffffff, v[86:87]
	v_add_nc_u32_e32 v3, 7, v29
	v_cndmask_b32_e64 v26, 0, 1, vcc_lo
	v_cndmask_b32_e32 v3, v28, v3, vcc_lo
	s_delay_alu instid0(VALU_DEP_2)
	v_lshrrev_b64 v[26:27], v26, v[86:87]
; %bb.4985:                             ;   in Loop: Header=BB6_3974 Depth=2
	s_and_not1_saveexec_b32 s7, s7
; %bb.4986:                             ;   in Loop: Header=BB6_3974 Depth=2
	v_mov_b64_e32 v[26:27], v[86:87]
	v_bfe_u32 v3, v86, 23, 1
; %bb.4987:                             ;   in Loop: Header=BB6_3974 Depth=2
	s_or_b32 exec_lo, exec_lo, s7
	s_delay_alu instid0(VALU_DEP_2) | instskip(NEXT) | instid1(VALU_DEP_2)
	v_lshrrev_b64 v[26:27], 20, v[26:27]
	v_cmp_gt_i32_e32 vcc_lo, 16, v3
	v_min_i32_e32 v28, 15, v3
	v_cmp_eq_u32_e64 s7, 0, v3
	s_delay_alu instid0(VALU_DEP_2) | instskip(SKIP_1) | instid1(VALU_DEP_2)
	v_dual_cndmask_b32 v26, 7, v26, vcc_lo :: v_dual_lshlrev_b32 v28, 3, v28
	v_cndmask_b32_e32 v27, 0, v27, vcc_lo
	v_and_b32_e32 v28, 0xf8, v28
	s_delay_alu instid0(VALU_DEP_2) | instskip(NEXT) | instid1(VALU_DEP_2)
	v_cmp_eq_u64_e32 vcc_lo, 0, v[26:27]
	v_and_or_b32 v3, v26, 7, v28
	s_and_b32 s7, s7, vcc_lo
	s_delay_alu instid0(VALU_DEP_1) | instid1(SALU_CYCLE_1)
	v_cndmask_b32_e64 v3, v3, 0, s7
	s_delay_alu instid0(VALU_DEP_1)
	v_or_b32_e32 v34, v3, v2
.LBB6_4988:                             ;   in Loop: Header=BB6_3974 Depth=2
	s_or_b32 exec_lo, exec_lo, s28
                                        ; implicit-def: $vgpr2
.LBB6_4989:                             ;   in Loop: Header=BB6_3974 Depth=2
	s_and_not1_saveexec_b32 s7, s27
; %bb.4990:                             ;   in Loop: Header=BB6_3974 Depth=2
	v_or_b32_e32 v34, 0x7e, v2
; %bb.4991:                             ;   in Loop: Header=BB6_3974 Depth=2
	s_or_b32 exec_lo, exec_lo, s7
                                        ; implicit-def: $vgpr2
.LBB6_4992:                             ;   in Loop: Header=BB6_3974 Depth=2
	s_and_not1_saveexec_b32 s7, s26
; %bb.4993:                             ;   in Loop: Header=BB6_3974 Depth=2
	v_or_b32_e32 v34, 0x7f, v2
; %bb.4994:                             ;   in Loop: Header=BB6_3974 Depth=2
	s_or_b32 exec_lo, exec_lo, s7
	v_lshrrev_b16 v26, 8, v22
	v_dual_mov_b32 v2, 0 :: v_dual_mov_b32 v3, 0
	s_mov_b32 s7, exec_lo
	s_delay_alu instid0(VALU_DEP_2)
	v_cmpx_ne_u16_e32 0, v26
	s_cbranch_execz .LBB6_5002
; %bb.4995:                             ;   in Loop: Header=BB6_3974 Depth=2
	v_bfrev_b32_e32 v3, 1
	s_mov_b32 s26, exec_lo
	v_cmpx_ne_u16_e32 0x80, v26
	s_cbranch_execz .LBB6_5001
; %bb.4996:                             ;   in Loop: Header=BB6_3974 Depth=2
	v_and_b32_e32 v27, 0xffff, v26
	v_mov_b32_e32 v3, 0x7f800001
	s_mov_b32 s27, exec_lo
	s_delay_alu instid0(VALU_DEP_2) | instskip(NEXT) | instid1(VALU_DEP_1)
	v_and_b32_e32 v26, 0x7f, v27
	v_cmpx_ne_u32_e32 0x7f, v26
	s_cbranch_execz .LBB6_5000
; %bb.4997:                             ;   in Loop: Header=BB6_3974 Depth=2
	v_dual_lshrrev_b32 v3, 3, v26 :: v_dual_bitop2_b32 v86, 7, v27 bitop3:0x40
	s_mov_b32 s28, exec_lo
	v_cmpx_gt_u32_e32 8, v26
; %bb.4998:                             ;   in Loop: Header=BB6_3974 Depth=2
	s_delay_alu instid0(VALU_DEP_2) | instskip(NEXT) | instid1(VALU_DEP_1)
	v_clz_i32_u32_e32 v3, v86
	v_min_u32_e32 v3, 32, v3
	s_delay_alu instid0(VALU_DEP_1) | instskip(NEXT) | instid1(VALU_DEP_1)
	v_subrev_nc_u32_e32 v26, 28, v3
	v_lshlrev_b64_e32 v[26:27], v26, v[86:87]
	s_delay_alu instid0(VALU_DEP_1)
	v_dual_sub_nc_u32 v3, 29, v3 :: v_dual_bitop2_b32 v86, 7, v26 bitop3:0x40
; %bb.4999:                             ;   in Loop: Header=BB6_3974 Depth=2
	s_or_b32 exec_lo, exec_lo, s28
	v_lshlrev_b32_e32 v26, 16, v22
	s_delay_alu instid0(VALU_DEP_2) | instskip(NEXT) | instid1(VALU_DEP_3)
	v_lshlrev_b32_e32 v27, 20, v86
	v_lshl_add_u32 v3, v3, 23, 0x3c000000
	s_delay_alu instid0(VALU_DEP_3) | instskip(NEXT) | instid1(VALU_DEP_1)
	v_and_b32_e32 v26, 0x80000000, v26
	v_or3_b32 v3, v27, v26, v3
.LBB6_5000:                             ;   in Loop: Header=BB6_3974 Depth=2
	s_or_b32 exec_lo, exec_lo, s27
.LBB6_5001:                             ;   in Loop: Header=BB6_3974 Depth=2
	s_delay_alu instid0(SALU_CYCLE_1)
	s_or_b32 exec_lo, exec_lo, s26
.LBB6_5002:                             ;   in Loop: Header=BB6_3974 Depth=2
	s_delay_alu instid0(SALU_CYCLE_1) | instskip(SKIP_2) | instid1(VALU_DEP_1)
	s_or_b32 exec_lo, exec_lo, s7
	v_lshrrev_b16 v26, 8, v18
	s_mov_b32 s7, exec_lo
	v_cmpx_ne_u16_e32 0, v26
	s_cbranch_execz .LBB6_5010
; %bb.5003:                             ;   in Loop: Header=BB6_3974 Depth=2
	v_bfrev_b32_e32 v2, 1
	s_mov_b32 s26, exec_lo
	v_cmpx_ne_u16_e32 0x80, v26
	s_cbranch_execz .LBB6_5009
; %bb.5004:                             ;   in Loop: Header=BB6_3974 Depth=2
	v_and_b32_e32 v27, 0xffff, v26
	v_mov_b32_e32 v2, 0x7f800001
	s_mov_b32 s27, exec_lo
	s_delay_alu instid0(VALU_DEP_2) | instskip(NEXT) | instid1(VALU_DEP_1)
	v_and_b32_e32 v26, 0x7f, v27
	v_cmpx_ne_u32_e32 0x7f, v26
	s_cbranch_execz .LBB6_5008
; %bb.5005:                             ;   in Loop: Header=BB6_3974 Depth=2
	v_dual_lshrrev_b32 v2, 3, v26 :: v_dual_bitop2_b32 v86, 7, v27 bitop3:0x40
	s_mov_b32 s28, exec_lo
	v_cmpx_gt_u32_e32 8, v26
; %bb.5006:                             ;   in Loop: Header=BB6_3974 Depth=2
	s_delay_alu instid0(VALU_DEP_2) | instskip(NEXT) | instid1(VALU_DEP_1)
	v_clz_i32_u32_e32 v2, v86
	v_min_u32_e32 v2, 32, v2
	s_delay_alu instid0(VALU_DEP_1) | instskip(SKIP_1) | instid1(VALU_DEP_2)
	v_subrev_nc_u32_e32 v26, 28, v2
	v_sub_nc_u32_e32 v2, 29, v2
	v_lshlrev_b64_e32 v[26:27], v26, v[86:87]
	s_delay_alu instid0(VALU_DEP_1)
	v_and_b32_e32 v86, 7, v26
; %bb.5007:                             ;   in Loop: Header=BB6_3974 Depth=2
	s_or_b32 exec_lo, exec_lo, s28
	v_lshlrev_b32_e32 v26, 16, v18
	s_delay_alu instid0(VALU_DEP_2) | instskip(SKIP_1) | instid1(VALU_DEP_3)
	v_lshlrev_b32_e32 v27, 20, v86
	v_lshl_add_u32 v2, v2, 23, 0x3c000000
	v_and_b32_e32 v26, 0x80000000, v26
	s_delay_alu instid0(VALU_DEP_1)
	v_or3_b32 v2, v27, v26, v2
.LBB6_5008:                             ;   in Loop: Header=BB6_3974 Depth=2
	s_or_b32 exec_lo, exec_lo, s27
.LBB6_5009:                             ;   in Loop: Header=BB6_3974 Depth=2
	s_delay_alu instid0(SALU_CYCLE_1)
	s_or_b32 exec_lo, exec_lo, s26
.LBB6_5010:                             ;   in Loop: Header=BB6_3974 Depth=2
	s_delay_alu instid0(SALU_CYCLE_1) | instskip(NEXT) | instid1(VALU_DEP_1)
	s_or_b32 exec_lo, exec_lo, s7
	v_mul_f32_e32 v3, v3, v2
                                        ; implicit-def: $vgpr35
	s_mov_b32 s7, exec_lo
	s_delay_alu instid0(VALU_DEP_1) | instskip(SKIP_1) | instid1(VALU_DEP_2)
	v_and_b32_e32 v86, 0x7f800000, v3
	v_lshrrev_b32_e32 v2, 24, v3
	v_cmpx_ne_u64_e32 0x7f800000, v[86:87]
	s_xor_b32 s26, exec_lo, s7
	s_cbranch_execz .LBB6_5024
; %bb.5011:                             ;   in Loop: Header=BB6_3974 Depth=2
	v_and_b32_e32 v86, 0x7fffffff, v3
	v_and_b32_e32 v2, 0x80, v2
                                        ; implicit-def: $vgpr35
	s_mov_b32 s7, exec_lo
	s_delay_alu instid0(VALU_DEP_2)
	v_cmpx_gt_u64_e32 0x43e00001, v[86:87]
	s_xor_b32 s27, exec_lo, s7
	s_cbranch_execz .LBB6_5021
; %bb.5012:                             ;   in Loop: Header=BB6_3974 Depth=2
	v_mov_b32_e32 v35, 0
	s_mov_b32 s28, exec_lo
	v_cmpx_ne_u32_e32 0, v3
	s_cbranch_execz .LBB6_5020
; %bb.5013:                             ;   in Loop: Header=BB6_3974 Depth=2
	v_bfe_u32 v31, v3, 23, 8
	v_and_b32_e32 v3, 0x7fffff, v3
	s_delay_alu instid0(VALU_DEP_2) | instskip(SKIP_1) | instid1(VALU_DEP_3)
	v_sub_nc_u32_e32 v26, 0x79, v31
	v_cmp_gt_u32_e32 vcc_lo, 0x7a, v31
	v_or_b32_e32 v28, 0x800000, v3
	s_delay_alu instid0(VALU_DEP_3) | instskip(SKIP_1) | instid1(VALU_DEP_2)
	v_cndmask_b32_e32 v26, 0, v26, vcc_lo
	v_cmp_eq_u32_e32 vcc_lo, 0, v31
	v_cndmask_b32_e64 v35, v26, 0x78, vcc_lo
	s_delay_alu instid0(VALU_DEP_4) | instskip(NEXT) | instid1(VALU_DEP_2)
	v_cndmask_b32_e32 v86, v28, v3, vcc_lo
	v_dual_add_nc_u32 v26, 20, v35 :: v_dual_add_nc_u32 v29, 19, v35
	s_delay_alu instid0(VALU_DEP_1) | instskip(NEXT) | instid1(VALU_DEP_2)
	v_lshlrev_b64_e64 v[26:27], v26, -1
	v_lshlrev_b64_e64 v[28:29], v29, 1
	s_delay_alu instid0(VALU_DEP_2) | instskip(NEXT) | instid1(VALU_DEP_3)
	v_bfi_b32 v55, v27, 0, 0
	v_bfi_b32 v54, v26, 0, v86
	v_lshrrev_b64 v[26:27], v35, v[86:87]
	s_delay_alu instid0(VALU_DEP_2) | instskip(NEXT) | instid1(VALU_DEP_2)
	v_cmp_eq_u64_e64 s7, v[54:55], v[28:29]
	v_mov_b64_e32 v[28:29], v[26:27]
	s_and_saveexec_b32 s29, s7
; %bb.5014:                             ;   in Loop: Header=BB6_3974 Depth=2
	v_bfe_u32 v86, v26, 20, 1
	s_delay_alu instid0(VALU_DEP_1) | instskip(NEXT) | instid1(VALU_DEP_1)
	v_add_nc_u64_e32 v[28:29], v[26:27], v[86:87]
	v_add_nc_u64_e32 v[28:29], -1, v[28:29]
; %bb.5015:                             ;   in Loop: Header=BB6_3974 Depth=2
	s_or_b32 exec_lo, exec_lo, s29
	v_add_nc_u32_e32 v3, 0xffffff81, v31
	v_lshrrev_b32_e32 v27, 23, v26
	s_mov_b32 s7, exec_lo
	s_delay_alu instid0(VALU_DEP_2) | instskip(NEXT) | instid1(VALU_DEP_1)
	v_cndmask_b32_e64 v3, v3, 0xffffff82, vcc_lo
	v_add3_u32 v29, v35, v3, v27
	v_and_b32_e32 v3, 0xfffff, v28
	s_delay_alu instid0(VALU_DEP_1) | instskip(NEXT) | instid1(VALU_DEP_1)
	v_dual_add_nc_u32 v28, 6, v29 :: v_dual_add_nc_u32 v86, v3, v26
                                        ; implicit-def: $vgpr26_vgpr27
                                        ; implicit-def: $vgpr3
	v_cmpx_ne_u32_e32 0, v28
	s_xor_b32 s7, exec_lo, s7
; %bb.5016:                             ;   in Loop: Header=BB6_3974 Depth=2
	s_delay_alu instid0(VALU_DEP_2) | instskip(SKIP_2) | instid1(VALU_DEP_2)
	v_cmp_lt_u64_e32 vcc_lo, 0xffffff, v[86:87]
	v_add_nc_u32_e32 v3, 7, v29
	v_cndmask_b32_e64 v26, 0, 1, vcc_lo
	v_cndmask_b32_e32 v3, v28, v3, vcc_lo
	s_delay_alu instid0(VALU_DEP_2)
	v_lshrrev_b64 v[26:27], v26, v[86:87]
; %bb.5017:                             ;   in Loop: Header=BB6_3974 Depth=2
	s_and_not1_saveexec_b32 s7, s7
; %bb.5018:                             ;   in Loop: Header=BB6_3974 Depth=2
	v_mov_b64_e32 v[26:27], v[86:87]
	v_bfe_u32 v3, v86, 23, 1
; %bb.5019:                             ;   in Loop: Header=BB6_3974 Depth=2
	s_or_b32 exec_lo, exec_lo, s7
	s_delay_alu instid0(VALU_DEP_2) | instskip(NEXT) | instid1(VALU_DEP_2)
	v_lshrrev_b64 v[26:27], 20, v[26:27]
	v_cmp_gt_i32_e32 vcc_lo, 16, v3
	v_min_i32_e32 v28, 15, v3
	v_cmp_eq_u32_e64 s7, 0, v3
	s_delay_alu instid0(VALU_DEP_2) | instskip(SKIP_1) | instid1(VALU_DEP_2)
	v_dual_cndmask_b32 v26, 7, v26, vcc_lo :: v_dual_lshlrev_b32 v28, 3, v28
	v_cndmask_b32_e32 v27, 0, v27, vcc_lo
	v_and_b32_e32 v28, 0xf8, v28
	s_delay_alu instid0(VALU_DEP_2) | instskip(NEXT) | instid1(VALU_DEP_2)
	v_cmp_eq_u64_e32 vcc_lo, 0, v[26:27]
	v_and_or_b32 v3, v26, 7, v28
	s_and_b32 s7, s7, vcc_lo
	s_delay_alu instid0(VALU_DEP_1) | instid1(SALU_CYCLE_1)
	v_cndmask_b32_e64 v3, v3, 0, s7
	s_delay_alu instid0(VALU_DEP_1)
	v_or_b32_e32 v35, v3, v2
.LBB6_5020:                             ;   in Loop: Header=BB6_3974 Depth=2
	s_or_b32 exec_lo, exec_lo, s28
                                        ; implicit-def: $vgpr2
.LBB6_5021:                             ;   in Loop: Header=BB6_3974 Depth=2
	s_and_not1_saveexec_b32 s7, s27
; %bb.5022:                             ;   in Loop: Header=BB6_3974 Depth=2
	v_or_b32_e32 v35, 0x7e, v2
; %bb.5023:                             ;   in Loop: Header=BB6_3974 Depth=2
	s_or_b32 exec_lo, exec_lo, s7
                                        ; implicit-def: $vgpr2
.LBB6_5024:                             ;   in Loop: Header=BB6_3974 Depth=2
	s_and_not1_saveexec_b32 s7, s26
; %bb.5025:                             ;   in Loop: Header=BB6_3974 Depth=2
	v_or_b32_e32 v35, 0x7f, v2
; %bb.5026:                             ;   in Loop: Header=BB6_3974 Depth=2
	s_or_b32 exec_lo, exec_lo, s7
	v_dual_lshrrev_b32 v26, 16, v22 :: v_dual_mov_b32 v2, 0
	v_mov_b32_e32 v3, 0
	s_mov_b32 s7, exec_lo
	s_delay_alu instid0(VALU_DEP_2) | instskip(NEXT) | instid1(VALU_DEP_1)
	v_and_b32_e32 v27, 0xff, v26
	v_cmpx_ne_u16_e32 0, v27
	s_cbranch_execz .LBB6_5034
; %bb.5027:                             ;   in Loop: Header=BB6_3974 Depth=2
	v_bfrev_b32_e32 v3, 1
	s_mov_b32 s26, exec_lo
	v_cmpx_ne_u16_e32 0x80, v27
	s_cbranch_execz .LBB6_5033
; %bb.5028:                             ;   in Loop: Header=BB6_3974 Depth=2
	v_bfe_u32 v27, v22, 16, 7
	v_mov_b32_e32 v3, 0x7f800001
	s_mov_b32 s27, exec_lo
	s_delay_alu instid0(VALU_DEP_2)
	v_cmpx_ne_u32_e32 0x7f, v27
	s_cbranch_execz .LBB6_5032
; %bb.5029:                             ;   in Loop: Header=BB6_3974 Depth=2
	v_dual_lshrrev_b32 v3, 3, v27 :: v_dual_bitop2_b32 v86, 7, v26 bitop3:0x40
	s_mov_b32 s28, exec_lo
	v_cmpx_gt_u32_e32 8, v27
; %bb.5030:                             ;   in Loop: Header=BB6_3974 Depth=2
	s_delay_alu instid0(VALU_DEP_2) | instskip(NEXT) | instid1(VALU_DEP_1)
	v_clz_i32_u32_e32 v3, v86
	v_min_u32_e32 v3, 32, v3
	s_delay_alu instid0(VALU_DEP_1) | instskip(NEXT) | instid1(VALU_DEP_1)
	v_subrev_nc_u32_e32 v27, 28, v3
	v_lshlrev_b64_e32 v[28:29], v27, v[86:87]
	s_delay_alu instid0(VALU_DEP_1)
	v_dual_sub_nc_u32 v3, 29, v3 :: v_dual_bitop2_b32 v86, 7, v28 bitop3:0x40
; %bb.5031:                             ;   in Loop: Header=BB6_3974 Depth=2
	s_or_b32 exec_lo, exec_lo, s28
	v_lshlrev_b32_e32 v26, 24, v26
	s_delay_alu instid0(VALU_DEP_2) | instskip(NEXT) | instid1(VALU_DEP_3)
	v_lshlrev_b32_e32 v27, 20, v86
	v_lshl_add_u32 v3, v3, 23, 0x3c000000
	s_delay_alu instid0(VALU_DEP_3) | instskip(NEXT) | instid1(VALU_DEP_1)
	v_and_b32_e32 v26, 0x80000000, v26
	v_or3_b32 v3, v27, v26, v3
.LBB6_5032:                             ;   in Loop: Header=BB6_3974 Depth=2
	s_or_b32 exec_lo, exec_lo, s27
.LBB6_5033:                             ;   in Loop: Header=BB6_3974 Depth=2
	s_delay_alu instid0(SALU_CYCLE_1)
	s_or_b32 exec_lo, exec_lo, s26
.LBB6_5034:                             ;   in Loop: Header=BB6_3974 Depth=2
	s_delay_alu instid0(SALU_CYCLE_1) | instskip(SKIP_2) | instid1(VALU_DEP_1)
	s_or_b32 exec_lo, exec_lo, s7
	v_lshrrev_b32_e32 v26, 16, v18
	s_mov_b32 s7, exec_lo
	v_and_b32_e32 v27, 0xff, v26
	s_delay_alu instid0(VALU_DEP_1)
	v_cmpx_ne_u16_e32 0, v27
	s_cbranch_execz .LBB6_5042
; %bb.5035:                             ;   in Loop: Header=BB6_3974 Depth=2
	v_bfrev_b32_e32 v2, 1
	s_mov_b32 s26, exec_lo
	v_cmpx_ne_u16_e32 0x80, v27
	s_cbranch_execz .LBB6_5041
; %bb.5036:                             ;   in Loop: Header=BB6_3974 Depth=2
	v_bfe_u32 v27, v18, 16, 7
	v_mov_b32_e32 v2, 0x7f800001
	s_mov_b32 s27, exec_lo
	s_delay_alu instid0(VALU_DEP_2)
	v_cmpx_ne_u32_e32 0x7f, v27
	s_cbranch_execz .LBB6_5040
; %bb.5037:                             ;   in Loop: Header=BB6_3974 Depth=2
	v_dual_lshrrev_b32 v2, 3, v27 :: v_dual_bitop2_b32 v86, 7, v26 bitop3:0x40
	s_mov_b32 s28, exec_lo
	v_cmpx_gt_u32_e32 8, v27
; %bb.5038:                             ;   in Loop: Header=BB6_3974 Depth=2
	s_delay_alu instid0(VALU_DEP_2) | instskip(NEXT) | instid1(VALU_DEP_1)
	v_clz_i32_u32_e32 v2, v86
	v_min_u32_e32 v2, 32, v2
	s_delay_alu instid0(VALU_DEP_1) | instskip(SKIP_1) | instid1(VALU_DEP_2)
	v_subrev_nc_u32_e32 v26, 28, v2
	v_sub_nc_u32_e32 v2, 29, v2
	v_lshlrev_b64_e32 v[26:27], v26, v[86:87]
	s_delay_alu instid0(VALU_DEP_1)
	v_and_b32_e32 v86, 7, v26
; %bb.5039:                             ;   in Loop: Header=BB6_3974 Depth=2
	s_or_b32 exec_lo, exec_lo, s28
	v_lshlrev_b32_e32 v26, 8, v18
	s_delay_alu instid0(VALU_DEP_2) | instskip(SKIP_1) | instid1(VALU_DEP_3)
	v_lshlrev_b32_e32 v27, 20, v86
	v_lshl_add_u32 v2, v2, 23, 0x3c000000
	v_and_b32_e32 v26, 0x80000000, v26
	s_delay_alu instid0(VALU_DEP_1)
	v_or3_b32 v2, v27, v26, v2
.LBB6_5040:                             ;   in Loop: Header=BB6_3974 Depth=2
	s_or_b32 exec_lo, exec_lo, s27
.LBB6_5041:                             ;   in Loop: Header=BB6_3974 Depth=2
	s_delay_alu instid0(SALU_CYCLE_1)
	s_or_b32 exec_lo, exec_lo, s26
.LBB6_5042:                             ;   in Loop: Header=BB6_3974 Depth=2
	s_delay_alu instid0(SALU_CYCLE_1) | instskip(NEXT) | instid1(VALU_DEP_1)
	s_or_b32 exec_lo, exec_lo, s7
	v_mul_f32_e32 v3, v3, v2
                                        ; implicit-def: $vgpr109
	s_mov_b32 s7, exec_lo
	s_delay_alu instid0(VALU_DEP_1) | instskip(SKIP_1) | instid1(VALU_DEP_2)
	v_and_b32_e32 v86, 0x7f800000, v3
	v_lshrrev_b32_e32 v2, 24, v3
	v_cmpx_ne_u64_e32 0x7f800000, v[86:87]
	s_xor_b32 s26, exec_lo, s7
	s_cbranch_execz .LBB6_5056
; %bb.5043:                             ;   in Loop: Header=BB6_3974 Depth=2
	v_and_b32_e32 v86, 0x7fffffff, v3
	v_and_b32_e32 v2, 0x80, v2
                                        ; implicit-def: $vgpr109
	s_mov_b32 s7, exec_lo
	s_delay_alu instid0(VALU_DEP_2)
	v_cmpx_gt_u64_e32 0x43e00001, v[86:87]
	s_xor_b32 s27, exec_lo, s7
	s_cbranch_execz .LBB6_5053
; %bb.5044:                             ;   in Loop: Header=BB6_3974 Depth=2
	v_mov_b32_e32 v109, 0
	s_mov_b32 s28, exec_lo
	v_cmpx_ne_u32_e32 0, v3
	s_cbranch_execz .LBB6_5052
; %bb.5045:                             ;   in Loop: Header=BB6_3974 Depth=2
	v_bfe_u32 v31, v3, 23, 8
	v_and_b32_e32 v3, 0x7fffff, v3
	s_delay_alu instid0(VALU_DEP_2) | instskip(SKIP_1) | instid1(VALU_DEP_3)
	v_sub_nc_u32_e32 v26, 0x79, v31
	v_cmp_gt_u32_e32 vcc_lo, 0x7a, v31
	v_or_b32_e32 v28, 0x800000, v3
	s_delay_alu instid0(VALU_DEP_3) | instskip(SKIP_1) | instid1(VALU_DEP_3)
	v_cndmask_b32_e32 v26, 0, v26, vcc_lo
	v_cmp_eq_u32_e32 vcc_lo, 0, v31
	v_cndmask_b32_e32 v86, v28, v3, vcc_lo
	s_delay_alu instid0(VALU_DEP_3) | instskip(NEXT) | instid1(VALU_DEP_1)
	v_cndmask_b32_e64 v54, v26, 0x78, vcc_lo
	v_dual_add_nc_u32 v26, 20, v54 :: v_dual_add_nc_u32 v29, 19, v54
	s_delay_alu instid0(VALU_DEP_1) | instskip(NEXT) | instid1(VALU_DEP_2)
	v_lshlrev_b64_e64 v[26:27], v26, -1
	v_lshlrev_b64_e64 v[28:29], v29, 1
	s_delay_alu instid0(VALU_DEP_2) | instskip(NEXT) | instid1(VALU_DEP_3)
	v_bfi_b32 v103, v27, 0, 0
	v_bfi_b32 v102, v26, 0, v86
	v_lshrrev_b64 v[26:27], v54, v[86:87]
	s_delay_alu instid0(VALU_DEP_2) | instskip(NEXT) | instid1(VALU_DEP_2)
	v_cmp_eq_u64_e64 s7, v[102:103], v[28:29]
	v_mov_b64_e32 v[28:29], v[26:27]
	s_and_saveexec_b32 s29, s7
; %bb.5046:                             ;   in Loop: Header=BB6_3974 Depth=2
	v_bfe_u32 v86, v26, 20, 1
	s_delay_alu instid0(VALU_DEP_1) | instskip(NEXT) | instid1(VALU_DEP_1)
	v_add_nc_u64_e32 v[28:29], v[26:27], v[86:87]
	v_add_nc_u64_e32 v[28:29], -1, v[28:29]
; %bb.5047:                             ;   in Loop: Header=BB6_3974 Depth=2
	s_or_b32 exec_lo, exec_lo, s29
	v_add_nc_u32_e32 v3, 0xffffff81, v31
	v_lshrrev_b32_e32 v27, 23, v26
	s_mov_b32 s7, exec_lo
	s_delay_alu instid0(VALU_DEP_2) | instskip(NEXT) | instid1(VALU_DEP_1)
	v_cndmask_b32_e64 v3, v3, 0xffffff82, vcc_lo
	v_add3_u32 v29, v54, v3, v27
	v_and_b32_e32 v3, 0xfffff, v28
	s_delay_alu instid0(VALU_DEP_1) | instskip(NEXT) | instid1(VALU_DEP_1)
	v_dual_add_nc_u32 v28, 6, v29 :: v_dual_add_nc_u32 v86, v3, v26
                                        ; implicit-def: $vgpr26_vgpr27
                                        ; implicit-def: $vgpr3
	v_cmpx_ne_u32_e32 0, v28
	s_xor_b32 s7, exec_lo, s7
; %bb.5048:                             ;   in Loop: Header=BB6_3974 Depth=2
	s_delay_alu instid0(VALU_DEP_2) | instskip(SKIP_2) | instid1(VALU_DEP_2)
	v_cmp_lt_u64_e32 vcc_lo, 0xffffff, v[86:87]
	v_add_nc_u32_e32 v3, 7, v29
	v_cndmask_b32_e64 v26, 0, 1, vcc_lo
	v_cndmask_b32_e32 v3, v28, v3, vcc_lo
	s_delay_alu instid0(VALU_DEP_2)
	v_lshrrev_b64 v[26:27], v26, v[86:87]
; %bb.5049:                             ;   in Loop: Header=BB6_3974 Depth=2
	s_and_not1_saveexec_b32 s7, s7
; %bb.5050:                             ;   in Loop: Header=BB6_3974 Depth=2
	v_mov_b64_e32 v[26:27], v[86:87]
	v_bfe_u32 v3, v86, 23, 1
; %bb.5051:                             ;   in Loop: Header=BB6_3974 Depth=2
	s_or_b32 exec_lo, exec_lo, s7
	s_delay_alu instid0(VALU_DEP_2) | instskip(NEXT) | instid1(VALU_DEP_2)
	v_lshrrev_b64 v[26:27], 20, v[26:27]
	v_cmp_gt_i32_e32 vcc_lo, 16, v3
	v_min_i32_e32 v28, 15, v3
	v_cmp_eq_u32_e64 s7, 0, v3
	s_delay_alu instid0(VALU_DEP_2) | instskip(SKIP_1) | instid1(VALU_DEP_2)
	v_dual_cndmask_b32 v26, 7, v26, vcc_lo :: v_dual_lshlrev_b32 v28, 3, v28
	v_cndmask_b32_e32 v27, 0, v27, vcc_lo
	v_and_b32_e32 v28, 0xf8, v28
	s_delay_alu instid0(VALU_DEP_2) | instskip(NEXT) | instid1(VALU_DEP_2)
	v_cmp_eq_u64_e32 vcc_lo, 0, v[26:27]
	v_and_or_b32 v3, v26, 7, v28
	s_and_b32 s7, s7, vcc_lo
	s_delay_alu instid0(VALU_DEP_1) | instid1(SALU_CYCLE_1)
	v_cndmask_b32_e64 v3, v3, 0, s7
	s_delay_alu instid0(VALU_DEP_1)
	v_or_b32_e32 v109, v3, v2
.LBB6_5052:                             ;   in Loop: Header=BB6_3974 Depth=2
	s_or_b32 exec_lo, exec_lo, s28
                                        ; implicit-def: $vgpr2
.LBB6_5053:                             ;   in Loop: Header=BB6_3974 Depth=2
	s_and_not1_saveexec_b32 s7, s27
; %bb.5054:                             ;   in Loop: Header=BB6_3974 Depth=2
	v_or_b32_e32 v109, 0x7e, v2
; %bb.5055:                             ;   in Loop: Header=BB6_3974 Depth=2
	s_or_b32 exec_lo, exec_lo, s7
                                        ; implicit-def: $vgpr2
.LBB6_5056:                             ;   in Loop: Header=BB6_3974 Depth=2
	s_and_not1_saveexec_b32 s7, s26
; %bb.5057:                             ;   in Loop: Header=BB6_3974 Depth=2
	v_or_b32_e32 v109, 0x7f, v2
; %bb.5058:                             ;   in Loop: Header=BB6_3974 Depth=2
	s_or_b32 exec_lo, exec_lo, s7
	v_dual_mov_b32 v2, 0 :: v_dual_mov_b32 v3, 0
	s_mov_b32 s7, exec_lo
	v_cmpx_lt_u32_e32 0xffffff, v22
	s_cbranch_execz .LBB6_5066
; %bb.5059:                             ;   in Loop: Header=BB6_3974 Depth=2
	v_lshrrev_b32_e32 v26, 24, v22
	v_bfrev_b32_e32 v3, 1
	s_mov_b32 s26, exec_lo
	s_delay_alu instid0(VALU_DEP_2)
	v_cmpx_ne_u32_e32 0x80, v26
	s_cbranch_execz .LBB6_5065
; %bb.5060:                             ;   in Loop: Header=BB6_3974 Depth=2
	v_bfe_u32 v27, v22, 24, 7
	v_mov_b32_e32 v3, 0x7f800001
	s_mov_b32 s27, exec_lo
	s_delay_alu instid0(VALU_DEP_2)
	v_cmpx_ne_u32_e32 0x7f, v27
	s_cbranch_execz .LBB6_5064
; %bb.5061:                             ;   in Loop: Header=BB6_3974 Depth=2
	v_dual_lshrrev_b32 v3, 3, v27 :: v_dual_bitop2_b32 v86, 7, v26 bitop3:0x40
	s_mov_b32 s28, exec_lo
	v_cmpx_gt_u32_e32 8, v27
; %bb.5062:                             ;   in Loop: Header=BB6_3974 Depth=2
	s_delay_alu instid0(VALU_DEP_2) | instskip(NEXT) | instid1(VALU_DEP_1)
	v_clz_i32_u32_e32 v3, v86
	v_min_u32_e32 v3, 32, v3
	s_delay_alu instid0(VALU_DEP_1) | instskip(NEXT) | instid1(VALU_DEP_1)
	v_subrev_nc_u32_e32 v27, 28, v3
	v_lshlrev_b64_e32 v[28:29], v27, v[86:87]
	s_delay_alu instid0(VALU_DEP_1)
	v_dual_sub_nc_u32 v3, 29, v3 :: v_dual_bitop2_b32 v86, 7, v28 bitop3:0x40
; %bb.5063:                             ;   in Loop: Header=BB6_3974 Depth=2
	s_or_b32 exec_lo, exec_lo, s28
	v_lshlrev_b32_e32 v26, 24, v26
	s_delay_alu instid0(VALU_DEP_2) | instskip(NEXT) | instid1(VALU_DEP_3)
	v_lshlrev_b32_e32 v27, 20, v86
	v_lshl_add_u32 v3, v3, 23, 0x3c000000
	s_delay_alu instid0(VALU_DEP_3) | instskip(NEXT) | instid1(VALU_DEP_1)
	v_and_b32_e32 v26, 0x80000000, v26
	v_or3_b32 v3, v27, v26, v3
.LBB6_5064:                             ;   in Loop: Header=BB6_3974 Depth=2
	s_or_b32 exec_lo, exec_lo, s27
.LBB6_5065:                             ;   in Loop: Header=BB6_3974 Depth=2
	s_delay_alu instid0(SALU_CYCLE_1)
	s_or_b32 exec_lo, exec_lo, s26
.LBB6_5066:                             ;   in Loop: Header=BB6_3974 Depth=2
	s_delay_alu instid0(SALU_CYCLE_1) | instskip(NEXT) | instid1(SALU_CYCLE_1)
	s_or_b32 exec_lo, exec_lo, s7
	s_mov_b32 s7, exec_lo
	v_cmpx_lt_u32_e32 0xffffff, v18
	s_cbranch_execz .LBB6_5074
; %bb.5067:                             ;   in Loop: Header=BB6_3974 Depth=2
	v_lshrrev_b32_e32 v26, 24, v18
	v_bfrev_b32_e32 v2, 1
	s_mov_b32 s26, exec_lo
	s_delay_alu instid0(VALU_DEP_2)
	v_cmpx_ne_u32_e32 0x80, v26
	s_cbranch_execz .LBB6_5073
; %bb.5068:                             ;   in Loop: Header=BB6_3974 Depth=2
	v_bfe_u32 v27, v18, 24, 7
	v_mov_b32_e32 v2, 0x7f800001
	s_mov_b32 s27, exec_lo
	s_delay_alu instid0(VALU_DEP_2)
	v_cmpx_ne_u32_e32 0x7f, v27
	s_cbranch_execz .LBB6_5072
; %bb.5069:                             ;   in Loop: Header=BB6_3974 Depth=2
	v_dual_lshrrev_b32 v2, 3, v27 :: v_dual_bitop2_b32 v86, 7, v26 bitop3:0x40
	s_mov_b32 s28, exec_lo
	v_cmpx_gt_u32_e32 8, v27
; %bb.5070:                             ;   in Loop: Header=BB6_3974 Depth=2
	s_delay_alu instid0(VALU_DEP_2) | instskip(NEXT) | instid1(VALU_DEP_1)
	v_clz_i32_u32_e32 v2, v86
	v_min_u32_e32 v2, 32, v2
	s_delay_alu instid0(VALU_DEP_1) | instskip(NEXT) | instid1(VALU_DEP_1)
	v_subrev_nc_u32_e32 v27, 28, v2
	v_lshlrev_b64_e32 v[28:29], v27, v[86:87]
	s_delay_alu instid0(VALU_DEP_1)
	v_dual_sub_nc_u32 v2, 29, v2 :: v_dual_bitop2_b32 v86, 7, v28 bitop3:0x40
; %bb.5071:                             ;   in Loop: Header=BB6_3974 Depth=2
	s_or_b32 exec_lo, exec_lo, s28
	v_lshlrev_b32_e32 v26, 24, v26
	s_delay_alu instid0(VALU_DEP_2) | instskip(NEXT) | instid1(VALU_DEP_3)
	v_lshlrev_b32_e32 v27, 20, v86
	v_lshl_add_u32 v2, v2, 23, 0x3c000000
	s_delay_alu instid0(VALU_DEP_3) | instskip(NEXT) | instid1(VALU_DEP_1)
	v_and_b32_e32 v26, 0x80000000, v26
	v_or3_b32 v2, v27, v26, v2
.LBB6_5072:                             ;   in Loop: Header=BB6_3974 Depth=2
	s_or_b32 exec_lo, exec_lo, s27
.LBB6_5073:                             ;   in Loop: Header=BB6_3974 Depth=2
	s_delay_alu instid0(SALU_CYCLE_1)
	s_or_b32 exec_lo, exec_lo, s26
.LBB6_5074:                             ;   in Loop: Header=BB6_3974 Depth=2
	s_delay_alu instid0(SALU_CYCLE_1) | instskip(NEXT) | instid1(VALU_DEP_1)
	s_or_b32 exec_lo, exec_lo, s7
	v_mul_f32_e32 v3, v3, v2
                                        ; implicit-def: $vgpr110
	s_mov_b32 s7, exec_lo
	s_delay_alu instid0(VALU_DEP_1) | instskip(SKIP_1) | instid1(VALU_DEP_2)
	v_and_b32_e32 v86, 0x7f800000, v3
	v_lshrrev_b32_e32 v2, 24, v3
	v_cmpx_ne_u64_e32 0x7f800000, v[86:87]
	s_xor_b32 s26, exec_lo, s7
	s_cbranch_execz .LBB6_5088
; %bb.5075:                             ;   in Loop: Header=BB6_3974 Depth=2
	v_and_b32_e32 v86, 0x7fffffff, v3
	v_and_b32_e32 v2, 0x80, v2
                                        ; implicit-def: $vgpr110
	s_mov_b32 s7, exec_lo
	s_delay_alu instid0(VALU_DEP_2)
	v_cmpx_gt_u64_e32 0x43e00001, v[86:87]
	s_xor_b32 s27, exec_lo, s7
	s_cbranch_execz .LBB6_5085
; %bb.5076:                             ;   in Loop: Header=BB6_3974 Depth=2
	v_mov_b32_e32 v110, 0
	s_mov_b32 s28, exec_lo
	v_cmpx_ne_u32_e32 0, v3
	s_cbranch_execz .LBB6_5084
; %bb.5077:                             ;   in Loop: Header=BB6_3974 Depth=2
	v_bfe_u32 v31, v3, 23, 8
	v_and_b32_e32 v3, 0x7fffff, v3
	s_delay_alu instid0(VALU_DEP_2) | instskip(SKIP_1) | instid1(VALU_DEP_3)
	v_sub_nc_u32_e32 v26, 0x79, v31
	v_cmp_gt_u32_e32 vcc_lo, 0x7a, v31
	v_or_b32_e32 v28, 0x800000, v3
	s_delay_alu instid0(VALU_DEP_3) | instskip(SKIP_1) | instid1(VALU_DEP_3)
	v_cndmask_b32_e32 v26, 0, v26, vcc_lo
	v_cmp_eq_u32_e32 vcc_lo, 0, v31
	v_cndmask_b32_e32 v86, v28, v3, vcc_lo
	s_delay_alu instid0(VALU_DEP_3) | instskip(NEXT) | instid1(VALU_DEP_1)
	v_cndmask_b32_e64 v54, v26, 0x78, vcc_lo
	v_dual_add_nc_u32 v26, 20, v54 :: v_dual_add_nc_u32 v29, 19, v54
	s_delay_alu instid0(VALU_DEP_1) | instskip(NEXT) | instid1(VALU_DEP_2)
	v_lshlrev_b64_e64 v[26:27], v26, -1
	v_lshlrev_b64_e64 v[28:29], v29, 1
	s_delay_alu instid0(VALU_DEP_2) | instskip(NEXT) | instid1(VALU_DEP_3)
	v_bfi_b32 v103, v27, 0, 0
	v_bfi_b32 v102, v26, 0, v86
	v_lshrrev_b64 v[26:27], v54, v[86:87]
	s_delay_alu instid0(VALU_DEP_2) | instskip(NEXT) | instid1(VALU_DEP_2)
	v_cmp_eq_u64_e64 s7, v[102:103], v[28:29]
	v_mov_b64_e32 v[28:29], v[26:27]
	s_and_saveexec_b32 s29, s7
; %bb.5078:                             ;   in Loop: Header=BB6_3974 Depth=2
	v_bfe_u32 v86, v26, 20, 1
	s_delay_alu instid0(VALU_DEP_1) | instskip(NEXT) | instid1(VALU_DEP_1)
	v_add_nc_u64_e32 v[28:29], v[26:27], v[86:87]
	v_add_nc_u64_e32 v[28:29], -1, v[28:29]
; %bb.5079:                             ;   in Loop: Header=BB6_3974 Depth=2
	s_or_b32 exec_lo, exec_lo, s29
	v_add_nc_u32_e32 v3, 0xffffff81, v31
	v_lshrrev_b32_e32 v27, 23, v26
	s_mov_b32 s7, exec_lo
	s_delay_alu instid0(VALU_DEP_2) | instskip(NEXT) | instid1(VALU_DEP_1)
	v_cndmask_b32_e64 v3, v3, 0xffffff82, vcc_lo
	v_add3_u32 v29, v54, v3, v27
	v_and_b32_e32 v3, 0xfffff, v28
	s_delay_alu instid0(VALU_DEP_1) | instskip(NEXT) | instid1(VALU_DEP_1)
	v_dual_add_nc_u32 v28, 6, v29 :: v_dual_add_nc_u32 v86, v3, v26
                                        ; implicit-def: $vgpr26_vgpr27
                                        ; implicit-def: $vgpr3
	v_cmpx_ne_u32_e32 0, v28
	s_xor_b32 s7, exec_lo, s7
; %bb.5080:                             ;   in Loop: Header=BB6_3974 Depth=2
	s_delay_alu instid0(VALU_DEP_2) | instskip(SKIP_2) | instid1(VALU_DEP_2)
	v_cmp_lt_u64_e32 vcc_lo, 0xffffff, v[86:87]
	v_add_nc_u32_e32 v3, 7, v29
	v_cndmask_b32_e64 v26, 0, 1, vcc_lo
	v_cndmask_b32_e32 v3, v28, v3, vcc_lo
	s_delay_alu instid0(VALU_DEP_2)
	v_lshrrev_b64 v[26:27], v26, v[86:87]
; %bb.5081:                             ;   in Loop: Header=BB6_3974 Depth=2
	s_and_not1_saveexec_b32 s7, s7
; %bb.5082:                             ;   in Loop: Header=BB6_3974 Depth=2
	v_mov_b64_e32 v[26:27], v[86:87]
	v_bfe_u32 v3, v86, 23, 1
; %bb.5083:                             ;   in Loop: Header=BB6_3974 Depth=2
	s_or_b32 exec_lo, exec_lo, s7
	s_delay_alu instid0(VALU_DEP_2) | instskip(NEXT) | instid1(VALU_DEP_2)
	v_lshrrev_b64 v[26:27], 20, v[26:27]
	v_cmp_gt_i32_e32 vcc_lo, 16, v3
	v_min_i32_e32 v28, 15, v3
	v_cmp_eq_u32_e64 s7, 0, v3
	s_delay_alu instid0(VALU_DEP_2) | instskip(SKIP_1) | instid1(VALU_DEP_2)
	v_dual_cndmask_b32 v26, 7, v26, vcc_lo :: v_dual_lshlrev_b32 v28, 3, v28
	v_cndmask_b32_e32 v27, 0, v27, vcc_lo
	v_and_b32_e32 v28, 0xf8, v28
	s_delay_alu instid0(VALU_DEP_2) | instskip(NEXT) | instid1(VALU_DEP_2)
	v_cmp_eq_u64_e32 vcc_lo, 0, v[26:27]
	v_and_or_b32 v3, v26, 7, v28
	s_and_b32 s7, s7, vcc_lo
	s_delay_alu instid0(VALU_DEP_1) | instid1(SALU_CYCLE_1)
	v_cndmask_b32_e64 v3, v3, 0, s7
	s_delay_alu instid0(VALU_DEP_1)
	v_or_b32_e32 v110, v3, v2
.LBB6_5084:                             ;   in Loop: Header=BB6_3974 Depth=2
	s_or_b32 exec_lo, exec_lo, s28
                                        ; implicit-def: $vgpr2
.LBB6_5085:                             ;   in Loop: Header=BB6_3974 Depth=2
	s_and_not1_saveexec_b32 s7, s27
; %bb.5086:                             ;   in Loop: Header=BB6_3974 Depth=2
	v_or_b32_e32 v110, 0x7e, v2
; %bb.5087:                             ;   in Loop: Header=BB6_3974 Depth=2
	s_or_b32 exec_lo, exec_lo, s7
                                        ; implicit-def: $vgpr2
.LBB6_5088:                             ;   in Loop: Header=BB6_3974 Depth=2
	s_and_not1_saveexec_b32 s7, s26
; %bb.5089:                             ;   in Loop: Header=BB6_3974 Depth=2
	v_or_b32_e32 v110, 0x7f, v2
; %bb.5090:                             ;   in Loop: Header=BB6_3974 Depth=2
	s_or_b32 exec_lo, exec_lo, s7
	v_and_b32_e32 v26, 0xff, v23
	v_dual_mov_b32 v86, v23 :: v_dual_mov_b32 v3, 0
	v_mov_b32_e32 v2, 0
	s_mov_b32 s7, exec_lo
	s_delay_alu instid0(VALU_DEP_3)
	v_cmpx_ne_u16_e32 0, v26
	s_cbranch_execz .LBB6_5096
; %bb.5091:                             ;   in Loop: Header=BB6_3974 Depth=2
	v_bfrev_b32_e32 v2, 1
	s_mov_b32 s26, exec_lo
	v_cmpx_ne_u16_e32 0x80, v26
	s_cbranch_execz .LBB6_5095
; %bb.5092:                             ;   in Loop: Header=BB6_3974 Depth=2
	v_and_b32_e32 v26, 0x7f, v23
	v_mov_b32_e32 v2, 0x7f800001
	s_mov_b32 s27, exec_lo
	s_delay_alu instid0(VALU_DEP_2)
	v_cmpx_ne_u32_e32 0x7f, v26
	s_cbranch_execz .LBB6_5094
; %bb.5093:                             ;   in Loop: Header=BB6_3974 Depth=2
	v_dual_lshrrev_b32 v27, 3, v26 :: v_dual_bitop2_b32 v2, 7, v23 bitop3:0x40
	v_cmp_gt_u32_e32 vcc_lo, 8, v26
	s_delay_alu instid0(VALU_DEP_2) | instskip(NEXT) | instid1(VALU_DEP_1)
	v_clz_i32_u32_e32 v2, v2
	v_min_u32_e32 v2, 32, v2
	s_delay_alu instid0(VALU_DEP_1) | instskip(NEXT) | instid1(VALU_DEP_1)
	v_subrev_nc_u32_e32 v28, 28, v2
	v_dual_sub_nc_u32 v2, 29, v2 :: v_dual_cndmask_b32 v26, 0, v28, vcc_lo
	s_delay_alu instid0(VALU_DEP_1) | instskip(NEXT) | instid1(VALU_DEP_2)
	v_cndmask_b32_e32 v2, v27, v2, vcc_lo
	v_lshlrev_b64_e32 v[26:27], v26, v[86:87]
	v_lshlrev_b32_e32 v27, 24, v86
	s_delay_alu instid0(VALU_DEP_3) | instskip(NEXT) | instid1(VALU_DEP_2)
	v_lshl_add_u32 v2, v2, 23, 0x3c000000
	v_and_b32_e32 v27, 0x80000000, v27
	s_delay_alu instid0(VALU_DEP_4) | instskip(NEXT) | instid1(VALU_DEP_1)
	v_lshlrev_b32_e32 v26, 20, v26
	v_and_b32_e32 v26, 0x700000, v26
	s_delay_alu instid0(VALU_DEP_1)
	v_or3_b32 v2, v26, v27, v2
.LBB6_5094:                             ;   in Loop: Header=BB6_3974 Depth=2
	s_or_b32 exec_lo, exec_lo, s27
.LBB6_5095:                             ;   in Loop: Header=BB6_3974 Depth=2
	s_delay_alu instid0(SALU_CYCLE_1)
	s_or_b32 exec_lo, exec_lo, s26
.LBB6_5096:                             ;   in Loop: Header=BB6_3974 Depth=2
	s_delay_alu instid0(SALU_CYCLE_1) | instskip(SKIP_2) | instid1(VALU_DEP_1)
	s_or_b32 exec_lo, exec_lo, s7
	v_and_b32_e32 v26, 0xff, v19
	s_mov_b32 s7, exec_lo
	v_cmpx_ne_u16_e32 0, v26
	s_cbranch_execz .LBB6_5102
; %bb.5097:                             ;   in Loop: Header=BB6_3974 Depth=2
	v_bfrev_b32_e32 v3, 1
	s_mov_b32 s26, exec_lo
	v_cmpx_ne_u16_e32 0x80, v26
	s_cbranch_execz .LBB6_5101
; %bb.5098:                             ;   in Loop: Header=BB6_3974 Depth=2
	v_and_b32_e32 v26, 0x7f, v19
	v_mov_b32_e32 v3, 0x7f800001
	s_mov_b32 s27, exec_lo
	s_delay_alu instid0(VALU_DEP_2)
	v_cmpx_ne_u32_e32 0x7f, v26
	s_cbranch_execz .LBB6_5100
; %bb.5099:                             ;   in Loop: Header=BB6_3974 Depth=2
	v_dual_lshrrev_b32 v28, 3, v26 :: v_dual_bitop2_b32 v3, 7, v19 bitop3:0x40
	v_cmp_gt_u32_e32 vcc_lo, 8, v26
	v_mov_b32_e32 v26, v19
	s_delay_alu instid0(VALU_DEP_3) | instskip(NEXT) | instid1(VALU_DEP_1)
	v_clz_i32_u32_e32 v3, v3
	v_min_u32_e32 v3, 32, v3
	s_delay_alu instid0(VALU_DEP_1) | instskip(SKIP_1) | instid1(VALU_DEP_2)
	v_sub_nc_u32_e32 v29, 29, v3
	v_subrev_nc_u32_e32 v3, 28, v3
	v_dual_mov_b32 v27, v87 :: v_dual_cndmask_b32 v31, v28, v29, vcc_lo
	s_delay_alu instid0(VALU_DEP_2) | instskip(NEXT) | instid1(VALU_DEP_1)
	v_cndmask_b32_e32 v3, 0, v3, vcc_lo
	v_lshlrev_b64_e32 v[28:29], v3, v[26:27]
	v_lshlrev_b32_e32 v3, 24, v26
	s_delay_alu instid0(VALU_DEP_4) | instskip(NEXT) | instid1(VALU_DEP_2)
	v_lshl_add_u32 v27, v31, 23, 0x3c000000
	v_and_b32_e32 v3, 0x80000000, v3
	s_delay_alu instid0(VALU_DEP_4) | instskip(NEXT) | instid1(VALU_DEP_1)
	v_lshlrev_b32_e32 v26, 20, v28
	v_and_b32_e32 v26, 0x700000, v26
	s_delay_alu instid0(VALU_DEP_1)
	v_or3_b32 v3, v26, v3, v27
.LBB6_5100:                             ;   in Loop: Header=BB6_3974 Depth=2
	s_or_b32 exec_lo, exec_lo, s27
.LBB6_5101:                             ;   in Loop: Header=BB6_3974 Depth=2
	s_delay_alu instid0(SALU_CYCLE_1)
	s_or_b32 exec_lo, exec_lo, s26
.LBB6_5102:                             ;   in Loop: Header=BB6_3974 Depth=2
	s_delay_alu instid0(SALU_CYCLE_1) | instskip(NEXT) | instid1(VALU_DEP_1)
	s_or_b32 exec_lo, exec_lo, s7
	v_dual_mul_f32 v3, v2, v3 :: v_dual_mov_b32 v27, v87
                                        ; implicit-def: $vgpr111
	s_mov_b32 s7, exec_lo
	s_delay_alu instid0(VALU_DEP_1) | instskip(SKIP_1) | instid1(VALU_DEP_2)
	v_and_b32_e32 v26, 0x7f800000, v3
	v_lshrrev_b32_e32 v2, 24, v3
	v_cmpx_ne_u64_e32 0x7f800000, v[26:27]
	s_xor_b32 s26, exec_lo, s7
	s_cbranch_execz .LBB6_5116
; %bb.5103:                             ;   in Loop: Header=BB6_3974 Depth=2
	v_and_b32_e32 v26, 0x7fffffff, v3
	v_mov_b32_e32 v27, v87
	v_and_b32_e32 v2, 0x80, v2
                                        ; implicit-def: $vgpr111
	s_mov_b32 s7, exec_lo
	s_delay_alu instid0(VALU_DEP_2)
	v_cmpx_gt_u64_e32 0x43e00001, v[26:27]
	s_xor_b32 s27, exec_lo, s7
	s_cbranch_execz .LBB6_5113
; %bb.5104:                             ;   in Loop: Header=BB6_3974 Depth=2
	v_mov_b32_e32 v111, 0
	s_mov_b32 s28, exec_lo
	v_cmpx_ne_u32_e32 0, v3
	s_cbranch_execz .LBB6_5112
; %bb.5105:                             ;   in Loop: Header=BB6_3974 Depth=2
	v_bfe_u32 v31, v3, 23, 8
	v_and_b32_e32 v3, 0x7fffff, v3
	s_mov_b32 s29, exec_lo
	s_delay_alu instid0(VALU_DEP_2) | instskip(SKIP_1) | instid1(VALU_DEP_3)
	v_dual_mov_b32 v29, v87 :: v_dual_sub_nc_u32 v26, 0x79, v31
	v_cmp_gt_u32_e32 vcc_lo, 0x7a, v31
	v_or_b32_e32 v28, 0x800000, v3
	s_delay_alu instid0(VALU_DEP_3) | instskip(SKIP_1) | instid1(VALU_DEP_3)
	v_cndmask_b32_e32 v26, 0, v26, vcc_lo
	v_cmp_eq_u32_e32 vcc_lo, 0, v31
	v_cndmask_b32_e32 v28, v28, v3, vcc_lo
	s_delay_alu instid0(VALU_DEP_3) | instskip(NEXT) | instid1(VALU_DEP_1)
	v_cndmask_b32_e64 v54, v26, 0x78, vcc_lo
	v_dual_add_nc_u32 v26, 20, v54 :: v_dual_add_nc_u32 v55, 19, v54
	s_delay_alu instid0(VALU_DEP_1) | instskip(NEXT) | instid1(VALU_DEP_2)
	v_lshlrev_b64_e64 v[26:27], v26, -1
	v_lshlrev_b64_e64 v[102:103], v55, 1
	s_delay_alu instid0(VALU_DEP_2) | instskip(NEXT) | instid1(VALU_DEP_3)
	v_bfi_b32 v121, v27, 0, 0
	v_bfi_b32 v120, v26, 0, v28
	v_lshrrev_b64 v[26:27], v54, v[28:29]
	s_delay_alu instid0(VALU_DEP_1) | instskip(NEXT) | instid1(VALU_DEP_3)
	v_mov_b64_e32 v[28:29], v[26:27]
	v_cmpx_eq_u64_e64 v[120:121], v[102:103]
; %bb.5106:                             ;   in Loop: Header=BB6_3974 Depth=2
	v_bfe_u32 v28, v26, 20, 1
	v_mov_b32_e32 v29, v87
	s_delay_alu instid0(VALU_DEP_1) | instskip(NEXT) | instid1(VALU_DEP_1)
	v_add_nc_u64_e32 v[28:29], v[26:27], v[28:29]
	v_add_nc_u64_e32 v[28:29], -1, v[28:29]
; %bb.5107:                             ;   in Loop: Header=BB6_3974 Depth=2
	s_or_b32 exec_lo, exec_lo, s29
	v_add_nc_u32_e32 v3, 0xffffff81, v31
	v_lshrrev_b32_e32 v27, 23, v26
	s_mov_b32 s7, exec_lo
	s_delay_alu instid0(VALU_DEP_2) | instskip(NEXT) | instid1(VALU_DEP_1)
	v_cndmask_b32_e64 v3, v3, 0xffffff82, vcc_lo
	v_add3_u32 v29, v54, v3, v27
	v_and_b32_e32 v3, 0xfffff, v28
	s_delay_alu instid0(VALU_DEP_2) | instskip(NEXT) | instid1(VALU_DEP_2)
	v_dual_mov_b32 v27, v87 :: v_dual_add_nc_u32 v28, 6, v29
	v_add_nc_u32_e32 v26, v3, v26
                                        ; implicit-def: $vgpr3
	s_delay_alu instid0(VALU_DEP_2)
	v_cmpx_ne_u32_e32 0, v28
	s_xor_b32 s7, exec_lo, s7
; %bb.5108:                             ;   in Loop: Header=BB6_3974 Depth=2
	s_delay_alu instid0(VALU_DEP_2) | instskip(SKIP_1) | instid1(VALU_DEP_1)
	v_cmp_lt_u64_e32 vcc_lo, 0xffffff, v[26:27]
	v_add_nc_u32_e32 v3, 7, v29
	v_cndmask_b32_e32 v3, v28, v3, vcc_lo
	v_cndmask_b32_e64 v28, 0, 1, vcc_lo
	s_delay_alu instid0(VALU_DEP_1)
	v_lshrrev_b64 v[26:27], v28, v[26:27]
; %bb.5109:                             ;   in Loop: Header=BB6_3974 Depth=2
	s_and_not1_saveexec_b32 s7, s7
; %bb.5110:                             ;   in Loop: Header=BB6_3974 Depth=2
	s_delay_alu instid0(VALU_DEP_1)
	v_bfe_u32 v3, v26, 23, 1
; %bb.5111:                             ;   in Loop: Header=BB6_3974 Depth=2
	s_or_b32 exec_lo, exec_lo, s7
	s_delay_alu instid0(VALU_DEP_2) | instskip(NEXT) | instid1(VALU_DEP_2)
	v_lshrrev_b64 v[26:27], 20, v[26:27]
	v_cmp_gt_i32_e32 vcc_lo, 16, v3
	v_min_i32_e32 v28, 15, v3
	v_cmp_eq_u32_e64 s7, 0, v3
	s_delay_alu instid0(VALU_DEP_2) | instskip(SKIP_1) | instid1(VALU_DEP_2)
	v_dual_cndmask_b32 v26, 7, v26, vcc_lo :: v_dual_lshlrev_b32 v28, 3, v28
	v_cndmask_b32_e32 v27, 0, v27, vcc_lo
	v_and_b32_e32 v28, 0xf8, v28
	s_delay_alu instid0(VALU_DEP_2) | instskip(NEXT) | instid1(VALU_DEP_2)
	v_cmp_eq_u64_e32 vcc_lo, 0, v[26:27]
	v_and_or_b32 v3, v26, 7, v28
	s_and_b32 s7, s7, vcc_lo
	s_delay_alu instid0(VALU_DEP_1) | instid1(SALU_CYCLE_1)
	v_cndmask_b32_e64 v3, v3, 0, s7
	s_delay_alu instid0(VALU_DEP_1)
	v_or_b32_e32 v111, v3, v2
.LBB6_5112:                             ;   in Loop: Header=BB6_3974 Depth=2
	s_or_b32 exec_lo, exec_lo, s28
                                        ; implicit-def: $vgpr2
.LBB6_5113:                             ;   in Loop: Header=BB6_3974 Depth=2
	s_and_not1_saveexec_b32 s7, s27
; %bb.5114:                             ;   in Loop: Header=BB6_3974 Depth=2
	v_or_b32_e32 v111, 0x7e, v2
; %bb.5115:                             ;   in Loop: Header=BB6_3974 Depth=2
	s_or_b32 exec_lo, exec_lo, s7
                                        ; implicit-def: $vgpr2
.LBB6_5116:                             ;   in Loop: Header=BB6_3974 Depth=2
	s_and_not1_saveexec_b32 s7, s26
; %bb.5117:                             ;   in Loop: Header=BB6_3974 Depth=2
	v_or_b32_e32 v111, 0x7f, v2
; %bb.5118:                             ;   in Loop: Header=BB6_3974 Depth=2
	s_or_b32 exec_lo, exec_lo, s7
	v_lshrrev_b16 v26, 8, v86
	v_dual_mov_b32 v2, 0 :: v_dual_mov_b32 v3, 0
	s_mov_b32 s7, exec_lo
	s_delay_alu instid0(VALU_DEP_2)
	v_cmpx_ne_u16_e32 0, v26
	s_cbranch_execz .LBB6_5126
; %bb.5119:                             ;   in Loop: Header=BB6_3974 Depth=2
	v_bfrev_b32_e32 v3, 1
	s_mov_b32 s26, exec_lo
	v_cmpx_ne_u16_e32 0x80, v26
	s_cbranch_execz .LBB6_5125
; %bb.5120:                             ;   in Loop: Header=BB6_3974 Depth=2
	v_and_b32_e32 v26, 0xffff, v26
	v_mov_b32_e32 v3, 0x7f800001
	s_mov_b32 s27, exec_lo
	s_delay_alu instid0(VALU_DEP_2) | instskip(NEXT) | instid1(VALU_DEP_1)
	v_and_b32_e32 v28, 0x7f, v26
	v_cmpx_ne_u32_e32 0x7f, v28
	s_cbranch_execz .LBB6_5124
; %bb.5121:                             ;   in Loop: Header=BB6_3974 Depth=2
	v_dual_mov_b32 v27, v87 :: v_dual_bitop2_b32 v26, 7, v26 bitop3:0x40
	v_lshrrev_b32_e32 v3, 3, v28
	s_mov_b32 s28, exec_lo
	v_cmpx_gt_u32_e32 8, v28
; %bb.5122:                             ;   in Loop: Header=BB6_3974 Depth=2
	s_delay_alu instid0(VALU_DEP_3) | instskip(NEXT) | instid1(VALU_DEP_1)
	v_clz_i32_u32_e32 v3, v26
	v_min_u32_e32 v3, 32, v3
	s_delay_alu instid0(VALU_DEP_1) | instskip(NEXT) | instid1(VALU_DEP_1)
	v_subrev_nc_u32_e32 v28, 28, v3
	v_lshlrev_b64_e32 v[26:27], v28, v[26:27]
	s_delay_alu instid0(VALU_DEP_1)
	v_dual_sub_nc_u32 v3, 29, v3 :: v_dual_bitop2_b32 v26, 7, v26 bitop3:0x40
; %bb.5123:                             ;   in Loop: Header=BB6_3974 Depth=2
	s_or_b32 exec_lo, exec_lo, s28
	v_lshlrev_b32_e32 v27, 16, v86
	s_delay_alu instid0(VALU_DEP_2) | instskip(NEXT) | instid1(VALU_DEP_3)
	v_lshlrev_b32_e32 v26, 20, v26
	v_lshl_add_u32 v3, v3, 23, 0x3c000000
	s_delay_alu instid0(VALU_DEP_3) | instskip(NEXT) | instid1(VALU_DEP_1)
	v_and_b32_e32 v27, 0x80000000, v27
	v_or3_b32 v3, v26, v27, v3
.LBB6_5124:                             ;   in Loop: Header=BB6_3974 Depth=2
	s_or_b32 exec_lo, exec_lo, s27
.LBB6_5125:                             ;   in Loop: Header=BB6_3974 Depth=2
	s_delay_alu instid0(SALU_CYCLE_1)
	s_or_b32 exec_lo, exec_lo, s26
.LBB6_5126:                             ;   in Loop: Header=BB6_3974 Depth=2
	s_delay_alu instid0(SALU_CYCLE_1) | instskip(SKIP_2) | instid1(VALU_DEP_1)
	s_or_b32 exec_lo, exec_lo, s7
	v_lshrrev_b16 v26, 8, v19
	s_mov_b32 s7, exec_lo
	v_cmpx_ne_u16_e32 0, v26
	s_cbranch_execz .LBB6_5134
; %bb.5127:                             ;   in Loop: Header=BB6_3974 Depth=2
	v_bfrev_b32_e32 v2, 1
	s_mov_b32 s26, exec_lo
	v_cmpx_ne_u16_e32 0x80, v26
	s_cbranch_execz .LBB6_5133
; %bb.5128:                             ;   in Loop: Header=BB6_3974 Depth=2
	v_and_b32_e32 v27, 0xffff, v26
	v_mov_b32_e32 v2, 0x7f800001
	s_mov_b32 s27, exec_lo
	s_delay_alu instid0(VALU_DEP_2) | instskip(NEXT) | instid1(VALU_DEP_1)
	v_and_b32_e32 v26, 0x7f, v27
	v_cmpx_ne_u32_e32 0x7f, v26
	s_cbranch_execz .LBB6_5132
; %bb.5129:                             ;   in Loop: Header=BB6_3974 Depth=2
	v_dual_lshrrev_b32 v2, 3, v26 :: v_dual_bitop2_b32 v86, 7, v27 bitop3:0x40
	s_mov_b32 s28, exec_lo
	v_cmpx_gt_u32_e32 8, v26
; %bb.5130:                             ;   in Loop: Header=BB6_3974 Depth=2
	s_delay_alu instid0(VALU_DEP_2) | instskip(NEXT) | instid1(VALU_DEP_1)
	v_clz_i32_u32_e32 v2, v86
	v_min_u32_e32 v2, 32, v2
	s_delay_alu instid0(VALU_DEP_1) | instskip(SKIP_1) | instid1(VALU_DEP_2)
	v_subrev_nc_u32_e32 v26, 28, v2
	v_sub_nc_u32_e32 v2, 29, v2
	v_lshlrev_b64_e32 v[26:27], v26, v[86:87]
	s_delay_alu instid0(VALU_DEP_1)
	v_and_b32_e32 v86, 7, v26
; %bb.5131:                             ;   in Loop: Header=BB6_3974 Depth=2
	s_or_b32 exec_lo, exec_lo, s28
	s_delay_alu instid0(VALU_DEP_1) | instskip(SKIP_1) | instid1(VALU_DEP_2)
	v_dual_lshlrev_b32 v26, 16, v19 :: v_dual_lshlrev_b32 v27, 20, v86
	v_lshl_add_u32 v2, v2, 23, 0x3c000000
	v_and_b32_e32 v26, 0x80000000, v26
	s_delay_alu instid0(VALU_DEP_1)
	v_or3_b32 v2, v27, v26, v2
.LBB6_5132:                             ;   in Loop: Header=BB6_3974 Depth=2
	s_or_b32 exec_lo, exec_lo, s27
.LBB6_5133:                             ;   in Loop: Header=BB6_3974 Depth=2
	s_delay_alu instid0(SALU_CYCLE_1)
	s_or_b32 exec_lo, exec_lo, s26
.LBB6_5134:                             ;   in Loop: Header=BB6_3974 Depth=2
	s_delay_alu instid0(SALU_CYCLE_1) | instskip(NEXT) | instid1(VALU_DEP_1)
	s_or_b32 exec_lo, exec_lo, s7
	v_mul_f32_e32 v3, v3, v2
                                        ; implicit-def: $vgpr120
	s_mov_b32 s7, exec_lo
	s_delay_alu instid0(VALU_DEP_1) | instskip(SKIP_1) | instid1(VALU_DEP_2)
	v_and_b32_e32 v86, 0x7f800000, v3
	v_lshrrev_b32_e32 v2, 24, v3
	v_cmpx_ne_u64_e32 0x7f800000, v[86:87]
	s_xor_b32 s26, exec_lo, s7
	s_cbranch_execz .LBB6_5148
; %bb.5135:                             ;   in Loop: Header=BB6_3974 Depth=2
	v_and_b32_e32 v86, 0x7fffffff, v3
	v_and_b32_e32 v2, 0x80, v2
                                        ; implicit-def: $vgpr120
	s_mov_b32 s7, exec_lo
	s_delay_alu instid0(VALU_DEP_2)
	v_cmpx_gt_u64_e32 0x43e00001, v[86:87]
	s_xor_b32 s27, exec_lo, s7
	s_cbranch_execz .LBB6_5145
; %bb.5136:                             ;   in Loop: Header=BB6_3974 Depth=2
	v_mov_b32_e32 v120, 0
	s_mov_b32 s28, exec_lo
	v_cmpx_ne_u32_e32 0, v3
	s_cbranch_execz .LBB6_5144
; %bb.5137:                             ;   in Loop: Header=BB6_3974 Depth=2
	v_bfe_u32 v31, v3, 23, 8
	v_and_b32_e32 v3, 0x7fffff, v3
	s_delay_alu instid0(VALU_DEP_2) | instskip(SKIP_1) | instid1(VALU_DEP_3)
	v_sub_nc_u32_e32 v26, 0x79, v31
	v_cmp_gt_u32_e32 vcc_lo, 0x7a, v31
	v_or_b32_e32 v28, 0x800000, v3
	s_delay_alu instid0(VALU_DEP_3) | instskip(SKIP_1) | instid1(VALU_DEP_3)
	v_cndmask_b32_e32 v26, 0, v26, vcc_lo
	v_cmp_eq_u32_e32 vcc_lo, 0, v31
	v_cndmask_b32_e32 v86, v28, v3, vcc_lo
	s_delay_alu instid0(VALU_DEP_3) | instskip(NEXT) | instid1(VALU_DEP_1)
	v_cndmask_b32_e64 v54, v26, 0x78, vcc_lo
	v_dual_add_nc_u32 v26, 20, v54 :: v_dual_add_nc_u32 v29, 19, v54
	s_delay_alu instid0(VALU_DEP_1) | instskip(NEXT) | instid1(VALU_DEP_2)
	v_lshlrev_b64_e64 v[26:27], v26, -1
	v_lshlrev_b64_e64 v[28:29], v29, 1
	s_delay_alu instid0(VALU_DEP_2) | instskip(NEXT) | instid1(VALU_DEP_3)
	v_bfi_b32 v103, v27, 0, 0
	v_bfi_b32 v102, v26, 0, v86
	v_lshrrev_b64 v[26:27], v54, v[86:87]
	s_delay_alu instid0(VALU_DEP_2) | instskip(NEXT) | instid1(VALU_DEP_2)
	v_cmp_eq_u64_e64 s7, v[102:103], v[28:29]
	v_mov_b64_e32 v[28:29], v[26:27]
	s_and_saveexec_b32 s29, s7
; %bb.5138:                             ;   in Loop: Header=BB6_3974 Depth=2
	v_bfe_u32 v86, v26, 20, 1
	s_delay_alu instid0(VALU_DEP_1) | instskip(NEXT) | instid1(VALU_DEP_1)
	v_add_nc_u64_e32 v[28:29], v[26:27], v[86:87]
	v_add_nc_u64_e32 v[28:29], -1, v[28:29]
; %bb.5139:                             ;   in Loop: Header=BB6_3974 Depth=2
	s_or_b32 exec_lo, exec_lo, s29
	v_add_nc_u32_e32 v3, 0xffffff81, v31
	v_lshrrev_b32_e32 v27, 23, v26
	s_mov_b32 s7, exec_lo
	s_delay_alu instid0(VALU_DEP_2) | instskip(NEXT) | instid1(VALU_DEP_1)
	v_cndmask_b32_e64 v3, v3, 0xffffff82, vcc_lo
	v_add3_u32 v29, v54, v3, v27
	v_and_b32_e32 v3, 0xfffff, v28
	s_delay_alu instid0(VALU_DEP_1) | instskip(NEXT) | instid1(VALU_DEP_1)
	v_dual_add_nc_u32 v28, 6, v29 :: v_dual_add_nc_u32 v86, v3, v26
                                        ; implicit-def: $vgpr26_vgpr27
                                        ; implicit-def: $vgpr3
	v_cmpx_ne_u32_e32 0, v28
	s_xor_b32 s7, exec_lo, s7
; %bb.5140:                             ;   in Loop: Header=BB6_3974 Depth=2
	s_delay_alu instid0(VALU_DEP_2) | instskip(SKIP_2) | instid1(VALU_DEP_2)
	v_cmp_lt_u64_e32 vcc_lo, 0xffffff, v[86:87]
	v_add_nc_u32_e32 v3, 7, v29
	v_cndmask_b32_e64 v26, 0, 1, vcc_lo
	v_cndmask_b32_e32 v3, v28, v3, vcc_lo
	s_delay_alu instid0(VALU_DEP_2)
	v_lshrrev_b64 v[26:27], v26, v[86:87]
; %bb.5141:                             ;   in Loop: Header=BB6_3974 Depth=2
	s_and_not1_saveexec_b32 s7, s7
; %bb.5142:                             ;   in Loop: Header=BB6_3974 Depth=2
	v_mov_b64_e32 v[26:27], v[86:87]
	v_bfe_u32 v3, v86, 23, 1
; %bb.5143:                             ;   in Loop: Header=BB6_3974 Depth=2
	s_or_b32 exec_lo, exec_lo, s7
	s_delay_alu instid0(VALU_DEP_2) | instskip(NEXT) | instid1(VALU_DEP_2)
	v_lshrrev_b64 v[26:27], 20, v[26:27]
	v_cmp_gt_i32_e32 vcc_lo, 16, v3
	v_min_i32_e32 v28, 15, v3
	v_cmp_eq_u32_e64 s7, 0, v3
	s_delay_alu instid0(VALU_DEP_2) | instskip(SKIP_1) | instid1(VALU_DEP_2)
	v_dual_cndmask_b32 v26, 7, v26, vcc_lo :: v_dual_lshlrev_b32 v28, 3, v28
	v_cndmask_b32_e32 v27, 0, v27, vcc_lo
	v_and_b32_e32 v28, 0xf8, v28
	s_delay_alu instid0(VALU_DEP_2) | instskip(NEXT) | instid1(VALU_DEP_2)
	v_cmp_eq_u64_e32 vcc_lo, 0, v[26:27]
	v_and_or_b32 v3, v26, 7, v28
	s_and_b32 s7, s7, vcc_lo
	s_delay_alu instid0(VALU_DEP_1) | instid1(SALU_CYCLE_1)
	v_cndmask_b32_e64 v3, v3, 0, s7
	s_delay_alu instid0(VALU_DEP_1)
	v_or_b32_e32 v120, v3, v2
.LBB6_5144:                             ;   in Loop: Header=BB6_3974 Depth=2
	s_or_b32 exec_lo, exec_lo, s28
                                        ; implicit-def: $vgpr2
.LBB6_5145:                             ;   in Loop: Header=BB6_3974 Depth=2
	s_and_not1_saveexec_b32 s7, s27
; %bb.5146:                             ;   in Loop: Header=BB6_3974 Depth=2
	v_or_b32_e32 v120, 0x7e, v2
; %bb.5147:                             ;   in Loop: Header=BB6_3974 Depth=2
	s_or_b32 exec_lo, exec_lo, s7
                                        ; implicit-def: $vgpr2
.LBB6_5148:                             ;   in Loop: Header=BB6_3974 Depth=2
	s_and_not1_saveexec_b32 s7, s26
; %bb.5149:                             ;   in Loop: Header=BB6_3974 Depth=2
	v_or_b32_e32 v120, 0x7f, v2
; %bb.5150:                             ;   in Loop: Header=BB6_3974 Depth=2
	s_or_b32 exec_lo, exec_lo, s7
	v_dual_lshrrev_b32 v26, 16, v23 :: v_dual_mov_b32 v2, 0
	v_mov_b32_e32 v3, 0
	s_mov_b32 s7, exec_lo
	s_delay_alu instid0(VALU_DEP_2) | instskip(NEXT) | instid1(VALU_DEP_1)
	v_and_b32_e32 v27, 0xff, v26
	v_cmpx_ne_u16_e32 0, v27
	s_cbranch_execz .LBB6_5158
; %bb.5151:                             ;   in Loop: Header=BB6_3974 Depth=2
	v_bfrev_b32_e32 v3, 1
	s_mov_b32 s26, exec_lo
	v_cmpx_ne_u16_e32 0x80, v27
	s_cbranch_execz .LBB6_5157
; %bb.5152:                             ;   in Loop: Header=BB6_3974 Depth=2
	v_bfe_u32 v27, v23, 16, 7
	v_mov_b32_e32 v3, 0x7f800001
	s_mov_b32 s27, exec_lo
	s_delay_alu instid0(VALU_DEP_2)
	v_cmpx_ne_u32_e32 0x7f, v27
	s_cbranch_execz .LBB6_5156
; %bb.5153:                             ;   in Loop: Header=BB6_3974 Depth=2
	v_dual_lshrrev_b32 v3, 3, v27 :: v_dual_bitop2_b32 v86, 7, v26 bitop3:0x40
	s_mov_b32 s28, exec_lo
	v_cmpx_gt_u32_e32 8, v27
; %bb.5154:                             ;   in Loop: Header=BB6_3974 Depth=2
	s_delay_alu instid0(VALU_DEP_2) | instskip(NEXT) | instid1(VALU_DEP_1)
	v_clz_i32_u32_e32 v3, v86
	v_min_u32_e32 v3, 32, v3
	s_delay_alu instid0(VALU_DEP_1) | instskip(NEXT) | instid1(VALU_DEP_1)
	v_subrev_nc_u32_e32 v27, 28, v3
	v_lshlrev_b64_e32 v[28:29], v27, v[86:87]
	s_delay_alu instid0(VALU_DEP_1)
	v_dual_sub_nc_u32 v3, 29, v3 :: v_dual_bitop2_b32 v86, 7, v28 bitop3:0x40
; %bb.5155:                             ;   in Loop: Header=BB6_3974 Depth=2
	s_or_b32 exec_lo, exec_lo, s28
	v_lshlrev_b32_e32 v26, 24, v26
	s_delay_alu instid0(VALU_DEP_2) | instskip(NEXT) | instid1(VALU_DEP_3)
	v_lshlrev_b32_e32 v27, 20, v86
	v_lshl_add_u32 v3, v3, 23, 0x3c000000
	s_delay_alu instid0(VALU_DEP_3) | instskip(NEXT) | instid1(VALU_DEP_1)
	v_and_b32_e32 v26, 0x80000000, v26
	v_or3_b32 v3, v27, v26, v3
.LBB6_5156:                             ;   in Loop: Header=BB6_3974 Depth=2
	s_or_b32 exec_lo, exec_lo, s27
.LBB6_5157:                             ;   in Loop: Header=BB6_3974 Depth=2
	s_delay_alu instid0(SALU_CYCLE_1)
	s_or_b32 exec_lo, exec_lo, s26
.LBB6_5158:                             ;   in Loop: Header=BB6_3974 Depth=2
	s_delay_alu instid0(SALU_CYCLE_1) | instskip(SKIP_2) | instid1(VALU_DEP_1)
	s_or_b32 exec_lo, exec_lo, s7
	v_lshrrev_b32_e32 v26, 16, v19
	s_mov_b32 s7, exec_lo
	v_and_b32_e32 v27, 0xff, v26
	s_delay_alu instid0(VALU_DEP_1)
	v_cmpx_ne_u16_e32 0, v27
	s_cbranch_execz .LBB6_5166
; %bb.5159:                             ;   in Loop: Header=BB6_3974 Depth=2
	v_bfrev_b32_e32 v2, 1
	s_mov_b32 s26, exec_lo
	v_cmpx_ne_u16_e32 0x80, v27
	s_cbranch_execz .LBB6_5165
; %bb.5160:                             ;   in Loop: Header=BB6_3974 Depth=2
	v_bfe_u32 v27, v19, 16, 7
	v_mov_b32_e32 v2, 0x7f800001
	s_mov_b32 s27, exec_lo
	s_delay_alu instid0(VALU_DEP_2)
	v_cmpx_ne_u32_e32 0x7f, v27
	s_cbranch_execz .LBB6_5164
; %bb.5161:                             ;   in Loop: Header=BB6_3974 Depth=2
	v_dual_lshrrev_b32 v2, 3, v27 :: v_dual_bitop2_b32 v86, 7, v26 bitop3:0x40
	s_mov_b32 s28, exec_lo
	v_cmpx_gt_u32_e32 8, v27
; %bb.5162:                             ;   in Loop: Header=BB6_3974 Depth=2
	s_delay_alu instid0(VALU_DEP_2) | instskip(NEXT) | instid1(VALU_DEP_1)
	v_clz_i32_u32_e32 v2, v86
	v_min_u32_e32 v2, 32, v2
	s_delay_alu instid0(VALU_DEP_1) | instskip(SKIP_1) | instid1(VALU_DEP_2)
	v_subrev_nc_u32_e32 v26, 28, v2
	v_sub_nc_u32_e32 v2, 29, v2
	v_lshlrev_b64_e32 v[26:27], v26, v[86:87]
	s_delay_alu instid0(VALU_DEP_1)
	v_and_b32_e32 v86, 7, v26
; %bb.5163:                             ;   in Loop: Header=BB6_3974 Depth=2
	s_or_b32 exec_lo, exec_lo, s28
	s_delay_alu instid0(VALU_DEP_1) | instskip(SKIP_1) | instid1(VALU_DEP_2)
	v_dual_lshlrev_b32 v26, 8, v19 :: v_dual_lshlrev_b32 v27, 20, v86
	v_lshl_add_u32 v2, v2, 23, 0x3c000000
	v_and_b32_e32 v26, 0x80000000, v26
	s_delay_alu instid0(VALU_DEP_1)
	v_or3_b32 v2, v27, v26, v2
.LBB6_5164:                             ;   in Loop: Header=BB6_3974 Depth=2
	s_or_b32 exec_lo, exec_lo, s27
.LBB6_5165:                             ;   in Loop: Header=BB6_3974 Depth=2
	s_delay_alu instid0(SALU_CYCLE_1)
	s_or_b32 exec_lo, exec_lo, s26
.LBB6_5166:                             ;   in Loop: Header=BB6_3974 Depth=2
	s_delay_alu instid0(SALU_CYCLE_1) | instskip(NEXT) | instid1(VALU_DEP_1)
	s_or_b32 exec_lo, exec_lo, s7
	v_mul_f32_e32 v3, v3, v2
                                        ; implicit-def: $vgpr26
	s_mov_b32 s7, exec_lo
	s_delay_alu instid0(VALU_DEP_1) | instskip(SKIP_1) | instid1(VALU_DEP_2)
	v_and_b32_e32 v86, 0x7f800000, v3
	v_lshrrev_b32_e32 v2, 24, v3
	v_cmpx_ne_u64_e32 0x7f800000, v[86:87]
	s_xor_b32 s26, exec_lo, s7
	s_cbranch_execz .LBB6_5180
; %bb.5167:                             ;   in Loop: Header=BB6_3974 Depth=2
	v_and_b32_e32 v86, 0x7fffffff, v3
	v_and_b32_e32 v2, 0x80, v2
                                        ; implicit-def: $vgpr26
	s_mov_b32 s7, exec_lo
	s_delay_alu instid0(VALU_DEP_2)
	v_cmpx_gt_u64_e32 0x43e00001, v[86:87]
	s_xor_b32 s27, exec_lo, s7
	s_cbranch_execz .LBB6_5177
; %bb.5168:                             ;   in Loop: Header=BB6_3974 Depth=2
	v_mov_b32_e32 v26, 0
	s_mov_b32 s28, exec_lo
	v_cmpx_ne_u32_e32 0, v3
	s_cbranch_execz .LBB6_5176
; %bb.5169:                             ;   in Loop: Header=BB6_3974 Depth=2
	v_bfe_u32 v31, v3, 23, 8
	v_and_b32_e32 v3, 0x7fffff, v3
	s_delay_alu instid0(VALU_DEP_2) | instskip(SKIP_1) | instid1(VALU_DEP_3)
	v_sub_nc_u32_e32 v26, 0x79, v31
	v_cmp_gt_u32_e32 vcc_lo, 0x7a, v31
	v_or_b32_e32 v28, 0x800000, v3
	s_delay_alu instid0(VALU_DEP_3) | instskip(SKIP_1) | instid1(VALU_DEP_3)
	v_cndmask_b32_e32 v26, 0, v26, vcc_lo
	v_cmp_eq_u32_e32 vcc_lo, 0, v31
	v_cndmask_b32_e32 v86, v28, v3, vcc_lo
	s_delay_alu instid0(VALU_DEP_3) | instskip(NEXT) | instid1(VALU_DEP_1)
	v_cndmask_b32_e64 v54, v26, 0x78, vcc_lo
	v_dual_add_nc_u32 v26, 20, v54 :: v_dual_add_nc_u32 v29, 19, v54
	s_delay_alu instid0(VALU_DEP_1) | instskip(NEXT) | instid1(VALU_DEP_2)
	v_lshlrev_b64_e64 v[26:27], v26, -1
	v_lshlrev_b64_e64 v[28:29], v29, 1
	s_delay_alu instid0(VALU_DEP_2) | instskip(NEXT) | instid1(VALU_DEP_3)
	v_bfi_b32 v103, v27, 0, 0
	v_bfi_b32 v102, v26, 0, v86
	v_lshrrev_b64 v[26:27], v54, v[86:87]
	s_delay_alu instid0(VALU_DEP_2) | instskip(NEXT) | instid1(VALU_DEP_2)
	v_cmp_eq_u64_e64 s7, v[102:103], v[28:29]
	v_mov_b64_e32 v[28:29], v[26:27]
	s_and_saveexec_b32 s29, s7
; %bb.5170:                             ;   in Loop: Header=BB6_3974 Depth=2
	v_bfe_u32 v86, v26, 20, 1
	s_delay_alu instid0(VALU_DEP_1) | instskip(NEXT) | instid1(VALU_DEP_1)
	v_add_nc_u64_e32 v[28:29], v[26:27], v[86:87]
	v_add_nc_u64_e32 v[28:29], -1, v[28:29]
; %bb.5171:                             ;   in Loop: Header=BB6_3974 Depth=2
	s_or_b32 exec_lo, exec_lo, s29
	v_add_nc_u32_e32 v3, 0xffffff81, v31
	v_lshrrev_b32_e32 v27, 23, v26
	s_mov_b32 s7, exec_lo
	s_delay_alu instid0(VALU_DEP_2) | instskip(NEXT) | instid1(VALU_DEP_1)
	v_cndmask_b32_e64 v3, v3, 0xffffff82, vcc_lo
	v_add3_u32 v29, v54, v3, v27
	v_and_b32_e32 v3, 0xfffff, v28
	s_delay_alu instid0(VALU_DEP_1) | instskip(NEXT) | instid1(VALU_DEP_1)
	v_dual_add_nc_u32 v28, 6, v29 :: v_dual_add_nc_u32 v86, v3, v26
                                        ; implicit-def: $vgpr26_vgpr27
                                        ; implicit-def: $vgpr3
	v_cmpx_ne_u32_e32 0, v28
	s_xor_b32 s7, exec_lo, s7
; %bb.5172:                             ;   in Loop: Header=BB6_3974 Depth=2
	s_delay_alu instid0(VALU_DEP_2) | instskip(SKIP_2) | instid1(VALU_DEP_2)
	v_cmp_lt_u64_e32 vcc_lo, 0xffffff, v[86:87]
	v_add_nc_u32_e32 v3, 7, v29
	v_cndmask_b32_e64 v26, 0, 1, vcc_lo
	v_cndmask_b32_e32 v3, v28, v3, vcc_lo
	s_delay_alu instid0(VALU_DEP_2)
	v_lshrrev_b64 v[26:27], v26, v[86:87]
; %bb.5173:                             ;   in Loop: Header=BB6_3974 Depth=2
	s_and_not1_saveexec_b32 s7, s7
; %bb.5174:                             ;   in Loop: Header=BB6_3974 Depth=2
	v_mov_b64_e32 v[26:27], v[86:87]
	v_bfe_u32 v3, v86, 23, 1
; %bb.5175:                             ;   in Loop: Header=BB6_3974 Depth=2
	s_or_b32 exec_lo, exec_lo, s7
	s_delay_alu instid0(VALU_DEP_2) | instskip(NEXT) | instid1(VALU_DEP_2)
	v_lshrrev_b64 v[26:27], 20, v[26:27]
	v_cmp_gt_i32_e32 vcc_lo, 16, v3
	v_min_i32_e32 v28, 15, v3
	v_cmp_eq_u32_e64 s7, 0, v3
	s_delay_alu instid0(VALU_DEP_2) | instskip(SKIP_1) | instid1(VALU_DEP_2)
	v_dual_cndmask_b32 v26, 7, v26, vcc_lo :: v_dual_lshlrev_b32 v28, 3, v28
	v_cndmask_b32_e32 v27, 0, v27, vcc_lo
	v_and_b32_e32 v28, 0xf8, v28
	s_delay_alu instid0(VALU_DEP_2) | instskip(NEXT) | instid1(VALU_DEP_2)
	v_cmp_eq_u64_e32 vcc_lo, 0, v[26:27]
	v_and_or_b32 v3, v26, 7, v28
	s_and_b32 s7, s7, vcc_lo
	s_delay_alu instid0(VALU_DEP_1) | instid1(SALU_CYCLE_1)
	v_cndmask_b32_e64 v3, v3, 0, s7
	s_delay_alu instid0(VALU_DEP_1)
	v_or_b32_e32 v26, v3, v2
.LBB6_5176:                             ;   in Loop: Header=BB6_3974 Depth=2
	s_or_b32 exec_lo, exec_lo, s28
                                        ; implicit-def: $vgpr2
.LBB6_5177:                             ;   in Loop: Header=BB6_3974 Depth=2
	s_and_not1_saveexec_b32 s7, s27
; %bb.5178:                             ;   in Loop: Header=BB6_3974 Depth=2
	v_or_b32_e32 v26, 0x7e, v2
; %bb.5179:                             ;   in Loop: Header=BB6_3974 Depth=2
	s_or_b32 exec_lo, exec_lo, s7
                                        ; implicit-def: $vgpr2
.LBB6_5180:                             ;   in Loop: Header=BB6_3974 Depth=2
	s_and_not1_saveexec_b32 s7, s26
; %bb.5181:                             ;   in Loop: Header=BB6_3974 Depth=2
	v_or_b32_e32 v26, 0x7f, v2
; %bb.5182:                             ;   in Loop: Header=BB6_3974 Depth=2
	s_or_b32 exec_lo, exec_lo, s7
	v_dual_mov_b32 v2, 0 :: v_dual_mov_b32 v3, 0
	s_mov_b32 s7, exec_lo
	v_cmpx_lt_u64_e64 s[12:13], v[22:23]
	s_cbranch_execz .LBB6_5190
; %bb.5183:                             ;   in Loop: Header=BB6_3974 Depth=2
	v_lshrrev_b32_e32 v22, 24, v23
	v_bfrev_b32_e32 v3, 1
	s_mov_b32 s26, exec_lo
	s_delay_alu instid0(VALU_DEP_2)
	v_cmpx_ne_u32_e32 0x80, v22
	s_cbranch_execz .LBB6_5189
; %bb.5184:                             ;   in Loop: Header=BB6_3974 Depth=2
	v_bfe_u32 v23, v23, 24, 7
	v_mov_b32_e32 v3, 0x7f800001
	s_mov_b32 s27, exec_lo
	s_delay_alu instid0(VALU_DEP_2)
	v_cmpx_ne_u32_e32 0x7f, v23
	s_cbranch_execz .LBB6_5188
; %bb.5185:                             ;   in Loop: Header=BB6_3974 Depth=2
	v_dual_lshrrev_b32 v3, 3, v23 :: v_dual_bitop2_b32 v86, 7, v22 bitop3:0x40
	s_mov_b32 s28, exec_lo
	v_cmpx_gt_u32_e32 8, v23
; %bb.5186:                             ;   in Loop: Header=BB6_3974 Depth=2
	s_delay_alu instid0(VALU_DEP_2) | instskip(NEXT) | instid1(VALU_DEP_1)
	v_clz_i32_u32_e32 v3, v86
	v_min_u32_e32 v3, 32, v3
	s_delay_alu instid0(VALU_DEP_1) | instskip(NEXT) | instid1(VALU_DEP_1)
	v_subrev_nc_u32_e32 v23, 28, v3
	v_lshlrev_b64_e32 v[28:29], v23, v[86:87]
	s_delay_alu instid0(VALU_DEP_1)
	v_dual_sub_nc_u32 v3, 29, v3 :: v_dual_bitop2_b32 v86, 7, v28 bitop3:0x40
; %bb.5187:                             ;   in Loop: Header=BB6_3974 Depth=2
	s_or_b32 exec_lo, exec_lo, s28
	v_lshlrev_b32_e32 v22, 24, v22
	s_delay_alu instid0(VALU_DEP_2) | instskip(NEXT) | instid1(VALU_DEP_3)
	v_lshlrev_b32_e32 v23, 20, v86
	v_lshl_add_u32 v3, v3, 23, 0x3c000000
	s_delay_alu instid0(VALU_DEP_3) | instskip(NEXT) | instid1(VALU_DEP_1)
	v_and_b32_e32 v22, 0x80000000, v22
	v_or3_b32 v3, v23, v22, v3
.LBB6_5188:                             ;   in Loop: Header=BB6_3974 Depth=2
	s_or_b32 exec_lo, exec_lo, s27
.LBB6_5189:                             ;   in Loop: Header=BB6_3974 Depth=2
	s_delay_alu instid0(SALU_CYCLE_1)
	s_or_b32 exec_lo, exec_lo, s26
.LBB6_5190:                             ;   in Loop: Header=BB6_3974 Depth=2
	s_delay_alu instid0(SALU_CYCLE_1) | instskip(NEXT) | instid1(SALU_CYCLE_1)
	s_or_b32 exec_lo, exec_lo, s7
	s_mov_b32 s7, exec_lo
	v_cmpx_lt_u64_e64 s[12:13], v[18:19]
	s_cbranch_execz .LBB6_5198
; %bb.5191:                             ;   in Loop: Header=BB6_3974 Depth=2
	v_lshrrev_b32_e32 v18, 24, v19
	v_bfrev_b32_e32 v2, 1
	s_mov_b32 s26, exec_lo
	s_delay_alu instid0(VALU_DEP_2)
	v_cmpx_ne_u32_e32 0x80, v18
	s_cbranch_execz .LBB6_5197
; %bb.5192:                             ;   in Loop: Header=BB6_3974 Depth=2
	v_bfe_u32 v19, v19, 24, 7
	v_mov_b32_e32 v2, 0x7f800001
	s_mov_b32 s27, exec_lo
	s_delay_alu instid0(VALU_DEP_2)
	v_cmpx_ne_u32_e32 0x7f, v19
	s_cbranch_execz .LBB6_5196
; %bb.5193:                             ;   in Loop: Header=BB6_3974 Depth=2
	v_dual_lshrrev_b32 v2, 3, v19 :: v_dual_bitop2_b32 v86, 7, v18 bitop3:0x40
	s_mov_b32 s28, exec_lo
	v_cmpx_gt_u32_e32 8, v19
; %bb.5194:                             ;   in Loop: Header=BB6_3974 Depth=2
	s_delay_alu instid0(VALU_DEP_2) | instskip(NEXT) | instid1(VALU_DEP_1)
	v_clz_i32_u32_e32 v2, v86
	v_min_u32_e32 v2, 32, v2
	s_delay_alu instid0(VALU_DEP_1) | instskip(SKIP_1) | instid1(VALU_DEP_2)
	v_subrev_nc_u32_e32 v19, 28, v2
	v_sub_nc_u32_e32 v2, 29, v2
	v_lshlrev_b64_e32 v[22:23], v19, v[86:87]
	s_delay_alu instid0(VALU_DEP_1)
	v_and_b32_e32 v86, 7, v22
; %bb.5195:                             ;   in Loop: Header=BB6_3974 Depth=2
	s_or_b32 exec_lo, exec_lo, s28
	v_lshlrev_b32_e32 v18, 24, v18
	s_delay_alu instid0(VALU_DEP_2) | instskip(SKIP_1) | instid1(VALU_DEP_3)
	v_lshlrev_b32_e32 v19, 20, v86
	v_lshl_add_u32 v2, v2, 23, 0x3c000000
	v_and_b32_e32 v18, 0x80000000, v18
	s_delay_alu instid0(VALU_DEP_1)
	v_or3_b32 v2, v19, v18, v2
.LBB6_5196:                             ;   in Loop: Header=BB6_3974 Depth=2
	s_or_b32 exec_lo, exec_lo, s27
.LBB6_5197:                             ;   in Loop: Header=BB6_3974 Depth=2
	s_delay_alu instid0(SALU_CYCLE_1)
	s_or_b32 exec_lo, exec_lo, s26
.LBB6_5198:                             ;   in Loop: Header=BB6_3974 Depth=2
	s_delay_alu instid0(SALU_CYCLE_1) | instskip(NEXT) | instid1(VALU_DEP_1)
	s_or_b32 exec_lo, exec_lo, s7
	v_mul_f32_e32 v3, v3, v2
                                        ; implicit-def: $vgpr27
	s_mov_b32 s7, exec_lo
	s_delay_alu instid0(VALU_DEP_1) | instskip(SKIP_1) | instid1(VALU_DEP_2)
	v_and_b32_e32 v86, 0x7f800000, v3
	v_lshrrev_b32_e32 v2, 24, v3
	v_cmpx_ne_u64_e32 0x7f800000, v[86:87]
	s_xor_b32 s26, exec_lo, s7
	s_cbranch_execz .LBB6_5212
; %bb.5199:                             ;   in Loop: Header=BB6_3974 Depth=2
	v_and_b32_e32 v86, 0x7fffffff, v3
	v_and_b32_e32 v2, 0x80, v2
                                        ; implicit-def: $vgpr27
	s_mov_b32 s7, exec_lo
	s_delay_alu instid0(VALU_DEP_2)
	v_cmpx_gt_u64_e32 0x43e00001, v[86:87]
	s_xor_b32 s27, exec_lo, s7
	s_cbranch_execz .LBB6_5209
; %bb.5200:                             ;   in Loop: Header=BB6_3974 Depth=2
	v_mov_b32_e32 v27, 0
	s_mov_b32 s28, exec_lo
	v_cmpx_ne_u32_e32 0, v3
	s_cbranch_execz .LBB6_5208
; %bb.5201:                             ;   in Loop: Header=BB6_3974 Depth=2
	v_bfe_u32 v27, v3, 23, 8
	v_and_b32_e32 v3, 0x7fffff, v3
	s_delay_alu instid0(VALU_DEP_2) | instskip(SKIP_1) | instid1(VALU_DEP_3)
	v_sub_nc_u32_e32 v18, 0x79, v27
	v_cmp_gt_u32_e32 vcc_lo, 0x7a, v27
	v_or_b32_e32 v22, 0x800000, v3
	s_delay_alu instid0(VALU_DEP_3) | instskip(SKIP_1) | instid1(VALU_DEP_2)
	v_cndmask_b32_e32 v18, 0, v18, vcc_lo
	v_cmp_eq_u32_e32 vcc_lo, 0, v27
	v_cndmask_b32_e64 v28, v18, 0x78, vcc_lo
	s_delay_alu instid0(VALU_DEP_1) | instskip(SKIP_1) | instid1(VALU_DEP_2)
	v_dual_cndmask_b32 v86, v22, v3, vcc_lo :: v_dual_add_nc_u32 v18, 20, v28
	v_add_nc_u32_e32 v23, 19, v28
	v_lshlrev_b64_e64 v[18:19], v18, -1
	s_delay_alu instid0(VALU_DEP_2) | instskip(NEXT) | instid1(VALU_DEP_2)
	v_lshlrev_b64_e64 v[22:23], v23, 1
	v_bfi_b32 v55, v19, 0, 0
	s_delay_alu instid0(VALU_DEP_3) | instskip(SKIP_1) | instid1(VALU_DEP_2)
	v_bfi_b32 v54, v18, 0, v86
	v_lshrrev_b64 v[18:19], v28, v[86:87]
	v_cmp_eq_u64_e64 s7, v[54:55], v[22:23]
	s_delay_alu instid0(VALU_DEP_2)
	v_mov_b64_e32 v[22:23], v[18:19]
	s_and_saveexec_b32 s29, s7
; %bb.5202:                             ;   in Loop: Header=BB6_3974 Depth=2
	v_bfe_u32 v86, v18, 20, 1
	s_delay_alu instid0(VALU_DEP_1) | instskip(NEXT) | instid1(VALU_DEP_1)
	v_add_nc_u64_e32 v[22:23], v[18:19], v[86:87]
	v_add_nc_u64_e32 v[22:23], -1, v[22:23]
; %bb.5203:                             ;   in Loop: Header=BB6_3974 Depth=2
	s_or_b32 exec_lo, exec_lo, s29
	v_add_nc_u32_e32 v3, 0xffffff81, v27
	v_lshrrev_b32_e32 v19, 23, v18
	s_mov_b32 s7, exec_lo
	s_delay_alu instid0(VALU_DEP_2) | instskip(NEXT) | instid1(VALU_DEP_1)
	v_cndmask_b32_e64 v3, v3, 0xffffff82, vcc_lo
	v_add3_u32 v23, v28, v3, v19
	v_and_b32_e32 v3, 0xfffff, v22
	s_delay_alu instid0(VALU_DEP_1) | instskip(NEXT) | instid1(VALU_DEP_1)
	v_dual_add_nc_u32 v22, 6, v23 :: v_dual_add_nc_u32 v86, v3, v18
                                        ; implicit-def: $vgpr18_vgpr19
                                        ; implicit-def: $vgpr3
	v_cmpx_ne_u32_e32 0, v22
	s_xor_b32 s7, exec_lo, s7
; %bb.5204:                             ;   in Loop: Header=BB6_3974 Depth=2
	s_delay_alu instid0(VALU_DEP_2) | instskip(SKIP_2) | instid1(VALU_DEP_2)
	v_cmp_lt_u64_e32 vcc_lo, 0xffffff, v[86:87]
	v_add_nc_u32_e32 v3, 7, v23
	v_cndmask_b32_e64 v18, 0, 1, vcc_lo
	v_cndmask_b32_e32 v3, v22, v3, vcc_lo
	s_delay_alu instid0(VALU_DEP_2)
	v_lshrrev_b64 v[18:19], v18, v[86:87]
; %bb.5205:                             ;   in Loop: Header=BB6_3974 Depth=2
	s_and_not1_saveexec_b32 s7, s7
; %bb.5206:                             ;   in Loop: Header=BB6_3974 Depth=2
	v_mov_b64_e32 v[18:19], v[86:87]
	v_bfe_u32 v3, v86, 23, 1
; %bb.5207:                             ;   in Loop: Header=BB6_3974 Depth=2
	s_or_b32 exec_lo, exec_lo, s7
	s_delay_alu instid0(VALU_DEP_2) | instskip(NEXT) | instid1(VALU_DEP_2)
	v_lshrrev_b64 v[18:19], 20, v[18:19]
	v_cmp_gt_i32_e32 vcc_lo, 16, v3
	v_min_i32_e32 v22, 15, v3
	v_cmp_eq_u32_e64 s7, 0, v3
	s_delay_alu instid0(VALU_DEP_4) | instskip(NEXT) | instid1(VALU_DEP_3)
	v_cndmask_b32_e32 v18, 7, v18, vcc_lo
	v_dual_cndmask_b32 v19, 0, v19 :: v_dual_lshlrev_b32 v22, 3, v22
	s_delay_alu instid0(VALU_DEP_1) | instskip(NEXT) | instid1(VALU_DEP_2)
	v_and_b32_e32 v22, 0xf8, v22
	v_cmp_eq_u64_e32 vcc_lo, 0, v[18:19]
	s_delay_alu instid0(VALU_DEP_2)
	v_and_or_b32 v3, v18, 7, v22
	s_and_b32 s7, s7, vcc_lo
	s_delay_alu instid0(VALU_DEP_1) | instid1(SALU_CYCLE_1)
	v_cndmask_b32_e64 v3, v3, 0, s7
	s_delay_alu instid0(VALU_DEP_1)
	v_or_b32_e32 v27, v3, v2
.LBB6_5208:                             ;   in Loop: Header=BB6_3974 Depth=2
	s_or_b32 exec_lo, exec_lo, s28
                                        ; implicit-def: $vgpr2
.LBB6_5209:                             ;   in Loop: Header=BB6_3974 Depth=2
	s_and_not1_saveexec_b32 s7, s27
; %bb.5210:                             ;   in Loop: Header=BB6_3974 Depth=2
	v_or_b32_e32 v27, 0x7e, v2
; %bb.5211:                             ;   in Loop: Header=BB6_3974 Depth=2
	s_or_b32 exec_lo, exec_lo, s7
                                        ; implicit-def: $vgpr2
.LBB6_5212:                             ;   in Loop: Header=BB6_3974 Depth=2
	s_and_not1_saveexec_b32 s7, s26
; %bb.5213:                             ;   in Loop: Header=BB6_3974 Depth=2
	v_or_b32_e32 v27, 0x7f, v2
; %bb.5214:                             ;   in Loop: Header=BB6_3974 Depth=2
	s_or_b32 exec_lo, exec_lo, s7
	v_and_b32_e32 v18, 0xff, v24
	v_dual_mov_b32 v2, 0 :: v_dual_mov_b32 v3, 0
	s_mov_b32 s7, exec_lo
	s_delay_alu instid0(VALU_DEP_2)
	v_cmpx_ne_u16_e32 0, v18
	s_cbranch_execz .LBB6_5220
; %bb.5215:                             ;   in Loop: Header=BB6_3974 Depth=2
	v_bfrev_b32_e32 v3, 1
	s_mov_b32 s26, exec_lo
	v_cmpx_ne_u16_e32 0x80, v18
	s_cbranch_execz .LBB6_5219
; %bb.5216:                             ;   in Loop: Header=BB6_3974 Depth=2
	v_and_b32_e32 v18, 0x7f, v24
	v_mov_b32_e32 v3, 0x7f800001
	s_mov_b32 s27, exec_lo
	s_delay_alu instid0(VALU_DEP_2)
	v_cmpx_ne_u32_e32 0x7f, v18
	s_cbranch_execz .LBB6_5218
; %bb.5217:                             ;   in Loop: Header=BB6_3974 Depth=2
	v_dual_lshrrev_b32 v19, 3, v18 :: v_dual_bitop2_b32 v3, 7, v24 bitop3:0x40
	v_cmp_gt_u32_e32 vcc_lo, 8, v18
	s_delay_alu instid0(VALU_DEP_2) | instskip(NEXT) | instid1(VALU_DEP_1)
	v_clz_i32_u32_e32 v3, v3
	v_min_u32_e32 v3, 32, v3
	s_delay_alu instid0(VALU_DEP_1) | instskip(NEXT) | instid1(VALU_DEP_1)
	v_subrev_nc_u32_e32 v22, 28, v3
	v_dual_cndmask_b32 v18, 0, v22 :: v_dual_sub_nc_u32 v3, 29, v3
	s_delay_alu instid0(VALU_DEP_1) | instskip(NEXT) | instid1(VALU_DEP_2)
	v_cndmask_b32_e32 v3, v19, v3, vcc_lo
	v_lshlrev_b64_e32 v[18:19], v18, v[24:25]
	v_lshlrev_b32_e32 v19, 24, v24
	s_delay_alu instid0(VALU_DEP_3) | instskip(NEXT) | instid1(VALU_DEP_2)
	v_lshl_add_u32 v3, v3, 23, 0x3c000000
	v_and_b32_e32 v19, 0x80000000, v19
	s_delay_alu instid0(VALU_DEP_4) | instskip(NEXT) | instid1(VALU_DEP_1)
	v_lshlrev_b32_e32 v18, 20, v18
	v_and_b32_e32 v18, 0x700000, v18
	s_delay_alu instid0(VALU_DEP_1)
	v_or3_b32 v3, v18, v19, v3
.LBB6_5218:                             ;   in Loop: Header=BB6_3974 Depth=2
	s_or_b32 exec_lo, exec_lo, s27
.LBB6_5219:                             ;   in Loop: Header=BB6_3974 Depth=2
	s_delay_alu instid0(SALU_CYCLE_1)
	s_or_b32 exec_lo, exec_lo, s26
.LBB6_5220:                             ;   in Loop: Header=BB6_3974 Depth=2
	s_delay_alu instid0(SALU_CYCLE_1) | instskip(SKIP_2) | instid1(VALU_DEP_1)
	s_or_b32 exec_lo, exec_lo, s7
	v_and_b32_e32 v18, 0xff, v20
	s_mov_b32 s7, exec_lo
	v_cmpx_ne_u16_e32 0, v18
	s_cbranch_execz .LBB6_5226
; %bb.5221:                             ;   in Loop: Header=BB6_3974 Depth=2
	v_bfrev_b32_e32 v2, 1
	s_mov_b32 s26, exec_lo
	v_cmpx_ne_u16_e32 0x80, v18
	s_cbranch_execz .LBB6_5225
; %bb.5222:                             ;   in Loop: Header=BB6_3974 Depth=2
	v_and_b32_e32 v18, 0x7f, v20
	v_mov_b32_e32 v2, 0x7f800001
	s_mov_b32 s27, exec_lo
	s_delay_alu instid0(VALU_DEP_2)
	v_cmpx_ne_u32_e32 0x7f, v18
	s_cbranch_execz .LBB6_5224
; %bb.5223:                             ;   in Loop: Header=BB6_3974 Depth=2
	v_dual_lshrrev_b32 v19, 3, v18 :: v_dual_bitop2_b32 v2, 7, v20 bitop3:0x40
	v_cmp_gt_u32_e32 vcc_lo, 8, v18
	s_delay_alu instid0(VALU_DEP_2) | instskip(NEXT) | instid1(VALU_DEP_1)
	v_clz_i32_u32_e32 v2, v2
	v_min_u32_e32 v2, 32, v2
	s_delay_alu instid0(VALU_DEP_1) | instskip(SKIP_1) | instid1(VALU_DEP_2)
	v_subrev_nc_u32_e32 v22, 28, v2
	v_sub_nc_u32_e32 v2, 29, v2
	v_cndmask_b32_e32 v18, 0, v22, vcc_lo
	s_delay_alu instid0(VALU_DEP_2) | instskip(NEXT) | instid1(VALU_DEP_2)
	v_cndmask_b32_e32 v2, v19, v2, vcc_lo
	v_lshlrev_b64_e32 v[18:19], v18, v[20:21]
	v_lshlrev_b32_e32 v19, 24, v20
	s_delay_alu instid0(VALU_DEP_3) | instskip(NEXT) | instid1(VALU_DEP_2)
	v_lshl_add_u32 v2, v2, 23, 0x3c000000
	v_and_b32_e32 v19, 0x80000000, v19
	s_delay_alu instid0(VALU_DEP_4) | instskip(NEXT) | instid1(VALU_DEP_1)
	v_lshlrev_b32_e32 v18, 20, v18
	v_and_b32_e32 v18, 0x700000, v18
	s_delay_alu instid0(VALU_DEP_1)
	v_or3_b32 v2, v18, v19, v2
.LBB6_5224:                             ;   in Loop: Header=BB6_3974 Depth=2
	s_or_b32 exec_lo, exec_lo, s27
.LBB6_5225:                             ;   in Loop: Header=BB6_3974 Depth=2
	s_delay_alu instid0(SALU_CYCLE_1)
	s_or_b32 exec_lo, exec_lo, s26
.LBB6_5226:                             ;   in Loop: Header=BB6_3974 Depth=2
	s_delay_alu instid0(SALU_CYCLE_1) | instskip(NEXT) | instid1(VALU_DEP_1)
	s_or_b32 exec_lo, exec_lo, s7
	v_mul_f32_e32 v3, v3, v2
                                        ; implicit-def: $vgpr28
	s_mov_b32 s7, exec_lo
	s_delay_alu instid0(VALU_DEP_1) | instskip(SKIP_1) | instid1(VALU_DEP_2)
	v_and_b32_e32 v86, 0x7f800000, v3
	v_lshrrev_b32_e32 v2, 24, v3
	v_cmpx_ne_u64_e32 0x7f800000, v[86:87]
	s_xor_b32 s26, exec_lo, s7
	s_cbranch_execz .LBB6_5240
; %bb.5227:                             ;   in Loop: Header=BB6_3974 Depth=2
	v_and_b32_e32 v86, 0x7fffffff, v3
	v_and_b32_e32 v2, 0x80, v2
                                        ; implicit-def: $vgpr28
	s_mov_b32 s7, exec_lo
	s_delay_alu instid0(VALU_DEP_2)
	v_cmpx_gt_u64_e32 0x43e00001, v[86:87]
	s_xor_b32 s27, exec_lo, s7
	s_cbranch_execz .LBB6_5237
; %bb.5228:                             ;   in Loop: Header=BB6_3974 Depth=2
	v_mov_b32_e32 v28, 0
	s_mov_b32 s28, exec_lo
	v_cmpx_ne_u32_e32 0, v3
	s_cbranch_execz .LBB6_5236
; %bb.5229:                             ;   in Loop: Header=BB6_3974 Depth=2
	v_bfe_u32 v28, v3, 23, 8
	v_and_b32_e32 v3, 0x7fffff, v3
	s_delay_alu instid0(VALU_DEP_2) | instskip(SKIP_1) | instid1(VALU_DEP_3)
	v_sub_nc_u32_e32 v18, 0x79, v28
	v_cmp_gt_u32_e32 vcc_lo, 0x7a, v28
	v_or_b32_e32 v22, 0x800000, v3
	s_delay_alu instid0(VALU_DEP_3) | instskip(SKIP_1) | instid1(VALU_DEP_2)
	v_cndmask_b32_e32 v18, 0, v18, vcc_lo
	v_cmp_eq_u32_e32 vcc_lo, 0, v28
	v_cndmask_b32_e64 v29, v18, 0x78, vcc_lo
	s_delay_alu instid0(VALU_DEP_1) | instskip(SKIP_1) | instid1(VALU_DEP_2)
	v_dual_cndmask_b32 v86, v22, v3, vcc_lo :: v_dual_add_nc_u32 v18, 20, v29
	v_add_nc_u32_e32 v23, 19, v29
	v_lshlrev_b64_e64 v[18:19], v18, -1
	s_delay_alu instid0(VALU_DEP_2) | instskip(NEXT) | instid1(VALU_DEP_2)
	v_lshlrev_b64_e64 v[22:23], v23, 1
	v_bfi_b32 v55, v19, 0, 0
	s_delay_alu instid0(VALU_DEP_3) | instskip(SKIP_1) | instid1(VALU_DEP_2)
	v_bfi_b32 v54, v18, 0, v86
	v_lshrrev_b64 v[18:19], v29, v[86:87]
	v_cmp_eq_u64_e64 s7, v[54:55], v[22:23]
	s_delay_alu instid0(VALU_DEP_2)
	v_mov_b64_e32 v[22:23], v[18:19]
	s_and_saveexec_b32 s29, s7
; %bb.5230:                             ;   in Loop: Header=BB6_3974 Depth=2
	v_bfe_u32 v86, v18, 20, 1
	s_delay_alu instid0(VALU_DEP_1) | instskip(NEXT) | instid1(VALU_DEP_1)
	v_add_nc_u64_e32 v[22:23], v[18:19], v[86:87]
	v_add_nc_u64_e32 v[22:23], -1, v[22:23]
; %bb.5231:                             ;   in Loop: Header=BB6_3974 Depth=2
	s_or_b32 exec_lo, exec_lo, s29
	v_add_nc_u32_e32 v3, 0xffffff81, v28
	v_lshrrev_b32_e32 v19, 23, v18
	s_mov_b32 s7, exec_lo
	s_delay_alu instid0(VALU_DEP_2) | instskip(NEXT) | instid1(VALU_DEP_1)
	v_cndmask_b32_e64 v3, v3, 0xffffff82, vcc_lo
	v_add3_u32 v23, v29, v3, v19
	v_and_b32_e32 v3, 0xfffff, v22
	s_delay_alu instid0(VALU_DEP_1) | instskip(NEXT) | instid1(VALU_DEP_1)
	v_dual_add_nc_u32 v22, 6, v23 :: v_dual_add_nc_u32 v86, v3, v18
                                        ; implicit-def: $vgpr18_vgpr19
                                        ; implicit-def: $vgpr3
	v_cmpx_ne_u32_e32 0, v22
	s_xor_b32 s7, exec_lo, s7
; %bb.5232:                             ;   in Loop: Header=BB6_3974 Depth=2
	s_delay_alu instid0(VALU_DEP_2) | instskip(SKIP_2) | instid1(VALU_DEP_2)
	v_cmp_lt_u64_e32 vcc_lo, 0xffffff, v[86:87]
	v_add_nc_u32_e32 v3, 7, v23
	v_cndmask_b32_e64 v18, 0, 1, vcc_lo
	v_cndmask_b32_e32 v3, v22, v3, vcc_lo
	s_delay_alu instid0(VALU_DEP_2)
	v_lshrrev_b64 v[18:19], v18, v[86:87]
; %bb.5233:                             ;   in Loop: Header=BB6_3974 Depth=2
	s_and_not1_saveexec_b32 s7, s7
; %bb.5234:                             ;   in Loop: Header=BB6_3974 Depth=2
	v_mov_b64_e32 v[18:19], v[86:87]
	v_bfe_u32 v3, v86, 23, 1
; %bb.5235:                             ;   in Loop: Header=BB6_3974 Depth=2
	s_or_b32 exec_lo, exec_lo, s7
	s_delay_alu instid0(VALU_DEP_2) | instskip(NEXT) | instid1(VALU_DEP_2)
	v_lshrrev_b64 v[18:19], 20, v[18:19]
	v_cmp_gt_i32_e32 vcc_lo, 16, v3
	v_min_i32_e32 v22, 15, v3
	v_cmp_eq_u32_e64 s7, 0, v3
	s_delay_alu instid0(VALU_DEP_4) | instskip(NEXT) | instid1(VALU_DEP_3)
	v_cndmask_b32_e32 v18, 7, v18, vcc_lo
	v_dual_cndmask_b32 v19, 0, v19 :: v_dual_lshlrev_b32 v22, 3, v22
	s_delay_alu instid0(VALU_DEP_1) | instskip(NEXT) | instid1(VALU_DEP_2)
	v_and_b32_e32 v22, 0xf8, v22
	v_cmp_eq_u64_e32 vcc_lo, 0, v[18:19]
	s_delay_alu instid0(VALU_DEP_2)
	v_and_or_b32 v3, v18, 7, v22
	s_and_b32 s7, s7, vcc_lo
	s_delay_alu instid0(VALU_DEP_1) | instid1(SALU_CYCLE_1)
	v_cndmask_b32_e64 v3, v3, 0, s7
	s_delay_alu instid0(VALU_DEP_1)
	v_or_b32_e32 v28, v3, v2
.LBB6_5236:                             ;   in Loop: Header=BB6_3974 Depth=2
	s_or_b32 exec_lo, exec_lo, s28
                                        ; implicit-def: $vgpr2
.LBB6_5237:                             ;   in Loop: Header=BB6_3974 Depth=2
	s_and_not1_saveexec_b32 s7, s27
; %bb.5238:                             ;   in Loop: Header=BB6_3974 Depth=2
	v_or_b32_e32 v28, 0x7e, v2
; %bb.5239:                             ;   in Loop: Header=BB6_3974 Depth=2
	s_or_b32 exec_lo, exec_lo, s7
                                        ; implicit-def: $vgpr2
.LBB6_5240:                             ;   in Loop: Header=BB6_3974 Depth=2
	s_and_not1_saveexec_b32 s7, s26
; %bb.5241:                             ;   in Loop: Header=BB6_3974 Depth=2
	v_or_b32_e32 v28, 0x7f, v2
; %bb.5242:                             ;   in Loop: Header=BB6_3974 Depth=2
	s_or_b32 exec_lo, exec_lo, s7
	v_lshrrev_b16 v18, 8, v24
	v_dual_mov_b32 v2, 0 :: v_dual_mov_b32 v3, 0
	s_mov_b32 s7, exec_lo
	s_delay_alu instid0(VALU_DEP_2)
	v_cmpx_ne_u16_e32 0, v18
	s_cbranch_execz .LBB6_5250
; %bb.5243:                             ;   in Loop: Header=BB6_3974 Depth=2
	v_bfrev_b32_e32 v3, 1
	s_mov_b32 s26, exec_lo
	v_cmpx_ne_u16_e32 0x80, v18
	s_cbranch_execz .LBB6_5249
; %bb.5244:                             ;   in Loop: Header=BB6_3974 Depth=2
	v_and_b32_e32 v19, 0xffff, v18
	v_mov_b32_e32 v3, 0x7f800001
	s_mov_b32 s27, exec_lo
	s_delay_alu instid0(VALU_DEP_2) | instskip(NEXT) | instid1(VALU_DEP_1)
	v_and_b32_e32 v18, 0x7f, v19
	v_cmpx_ne_u32_e32 0x7f, v18
	s_cbranch_execz .LBB6_5248
; %bb.5245:                             ;   in Loop: Header=BB6_3974 Depth=2
	v_dual_lshrrev_b32 v3, 3, v18 :: v_dual_bitop2_b32 v86, 7, v19 bitop3:0x40
	s_mov_b32 s28, exec_lo
	v_cmpx_gt_u32_e32 8, v18
; %bb.5246:                             ;   in Loop: Header=BB6_3974 Depth=2
	s_delay_alu instid0(VALU_DEP_2) | instskip(NEXT) | instid1(VALU_DEP_1)
	v_clz_i32_u32_e32 v3, v86
	v_min_u32_e32 v3, 32, v3
	s_delay_alu instid0(VALU_DEP_1) | instskip(NEXT) | instid1(VALU_DEP_1)
	v_subrev_nc_u32_e32 v18, 28, v3
	v_lshlrev_b64_e32 v[18:19], v18, v[86:87]
	s_delay_alu instid0(VALU_DEP_1)
	v_dual_sub_nc_u32 v3, 29, v3 :: v_dual_bitop2_b32 v86, 7, v18 bitop3:0x40
; %bb.5247:                             ;   in Loop: Header=BB6_3974 Depth=2
	s_or_b32 exec_lo, exec_lo, s28
	s_delay_alu instid0(VALU_DEP_1) | instskip(NEXT) | instid1(VALU_DEP_2)
	v_dual_lshlrev_b32 v18, 16, v24 :: v_dual_lshlrev_b32 v19, 20, v86
	v_lshl_add_u32 v3, v3, 23, 0x3c000000
	s_delay_alu instid0(VALU_DEP_2) | instskip(NEXT) | instid1(VALU_DEP_1)
	v_and_b32_e32 v18, 0x80000000, v18
	v_or3_b32 v3, v19, v18, v3
.LBB6_5248:                             ;   in Loop: Header=BB6_3974 Depth=2
	s_or_b32 exec_lo, exec_lo, s27
.LBB6_5249:                             ;   in Loop: Header=BB6_3974 Depth=2
	s_delay_alu instid0(SALU_CYCLE_1)
	s_or_b32 exec_lo, exec_lo, s26
.LBB6_5250:                             ;   in Loop: Header=BB6_3974 Depth=2
	s_delay_alu instid0(SALU_CYCLE_1) | instskip(SKIP_2) | instid1(VALU_DEP_1)
	s_or_b32 exec_lo, exec_lo, s7
	v_lshrrev_b16 v18, 8, v20
	s_mov_b32 s7, exec_lo
	v_cmpx_ne_u16_e32 0, v18
	s_cbranch_execz .LBB6_5258
; %bb.5251:                             ;   in Loop: Header=BB6_3974 Depth=2
	v_bfrev_b32_e32 v2, 1
	s_mov_b32 s26, exec_lo
	v_cmpx_ne_u16_e32 0x80, v18
	s_cbranch_execz .LBB6_5257
; %bb.5252:                             ;   in Loop: Header=BB6_3974 Depth=2
	v_and_b32_e32 v19, 0xffff, v18
	v_mov_b32_e32 v2, 0x7f800001
	s_mov_b32 s27, exec_lo
	s_delay_alu instid0(VALU_DEP_2) | instskip(NEXT) | instid1(VALU_DEP_1)
	v_and_b32_e32 v18, 0x7f, v19
	v_cmpx_ne_u32_e32 0x7f, v18
	s_cbranch_execz .LBB6_5256
; %bb.5253:                             ;   in Loop: Header=BB6_3974 Depth=2
	v_dual_lshrrev_b32 v2, 3, v18 :: v_dual_bitop2_b32 v86, 7, v19 bitop3:0x40
	s_mov_b32 s28, exec_lo
	v_cmpx_gt_u32_e32 8, v18
; %bb.5254:                             ;   in Loop: Header=BB6_3974 Depth=2
	s_delay_alu instid0(VALU_DEP_2) | instskip(NEXT) | instid1(VALU_DEP_1)
	v_clz_i32_u32_e32 v2, v86
	v_min_u32_e32 v2, 32, v2
	s_delay_alu instid0(VALU_DEP_1) | instskip(SKIP_1) | instid1(VALU_DEP_2)
	v_subrev_nc_u32_e32 v18, 28, v2
	v_sub_nc_u32_e32 v2, 29, v2
	v_lshlrev_b64_e32 v[18:19], v18, v[86:87]
	s_delay_alu instid0(VALU_DEP_1)
	v_and_b32_e32 v86, 7, v18
; %bb.5255:                             ;   in Loop: Header=BB6_3974 Depth=2
	s_or_b32 exec_lo, exec_lo, s28
	s_delay_alu instid0(VALU_DEP_1) | instskip(SKIP_1) | instid1(VALU_DEP_2)
	v_dual_lshlrev_b32 v18, 16, v20 :: v_dual_lshlrev_b32 v19, 20, v86
	v_lshl_add_u32 v2, v2, 23, 0x3c000000
	v_and_b32_e32 v18, 0x80000000, v18
	s_delay_alu instid0(VALU_DEP_1)
	v_or3_b32 v2, v19, v18, v2
.LBB6_5256:                             ;   in Loop: Header=BB6_3974 Depth=2
	s_or_b32 exec_lo, exec_lo, s27
.LBB6_5257:                             ;   in Loop: Header=BB6_3974 Depth=2
	s_delay_alu instid0(SALU_CYCLE_1)
	s_or_b32 exec_lo, exec_lo, s26
.LBB6_5258:                             ;   in Loop: Header=BB6_3974 Depth=2
	s_delay_alu instid0(SALU_CYCLE_1) | instskip(NEXT) | instid1(VALU_DEP_1)
	s_or_b32 exec_lo, exec_lo, s7
	v_mul_f32_e32 v3, v3, v2
                                        ; implicit-def: $vgpr29
	s_mov_b32 s7, exec_lo
	s_delay_alu instid0(VALU_DEP_1) | instskip(SKIP_1) | instid1(VALU_DEP_2)
	v_and_b32_e32 v86, 0x7f800000, v3
	v_lshrrev_b32_e32 v2, 24, v3
	v_cmpx_ne_u64_e32 0x7f800000, v[86:87]
	s_xor_b32 s26, exec_lo, s7
	s_cbranch_execz .LBB6_5272
; %bb.5259:                             ;   in Loop: Header=BB6_3974 Depth=2
	v_and_b32_e32 v86, 0x7fffffff, v3
	v_and_b32_e32 v2, 0x80, v2
                                        ; implicit-def: $vgpr29
	s_mov_b32 s7, exec_lo
	s_delay_alu instid0(VALU_DEP_2)
	v_cmpx_gt_u64_e32 0x43e00001, v[86:87]
	s_xor_b32 s27, exec_lo, s7
	s_cbranch_execz .LBB6_5269
; %bb.5260:                             ;   in Loop: Header=BB6_3974 Depth=2
	v_mov_b32_e32 v29, 0
	s_mov_b32 s28, exec_lo
	v_cmpx_ne_u32_e32 0, v3
	s_cbranch_execz .LBB6_5268
; %bb.5261:                             ;   in Loop: Header=BB6_3974 Depth=2
	v_bfe_u32 v29, v3, 23, 8
	v_and_b32_e32 v3, 0x7fffff, v3
	s_delay_alu instid0(VALU_DEP_2) | instskip(SKIP_1) | instid1(VALU_DEP_3)
	v_sub_nc_u32_e32 v18, 0x79, v29
	v_cmp_gt_u32_e32 vcc_lo, 0x7a, v29
	v_or_b32_e32 v22, 0x800000, v3
	s_delay_alu instid0(VALU_DEP_3) | instskip(SKIP_1) | instid1(VALU_DEP_2)
	v_cndmask_b32_e32 v18, 0, v18, vcc_lo
	v_cmp_eq_u32_e32 vcc_lo, 0, v29
	v_cndmask_b32_e64 v31, v18, 0x78, vcc_lo
	s_delay_alu instid0(VALU_DEP_4) | instskip(NEXT) | instid1(VALU_DEP_2)
	v_cndmask_b32_e32 v86, v22, v3, vcc_lo
	v_dual_add_nc_u32 v18, 20, v31 :: v_dual_add_nc_u32 v23, 19, v31
	s_delay_alu instid0(VALU_DEP_1) | instskip(NEXT) | instid1(VALU_DEP_2)
	v_lshlrev_b64_e64 v[18:19], v18, -1
	v_lshlrev_b64_e64 v[22:23], v23, 1
	s_delay_alu instid0(VALU_DEP_2) | instskip(NEXT) | instid1(VALU_DEP_3)
	v_bfi_b32 v55, v19, 0, 0
	v_bfi_b32 v54, v18, 0, v86
	v_lshrrev_b64 v[18:19], v31, v[86:87]
	s_delay_alu instid0(VALU_DEP_2) | instskip(NEXT) | instid1(VALU_DEP_2)
	v_cmp_eq_u64_e64 s7, v[54:55], v[22:23]
	v_mov_b64_e32 v[22:23], v[18:19]
	s_and_saveexec_b32 s29, s7
; %bb.5262:                             ;   in Loop: Header=BB6_3974 Depth=2
	v_bfe_u32 v86, v18, 20, 1
	s_delay_alu instid0(VALU_DEP_1) | instskip(NEXT) | instid1(VALU_DEP_1)
	v_add_nc_u64_e32 v[22:23], v[18:19], v[86:87]
	v_add_nc_u64_e32 v[22:23], -1, v[22:23]
; %bb.5263:                             ;   in Loop: Header=BB6_3974 Depth=2
	s_or_b32 exec_lo, exec_lo, s29
	v_add_nc_u32_e32 v3, 0xffffff81, v29
	v_lshrrev_b32_e32 v19, 23, v18
	s_mov_b32 s7, exec_lo
	s_delay_alu instid0(VALU_DEP_2) | instskip(NEXT) | instid1(VALU_DEP_1)
	v_cndmask_b32_e64 v3, v3, 0xffffff82, vcc_lo
	v_add3_u32 v23, v31, v3, v19
	v_and_b32_e32 v3, 0xfffff, v22
	s_delay_alu instid0(VALU_DEP_1) | instskip(NEXT) | instid1(VALU_DEP_1)
	v_dual_add_nc_u32 v22, 6, v23 :: v_dual_add_nc_u32 v86, v3, v18
                                        ; implicit-def: $vgpr18_vgpr19
                                        ; implicit-def: $vgpr3
	v_cmpx_ne_u32_e32 0, v22
	s_xor_b32 s7, exec_lo, s7
; %bb.5264:                             ;   in Loop: Header=BB6_3974 Depth=2
	s_delay_alu instid0(VALU_DEP_2) | instskip(SKIP_2) | instid1(VALU_DEP_2)
	v_cmp_lt_u64_e32 vcc_lo, 0xffffff, v[86:87]
	v_add_nc_u32_e32 v3, 7, v23
	v_cndmask_b32_e64 v18, 0, 1, vcc_lo
	v_cndmask_b32_e32 v3, v22, v3, vcc_lo
	s_delay_alu instid0(VALU_DEP_2)
	v_lshrrev_b64 v[18:19], v18, v[86:87]
; %bb.5265:                             ;   in Loop: Header=BB6_3974 Depth=2
	s_and_not1_saveexec_b32 s7, s7
; %bb.5266:                             ;   in Loop: Header=BB6_3974 Depth=2
	v_mov_b64_e32 v[18:19], v[86:87]
	v_bfe_u32 v3, v86, 23, 1
; %bb.5267:                             ;   in Loop: Header=BB6_3974 Depth=2
	s_or_b32 exec_lo, exec_lo, s7
	s_delay_alu instid0(VALU_DEP_2) | instskip(NEXT) | instid1(VALU_DEP_2)
	v_lshrrev_b64 v[18:19], 20, v[18:19]
	v_cmp_gt_i32_e32 vcc_lo, 16, v3
	v_min_i32_e32 v22, 15, v3
	v_cmp_eq_u32_e64 s7, 0, v3
	s_delay_alu instid0(VALU_DEP_4) | instskip(NEXT) | instid1(VALU_DEP_3)
	v_cndmask_b32_e32 v18, 7, v18, vcc_lo
	v_dual_cndmask_b32 v19, 0, v19 :: v_dual_lshlrev_b32 v22, 3, v22
	s_delay_alu instid0(VALU_DEP_1) | instskip(NEXT) | instid1(VALU_DEP_2)
	v_and_b32_e32 v22, 0xf8, v22
	v_cmp_eq_u64_e32 vcc_lo, 0, v[18:19]
	s_delay_alu instid0(VALU_DEP_2)
	v_and_or_b32 v3, v18, 7, v22
	s_and_b32 s7, s7, vcc_lo
	s_delay_alu instid0(VALU_DEP_1) | instid1(SALU_CYCLE_1)
	v_cndmask_b32_e64 v3, v3, 0, s7
	s_delay_alu instid0(VALU_DEP_1)
	v_or_b32_e32 v29, v3, v2
.LBB6_5268:                             ;   in Loop: Header=BB6_3974 Depth=2
	s_or_b32 exec_lo, exec_lo, s28
                                        ; implicit-def: $vgpr2
.LBB6_5269:                             ;   in Loop: Header=BB6_3974 Depth=2
	s_and_not1_saveexec_b32 s7, s27
; %bb.5270:                             ;   in Loop: Header=BB6_3974 Depth=2
	v_or_b32_e32 v29, 0x7e, v2
; %bb.5271:                             ;   in Loop: Header=BB6_3974 Depth=2
	s_or_b32 exec_lo, exec_lo, s7
                                        ; implicit-def: $vgpr2
.LBB6_5272:                             ;   in Loop: Header=BB6_3974 Depth=2
	s_and_not1_saveexec_b32 s7, s26
; %bb.5273:                             ;   in Loop: Header=BB6_3974 Depth=2
	v_or_b32_e32 v29, 0x7f, v2
; %bb.5274:                             ;   in Loop: Header=BB6_3974 Depth=2
	s_or_b32 exec_lo, exec_lo, s7
	v_dual_lshrrev_b32 v18, 16, v24 :: v_dual_mov_b32 v2, 0
	v_mov_b32_e32 v3, 0
	s_mov_b32 s7, exec_lo
	s_delay_alu instid0(VALU_DEP_2) | instskip(NEXT) | instid1(VALU_DEP_1)
	v_and_b32_e32 v19, 0xff, v18
	v_cmpx_ne_u16_e32 0, v19
	s_cbranch_execz .LBB6_5282
; %bb.5275:                             ;   in Loop: Header=BB6_3974 Depth=2
	v_bfrev_b32_e32 v3, 1
	s_mov_b32 s26, exec_lo
	v_cmpx_ne_u16_e32 0x80, v19
	s_cbranch_execz .LBB6_5281
; %bb.5276:                             ;   in Loop: Header=BB6_3974 Depth=2
	v_bfe_u32 v19, v24, 16, 7
	v_mov_b32_e32 v3, 0x7f800001
	s_mov_b32 s27, exec_lo
	s_delay_alu instid0(VALU_DEP_2)
	v_cmpx_ne_u32_e32 0x7f, v19
	s_cbranch_execz .LBB6_5280
; %bb.5277:                             ;   in Loop: Header=BB6_3974 Depth=2
	v_dual_lshrrev_b32 v3, 3, v19 :: v_dual_bitop2_b32 v86, 7, v18 bitop3:0x40
	s_mov_b32 s28, exec_lo
	v_cmpx_gt_u32_e32 8, v19
; %bb.5278:                             ;   in Loop: Header=BB6_3974 Depth=2
	s_delay_alu instid0(VALU_DEP_2) | instskip(NEXT) | instid1(VALU_DEP_1)
	v_clz_i32_u32_e32 v3, v86
	v_min_u32_e32 v3, 32, v3
	s_delay_alu instid0(VALU_DEP_1) | instskip(NEXT) | instid1(VALU_DEP_1)
	v_subrev_nc_u32_e32 v19, 28, v3
	v_lshlrev_b64_e32 v[22:23], v19, v[86:87]
	s_delay_alu instid0(VALU_DEP_1)
	v_dual_sub_nc_u32 v3, 29, v3 :: v_dual_bitop2_b32 v86, 7, v22 bitop3:0x40
; %bb.5279:                             ;   in Loop: Header=BB6_3974 Depth=2
	s_or_b32 exec_lo, exec_lo, s28
	v_lshlrev_b32_e32 v18, 24, v18
	s_delay_alu instid0(VALU_DEP_2) | instskip(NEXT) | instid1(VALU_DEP_3)
	v_lshlrev_b32_e32 v19, 20, v86
	v_lshl_add_u32 v3, v3, 23, 0x3c000000
	s_delay_alu instid0(VALU_DEP_3) | instskip(NEXT) | instid1(VALU_DEP_1)
	v_and_b32_e32 v18, 0x80000000, v18
	v_or3_b32 v3, v19, v18, v3
.LBB6_5280:                             ;   in Loop: Header=BB6_3974 Depth=2
	s_or_b32 exec_lo, exec_lo, s27
.LBB6_5281:                             ;   in Loop: Header=BB6_3974 Depth=2
	s_delay_alu instid0(SALU_CYCLE_1)
	s_or_b32 exec_lo, exec_lo, s26
.LBB6_5282:                             ;   in Loop: Header=BB6_3974 Depth=2
	s_delay_alu instid0(SALU_CYCLE_1) | instskip(SKIP_2) | instid1(VALU_DEP_1)
	s_or_b32 exec_lo, exec_lo, s7
	v_lshrrev_b32_e32 v18, 16, v20
	s_mov_b32 s7, exec_lo
	v_and_b32_e32 v19, 0xff, v18
	s_delay_alu instid0(VALU_DEP_1)
	v_cmpx_ne_u16_e32 0, v19
	s_cbranch_execz .LBB6_5290
; %bb.5283:                             ;   in Loop: Header=BB6_3974 Depth=2
	v_bfrev_b32_e32 v2, 1
	s_mov_b32 s26, exec_lo
	v_cmpx_ne_u16_e32 0x80, v19
	s_cbranch_execz .LBB6_5289
; %bb.5284:                             ;   in Loop: Header=BB6_3974 Depth=2
	v_bfe_u32 v19, v20, 16, 7
	v_mov_b32_e32 v2, 0x7f800001
	s_mov_b32 s27, exec_lo
	s_delay_alu instid0(VALU_DEP_2)
	v_cmpx_ne_u32_e32 0x7f, v19
	s_cbranch_execz .LBB6_5288
; %bb.5285:                             ;   in Loop: Header=BB6_3974 Depth=2
	v_dual_lshrrev_b32 v2, 3, v19 :: v_dual_bitop2_b32 v86, 7, v18 bitop3:0x40
	s_mov_b32 s28, exec_lo
	v_cmpx_gt_u32_e32 8, v19
; %bb.5286:                             ;   in Loop: Header=BB6_3974 Depth=2
	s_delay_alu instid0(VALU_DEP_2) | instskip(NEXT) | instid1(VALU_DEP_1)
	v_clz_i32_u32_e32 v2, v86
	v_min_u32_e32 v2, 32, v2
	s_delay_alu instid0(VALU_DEP_1) | instskip(SKIP_1) | instid1(VALU_DEP_2)
	v_subrev_nc_u32_e32 v18, 28, v2
	v_sub_nc_u32_e32 v2, 29, v2
	v_lshlrev_b64_e32 v[18:19], v18, v[86:87]
	s_delay_alu instid0(VALU_DEP_1)
	v_and_b32_e32 v86, 7, v18
; %bb.5287:                             ;   in Loop: Header=BB6_3974 Depth=2
	s_or_b32 exec_lo, exec_lo, s28
	s_delay_alu instid0(VALU_DEP_1) | instskip(SKIP_1) | instid1(VALU_DEP_2)
	v_dual_lshlrev_b32 v18, 8, v20 :: v_dual_lshlrev_b32 v19, 20, v86
	v_lshl_add_u32 v2, v2, 23, 0x3c000000
	v_and_b32_e32 v18, 0x80000000, v18
	s_delay_alu instid0(VALU_DEP_1)
	v_or3_b32 v2, v19, v18, v2
.LBB6_5288:                             ;   in Loop: Header=BB6_3974 Depth=2
	s_or_b32 exec_lo, exec_lo, s27
.LBB6_5289:                             ;   in Loop: Header=BB6_3974 Depth=2
	s_delay_alu instid0(SALU_CYCLE_1)
	s_or_b32 exec_lo, exec_lo, s26
.LBB6_5290:                             ;   in Loop: Header=BB6_3974 Depth=2
	s_delay_alu instid0(SALU_CYCLE_1) | instskip(NEXT) | instid1(VALU_DEP_1)
	s_or_b32 exec_lo, exec_lo, s7
	v_mul_f32_e32 v3, v3, v2
                                        ; implicit-def: $vgpr121
	s_mov_b32 s7, exec_lo
	s_delay_alu instid0(VALU_DEP_1) | instskip(SKIP_1) | instid1(VALU_DEP_2)
	v_and_b32_e32 v86, 0x7f800000, v3
	v_lshrrev_b32_e32 v2, 24, v3
	v_cmpx_ne_u64_e32 0x7f800000, v[86:87]
	s_xor_b32 s26, exec_lo, s7
	s_cbranch_execz .LBB6_5304
; %bb.5291:                             ;   in Loop: Header=BB6_3974 Depth=2
	v_and_b32_e32 v86, 0x7fffffff, v3
	v_and_b32_e32 v2, 0x80, v2
                                        ; implicit-def: $vgpr121
	s_mov_b32 s7, exec_lo
	s_delay_alu instid0(VALU_DEP_2)
	v_cmpx_gt_u64_e32 0x43e00001, v[86:87]
	s_xor_b32 s27, exec_lo, s7
	s_cbranch_execz .LBB6_5301
; %bb.5292:                             ;   in Loop: Header=BB6_3974 Depth=2
	v_mov_b32_e32 v121, 0
	s_mov_b32 s28, exec_lo
	v_cmpx_ne_u32_e32 0, v3
	s_cbranch_execz .LBB6_5300
; %bb.5293:                             ;   in Loop: Header=BB6_3974 Depth=2
	v_bfe_u32 v31, v3, 23, 8
	v_and_b32_e32 v3, 0x7fffff, v3
	s_delay_alu instid0(VALU_DEP_2) | instskip(SKIP_1) | instid1(VALU_DEP_3)
	v_sub_nc_u32_e32 v18, 0x79, v31
	v_cmp_gt_u32_e32 vcc_lo, 0x7a, v31
	v_or_b32_e32 v22, 0x800000, v3
	s_delay_alu instid0(VALU_DEP_3) | instskip(SKIP_1) | instid1(VALU_DEP_3)
	v_cndmask_b32_e32 v18, 0, v18, vcc_lo
	v_cmp_eq_u32_e32 vcc_lo, 0, v31
	v_cndmask_b32_e32 v86, v22, v3, vcc_lo
	s_delay_alu instid0(VALU_DEP_3) | instskip(NEXT) | instid1(VALU_DEP_1)
	v_cndmask_b32_e64 v54, v18, 0x78, vcc_lo
	v_dual_add_nc_u32 v18, 20, v54 :: v_dual_add_nc_u32 v23, 19, v54
	s_delay_alu instid0(VALU_DEP_1) | instskip(NEXT) | instid1(VALU_DEP_2)
	v_lshlrev_b64_e64 v[18:19], v18, -1
	v_lshlrev_b64_e64 v[22:23], v23, 1
	s_delay_alu instid0(VALU_DEP_2) | instskip(NEXT) | instid1(VALU_DEP_3)
	v_bfi_b32 v103, v19, 0, 0
	v_bfi_b32 v102, v18, 0, v86
	v_lshrrev_b64 v[18:19], v54, v[86:87]
	s_delay_alu instid0(VALU_DEP_2) | instskip(NEXT) | instid1(VALU_DEP_2)
	v_cmp_eq_u64_e64 s7, v[102:103], v[22:23]
	v_mov_b64_e32 v[22:23], v[18:19]
	s_and_saveexec_b32 s29, s7
; %bb.5294:                             ;   in Loop: Header=BB6_3974 Depth=2
	v_bfe_u32 v86, v18, 20, 1
	s_delay_alu instid0(VALU_DEP_1) | instskip(NEXT) | instid1(VALU_DEP_1)
	v_add_nc_u64_e32 v[22:23], v[18:19], v[86:87]
	v_add_nc_u64_e32 v[22:23], -1, v[22:23]
; %bb.5295:                             ;   in Loop: Header=BB6_3974 Depth=2
	s_or_b32 exec_lo, exec_lo, s29
	v_add_nc_u32_e32 v3, 0xffffff81, v31
	v_lshrrev_b32_e32 v19, 23, v18
	s_mov_b32 s7, exec_lo
	s_delay_alu instid0(VALU_DEP_2) | instskip(NEXT) | instid1(VALU_DEP_1)
	v_cndmask_b32_e64 v3, v3, 0xffffff82, vcc_lo
	v_add3_u32 v23, v54, v3, v19
	v_and_b32_e32 v3, 0xfffff, v22
	s_delay_alu instid0(VALU_DEP_1) | instskip(NEXT) | instid1(VALU_DEP_1)
	v_dual_add_nc_u32 v22, 6, v23 :: v_dual_add_nc_u32 v86, v3, v18
                                        ; implicit-def: $vgpr18_vgpr19
                                        ; implicit-def: $vgpr3
	v_cmpx_ne_u32_e32 0, v22
	s_xor_b32 s7, exec_lo, s7
; %bb.5296:                             ;   in Loop: Header=BB6_3974 Depth=2
	s_delay_alu instid0(VALU_DEP_2) | instskip(SKIP_2) | instid1(VALU_DEP_2)
	v_cmp_lt_u64_e32 vcc_lo, 0xffffff, v[86:87]
	v_add_nc_u32_e32 v3, 7, v23
	v_cndmask_b32_e64 v18, 0, 1, vcc_lo
	v_cndmask_b32_e32 v3, v22, v3, vcc_lo
	s_delay_alu instid0(VALU_DEP_2)
	v_lshrrev_b64 v[18:19], v18, v[86:87]
; %bb.5297:                             ;   in Loop: Header=BB6_3974 Depth=2
	s_and_not1_saveexec_b32 s7, s7
; %bb.5298:                             ;   in Loop: Header=BB6_3974 Depth=2
	v_mov_b64_e32 v[18:19], v[86:87]
	v_bfe_u32 v3, v86, 23, 1
; %bb.5299:                             ;   in Loop: Header=BB6_3974 Depth=2
	s_or_b32 exec_lo, exec_lo, s7
	s_delay_alu instid0(VALU_DEP_2) | instskip(NEXT) | instid1(VALU_DEP_2)
	v_lshrrev_b64 v[18:19], 20, v[18:19]
	v_cmp_gt_i32_e32 vcc_lo, 16, v3
	v_min_i32_e32 v22, 15, v3
	v_cmp_eq_u32_e64 s7, 0, v3
	s_delay_alu instid0(VALU_DEP_4) | instskip(NEXT) | instid1(VALU_DEP_3)
	v_cndmask_b32_e32 v18, 7, v18, vcc_lo
	v_dual_cndmask_b32 v19, 0, v19 :: v_dual_lshlrev_b32 v22, 3, v22
	s_delay_alu instid0(VALU_DEP_1) | instskip(NEXT) | instid1(VALU_DEP_2)
	v_and_b32_e32 v22, 0xf8, v22
	v_cmp_eq_u64_e32 vcc_lo, 0, v[18:19]
	s_delay_alu instid0(VALU_DEP_2)
	v_and_or_b32 v3, v18, 7, v22
	s_and_b32 s7, s7, vcc_lo
	s_delay_alu instid0(VALU_DEP_1) | instid1(SALU_CYCLE_1)
	v_cndmask_b32_e64 v3, v3, 0, s7
	s_delay_alu instid0(VALU_DEP_1)
	v_or_b32_e32 v121, v3, v2
.LBB6_5300:                             ;   in Loop: Header=BB6_3974 Depth=2
	s_or_b32 exec_lo, exec_lo, s28
                                        ; implicit-def: $vgpr2
.LBB6_5301:                             ;   in Loop: Header=BB6_3974 Depth=2
	s_and_not1_saveexec_b32 s7, s27
; %bb.5302:                             ;   in Loop: Header=BB6_3974 Depth=2
	v_or_b32_e32 v121, 0x7e, v2
; %bb.5303:                             ;   in Loop: Header=BB6_3974 Depth=2
	s_or_b32 exec_lo, exec_lo, s7
                                        ; implicit-def: $vgpr2
.LBB6_5304:                             ;   in Loop: Header=BB6_3974 Depth=2
	s_and_not1_saveexec_b32 s7, s26
; %bb.5305:                             ;   in Loop: Header=BB6_3974 Depth=2
	v_or_b32_e32 v121, 0x7f, v2
; %bb.5306:                             ;   in Loop: Header=BB6_3974 Depth=2
	s_or_b32 exec_lo, exec_lo, s7
	v_dual_mov_b32 v2, 0 :: v_dual_mov_b32 v3, 0
	s_mov_b32 s7, exec_lo
	v_cmpx_lt_u32_e32 0xffffff, v24
	s_cbranch_execz .LBB6_5314
; %bb.5307:                             ;   in Loop: Header=BB6_3974 Depth=2
	v_lshrrev_b32_e32 v18, 24, v24
	v_bfrev_b32_e32 v3, 1
	s_mov_b32 s26, exec_lo
	s_delay_alu instid0(VALU_DEP_2)
	v_cmpx_ne_u32_e32 0x80, v18
	s_cbranch_execz .LBB6_5313
; %bb.5308:                             ;   in Loop: Header=BB6_3974 Depth=2
	v_bfe_u32 v19, v24, 24, 7
	v_mov_b32_e32 v3, 0x7f800001
	s_mov_b32 s27, exec_lo
	s_delay_alu instid0(VALU_DEP_2)
	v_cmpx_ne_u32_e32 0x7f, v19
	s_cbranch_execz .LBB6_5312
; %bb.5309:                             ;   in Loop: Header=BB6_3974 Depth=2
	v_dual_lshrrev_b32 v3, 3, v19 :: v_dual_bitop2_b32 v86, 7, v18 bitop3:0x40
	s_mov_b32 s28, exec_lo
	v_cmpx_gt_u32_e32 8, v19
; %bb.5310:                             ;   in Loop: Header=BB6_3974 Depth=2
	s_delay_alu instid0(VALU_DEP_2) | instskip(NEXT) | instid1(VALU_DEP_1)
	v_clz_i32_u32_e32 v3, v86
	v_min_u32_e32 v3, 32, v3
	s_delay_alu instid0(VALU_DEP_1) | instskip(NEXT) | instid1(VALU_DEP_1)
	v_subrev_nc_u32_e32 v19, 28, v3
	v_lshlrev_b64_e32 v[22:23], v19, v[86:87]
	s_delay_alu instid0(VALU_DEP_1)
	v_dual_sub_nc_u32 v3, 29, v3 :: v_dual_bitop2_b32 v86, 7, v22 bitop3:0x40
; %bb.5311:                             ;   in Loop: Header=BB6_3974 Depth=2
	s_or_b32 exec_lo, exec_lo, s28
	v_lshlrev_b32_e32 v18, 24, v18
	s_delay_alu instid0(VALU_DEP_2) | instskip(NEXT) | instid1(VALU_DEP_3)
	v_lshlrev_b32_e32 v19, 20, v86
	v_lshl_add_u32 v3, v3, 23, 0x3c000000
	s_delay_alu instid0(VALU_DEP_3) | instskip(NEXT) | instid1(VALU_DEP_1)
	v_and_b32_e32 v18, 0x80000000, v18
	v_or3_b32 v3, v19, v18, v3
.LBB6_5312:                             ;   in Loop: Header=BB6_3974 Depth=2
	s_or_b32 exec_lo, exec_lo, s27
.LBB6_5313:                             ;   in Loop: Header=BB6_3974 Depth=2
	s_delay_alu instid0(SALU_CYCLE_1)
	s_or_b32 exec_lo, exec_lo, s26
.LBB6_5314:                             ;   in Loop: Header=BB6_3974 Depth=2
	s_delay_alu instid0(SALU_CYCLE_1) | instskip(NEXT) | instid1(SALU_CYCLE_1)
	s_or_b32 exec_lo, exec_lo, s7
	s_mov_b32 s7, exec_lo
	v_cmpx_lt_u32_e32 0xffffff, v20
	s_cbranch_execz .LBB6_5322
; %bb.5315:                             ;   in Loop: Header=BB6_3974 Depth=2
	v_lshrrev_b32_e32 v18, 24, v20
	v_bfrev_b32_e32 v2, 1
	s_mov_b32 s26, exec_lo
	s_delay_alu instid0(VALU_DEP_2)
	v_cmpx_ne_u32_e32 0x80, v18
	s_cbranch_execz .LBB6_5321
; %bb.5316:                             ;   in Loop: Header=BB6_3974 Depth=2
	v_bfe_u32 v19, v20, 24, 7
	v_mov_b32_e32 v2, 0x7f800001
	s_mov_b32 s27, exec_lo
	s_delay_alu instid0(VALU_DEP_2)
	v_cmpx_ne_u32_e32 0x7f, v19
	s_cbranch_execz .LBB6_5320
; %bb.5317:                             ;   in Loop: Header=BB6_3974 Depth=2
	v_dual_lshrrev_b32 v2, 3, v19 :: v_dual_bitop2_b32 v86, 7, v18 bitop3:0x40
	s_mov_b32 s28, exec_lo
	v_cmpx_gt_u32_e32 8, v19
; %bb.5318:                             ;   in Loop: Header=BB6_3974 Depth=2
	s_delay_alu instid0(VALU_DEP_2) | instskip(NEXT) | instid1(VALU_DEP_1)
	v_clz_i32_u32_e32 v2, v86
	v_min_u32_e32 v2, 32, v2
	s_delay_alu instid0(VALU_DEP_1) | instskip(SKIP_1) | instid1(VALU_DEP_2)
	v_subrev_nc_u32_e32 v19, 28, v2
	v_sub_nc_u32_e32 v2, 29, v2
	v_lshlrev_b64_e32 v[22:23], v19, v[86:87]
	s_delay_alu instid0(VALU_DEP_1)
	v_and_b32_e32 v86, 7, v22
; %bb.5319:                             ;   in Loop: Header=BB6_3974 Depth=2
	s_or_b32 exec_lo, exec_lo, s28
	v_lshlrev_b32_e32 v18, 24, v18
	s_delay_alu instid0(VALU_DEP_2) | instskip(SKIP_1) | instid1(VALU_DEP_3)
	v_lshlrev_b32_e32 v19, 20, v86
	v_lshl_add_u32 v2, v2, 23, 0x3c000000
	v_and_b32_e32 v18, 0x80000000, v18
	s_delay_alu instid0(VALU_DEP_1)
	v_or3_b32 v2, v19, v18, v2
.LBB6_5320:                             ;   in Loop: Header=BB6_3974 Depth=2
	s_or_b32 exec_lo, exec_lo, s27
.LBB6_5321:                             ;   in Loop: Header=BB6_3974 Depth=2
	s_delay_alu instid0(SALU_CYCLE_1)
	s_or_b32 exec_lo, exec_lo, s26
.LBB6_5322:                             ;   in Loop: Header=BB6_3974 Depth=2
	s_delay_alu instid0(SALU_CYCLE_1) | instskip(NEXT) | instid1(VALU_DEP_1)
	s_or_b32 exec_lo, exec_lo, s7
	v_mul_f32_e32 v3, v3, v2
                                        ; implicit-def: $vgpr122
	s_mov_b32 s7, exec_lo
	s_delay_alu instid0(VALU_DEP_1) | instskip(SKIP_1) | instid1(VALU_DEP_2)
	v_and_b32_e32 v86, 0x7f800000, v3
	v_lshrrev_b32_e32 v2, 24, v3
	v_cmpx_ne_u64_e32 0x7f800000, v[86:87]
	s_xor_b32 s26, exec_lo, s7
	s_cbranch_execz .LBB6_5336
; %bb.5323:                             ;   in Loop: Header=BB6_3974 Depth=2
	v_and_b32_e32 v86, 0x7fffffff, v3
	v_and_b32_e32 v2, 0x80, v2
                                        ; implicit-def: $vgpr122
	s_mov_b32 s7, exec_lo
	s_delay_alu instid0(VALU_DEP_2)
	v_cmpx_gt_u64_e32 0x43e00001, v[86:87]
	s_xor_b32 s27, exec_lo, s7
	s_cbranch_execz .LBB6_5333
; %bb.5324:                             ;   in Loop: Header=BB6_3974 Depth=2
	v_mov_b32_e32 v122, 0
	s_mov_b32 s28, exec_lo
	v_cmpx_ne_u32_e32 0, v3
	s_cbranch_execz .LBB6_5332
; %bb.5325:                             ;   in Loop: Header=BB6_3974 Depth=2
	v_bfe_u32 v31, v3, 23, 8
	v_and_b32_e32 v3, 0x7fffff, v3
	s_delay_alu instid0(VALU_DEP_2) | instskip(SKIP_1) | instid1(VALU_DEP_3)
	v_sub_nc_u32_e32 v18, 0x79, v31
	v_cmp_gt_u32_e32 vcc_lo, 0x7a, v31
	v_or_b32_e32 v22, 0x800000, v3
	s_delay_alu instid0(VALU_DEP_3) | instskip(SKIP_1) | instid1(VALU_DEP_3)
	v_cndmask_b32_e32 v18, 0, v18, vcc_lo
	v_cmp_eq_u32_e32 vcc_lo, 0, v31
	v_cndmask_b32_e32 v86, v22, v3, vcc_lo
	s_delay_alu instid0(VALU_DEP_3) | instskip(NEXT) | instid1(VALU_DEP_1)
	v_cndmask_b32_e64 v54, v18, 0x78, vcc_lo
	v_dual_add_nc_u32 v18, 20, v54 :: v_dual_add_nc_u32 v23, 19, v54
	s_delay_alu instid0(VALU_DEP_1) | instskip(NEXT) | instid1(VALU_DEP_2)
	v_lshlrev_b64_e64 v[18:19], v18, -1
	v_lshlrev_b64_e64 v[22:23], v23, 1
	s_delay_alu instid0(VALU_DEP_2) | instskip(NEXT) | instid1(VALU_DEP_3)
	v_bfi_b32 v103, v19, 0, 0
	v_bfi_b32 v102, v18, 0, v86
	v_lshrrev_b64 v[18:19], v54, v[86:87]
	s_delay_alu instid0(VALU_DEP_2) | instskip(NEXT) | instid1(VALU_DEP_2)
	v_cmp_eq_u64_e64 s7, v[102:103], v[22:23]
	v_mov_b64_e32 v[22:23], v[18:19]
	s_and_saveexec_b32 s29, s7
; %bb.5326:                             ;   in Loop: Header=BB6_3974 Depth=2
	v_bfe_u32 v86, v18, 20, 1
	s_delay_alu instid0(VALU_DEP_1) | instskip(NEXT) | instid1(VALU_DEP_1)
	v_add_nc_u64_e32 v[22:23], v[18:19], v[86:87]
	v_add_nc_u64_e32 v[22:23], -1, v[22:23]
; %bb.5327:                             ;   in Loop: Header=BB6_3974 Depth=2
	s_or_b32 exec_lo, exec_lo, s29
	v_add_nc_u32_e32 v3, 0xffffff81, v31
	v_lshrrev_b32_e32 v19, 23, v18
	s_mov_b32 s7, exec_lo
	s_delay_alu instid0(VALU_DEP_2) | instskip(NEXT) | instid1(VALU_DEP_1)
	v_cndmask_b32_e64 v3, v3, 0xffffff82, vcc_lo
	v_add3_u32 v23, v54, v3, v19
	v_and_b32_e32 v3, 0xfffff, v22
	s_delay_alu instid0(VALU_DEP_1) | instskip(NEXT) | instid1(VALU_DEP_1)
	v_dual_add_nc_u32 v22, 6, v23 :: v_dual_add_nc_u32 v86, v3, v18
                                        ; implicit-def: $vgpr18_vgpr19
                                        ; implicit-def: $vgpr3
	v_cmpx_ne_u32_e32 0, v22
	s_xor_b32 s7, exec_lo, s7
; %bb.5328:                             ;   in Loop: Header=BB6_3974 Depth=2
	s_delay_alu instid0(VALU_DEP_2) | instskip(SKIP_2) | instid1(VALU_DEP_2)
	v_cmp_lt_u64_e32 vcc_lo, 0xffffff, v[86:87]
	v_add_nc_u32_e32 v3, 7, v23
	v_cndmask_b32_e64 v18, 0, 1, vcc_lo
	v_cndmask_b32_e32 v3, v22, v3, vcc_lo
	s_delay_alu instid0(VALU_DEP_2)
	v_lshrrev_b64 v[18:19], v18, v[86:87]
; %bb.5329:                             ;   in Loop: Header=BB6_3974 Depth=2
	s_and_not1_saveexec_b32 s7, s7
; %bb.5330:                             ;   in Loop: Header=BB6_3974 Depth=2
	v_mov_b64_e32 v[18:19], v[86:87]
	v_bfe_u32 v3, v86, 23, 1
; %bb.5331:                             ;   in Loop: Header=BB6_3974 Depth=2
	s_or_b32 exec_lo, exec_lo, s7
	s_delay_alu instid0(VALU_DEP_2) | instskip(NEXT) | instid1(VALU_DEP_2)
	v_lshrrev_b64 v[18:19], 20, v[18:19]
	v_cmp_gt_i32_e32 vcc_lo, 16, v3
	v_min_i32_e32 v22, 15, v3
	v_cmp_eq_u32_e64 s7, 0, v3
	s_delay_alu instid0(VALU_DEP_4) | instskip(NEXT) | instid1(VALU_DEP_3)
	v_cndmask_b32_e32 v18, 7, v18, vcc_lo
	v_dual_cndmask_b32 v19, 0, v19 :: v_dual_lshlrev_b32 v22, 3, v22
	s_delay_alu instid0(VALU_DEP_1) | instskip(NEXT) | instid1(VALU_DEP_2)
	v_and_b32_e32 v22, 0xf8, v22
	v_cmp_eq_u64_e32 vcc_lo, 0, v[18:19]
	s_delay_alu instid0(VALU_DEP_2)
	v_and_or_b32 v3, v18, 7, v22
	s_and_b32 s7, s7, vcc_lo
	s_delay_alu instid0(VALU_DEP_1) | instid1(SALU_CYCLE_1)
	v_cndmask_b32_e64 v3, v3, 0, s7
	s_delay_alu instid0(VALU_DEP_1)
	v_or_b32_e32 v122, v3, v2
.LBB6_5332:                             ;   in Loop: Header=BB6_3974 Depth=2
	s_or_b32 exec_lo, exec_lo, s28
                                        ; implicit-def: $vgpr2
.LBB6_5333:                             ;   in Loop: Header=BB6_3974 Depth=2
	s_and_not1_saveexec_b32 s7, s27
; %bb.5334:                             ;   in Loop: Header=BB6_3974 Depth=2
	v_or_b32_e32 v122, 0x7e, v2
; %bb.5335:                             ;   in Loop: Header=BB6_3974 Depth=2
	s_or_b32 exec_lo, exec_lo, s7
                                        ; implicit-def: $vgpr2
.LBB6_5336:                             ;   in Loop: Header=BB6_3974 Depth=2
	s_and_not1_saveexec_b32 s7, s26
; %bb.5337:                             ;   in Loop: Header=BB6_3974 Depth=2
	v_or_b32_e32 v122, 0x7f, v2
; %bb.5338:                             ;   in Loop: Header=BB6_3974 Depth=2
	s_or_b32 exec_lo, exec_lo, s7
	v_and_b32_e32 v18, 0xff, v25
	v_dual_mov_b32 v86, v25 :: v_dual_mov_b32 v3, 0
	v_mov_b32_e32 v2, 0
	s_mov_b32 s7, exec_lo
	s_delay_alu instid0(VALU_DEP_3)
	v_cmpx_ne_u16_e32 0, v18
	s_cbranch_execz .LBB6_5344
; %bb.5339:                             ;   in Loop: Header=BB6_3974 Depth=2
	v_bfrev_b32_e32 v2, 1
	s_mov_b32 s26, exec_lo
	v_cmpx_ne_u16_e32 0x80, v18
	s_cbranch_execz .LBB6_5343
; %bb.5340:                             ;   in Loop: Header=BB6_3974 Depth=2
	v_and_b32_e32 v18, 0x7f, v25
	v_mov_b32_e32 v2, 0x7f800001
	s_mov_b32 s27, exec_lo
	s_delay_alu instid0(VALU_DEP_2)
	v_cmpx_ne_u32_e32 0x7f, v18
	s_cbranch_execz .LBB6_5342
; %bb.5341:                             ;   in Loop: Header=BB6_3974 Depth=2
	v_dual_lshrrev_b32 v19, 3, v18 :: v_dual_bitop2_b32 v2, 7, v25 bitop3:0x40
	v_cmp_gt_u32_e32 vcc_lo, 8, v18
	s_delay_alu instid0(VALU_DEP_2) | instskip(NEXT) | instid1(VALU_DEP_1)
	v_clz_i32_u32_e32 v2, v2
	v_min_u32_e32 v2, 32, v2
	s_delay_alu instid0(VALU_DEP_1) | instskip(SKIP_1) | instid1(VALU_DEP_2)
	v_subrev_nc_u32_e32 v22, 28, v2
	v_sub_nc_u32_e32 v2, 29, v2
	v_cndmask_b32_e32 v18, 0, v22, vcc_lo
	s_delay_alu instid0(VALU_DEP_2) | instskip(NEXT) | instid1(VALU_DEP_2)
	v_cndmask_b32_e32 v2, v19, v2, vcc_lo
	v_lshlrev_b64_e32 v[18:19], v18, v[86:87]
	v_lshlrev_b32_e32 v19, 24, v86
	s_delay_alu instid0(VALU_DEP_3) | instskip(NEXT) | instid1(VALU_DEP_2)
	v_lshl_add_u32 v2, v2, 23, 0x3c000000
	v_and_b32_e32 v19, 0x80000000, v19
	s_delay_alu instid0(VALU_DEP_4) | instskip(NEXT) | instid1(VALU_DEP_1)
	v_lshlrev_b32_e32 v18, 20, v18
	v_and_b32_e32 v18, 0x700000, v18
	s_delay_alu instid0(VALU_DEP_1)
	v_or3_b32 v2, v18, v19, v2
.LBB6_5342:                             ;   in Loop: Header=BB6_3974 Depth=2
	s_or_b32 exec_lo, exec_lo, s27
.LBB6_5343:                             ;   in Loop: Header=BB6_3974 Depth=2
	s_delay_alu instid0(SALU_CYCLE_1)
	s_or_b32 exec_lo, exec_lo, s26
.LBB6_5344:                             ;   in Loop: Header=BB6_3974 Depth=2
	s_delay_alu instid0(SALU_CYCLE_1) | instskip(SKIP_2) | instid1(VALU_DEP_1)
	s_or_b32 exec_lo, exec_lo, s7
	v_and_b32_e32 v18, 0xff, v21
	s_mov_b32 s7, exec_lo
	v_cmpx_ne_u16_e32 0, v18
	s_cbranch_execz .LBB6_5350
; %bb.5345:                             ;   in Loop: Header=BB6_3974 Depth=2
	v_bfrev_b32_e32 v3, 1
	s_mov_b32 s26, exec_lo
	v_cmpx_ne_u16_e32 0x80, v18
	s_cbranch_execz .LBB6_5349
; %bb.5346:                             ;   in Loop: Header=BB6_3974 Depth=2
	v_and_b32_e32 v18, 0x7f, v21
	v_mov_b32_e32 v3, 0x7f800001
	s_mov_b32 s27, exec_lo
	s_delay_alu instid0(VALU_DEP_2)
	v_cmpx_ne_u32_e32 0x7f, v18
	s_cbranch_execz .LBB6_5348
; %bb.5347:                             ;   in Loop: Header=BB6_3974 Depth=2
	v_dual_lshrrev_b32 v22, 3, v18 :: v_dual_bitop2_b32 v3, 7, v21 bitop3:0x40
	v_cmp_gt_u32_e32 vcc_lo, 8, v18
	v_mov_b32_e32 v18, v21
	s_delay_alu instid0(VALU_DEP_3) | instskip(NEXT) | instid1(VALU_DEP_1)
	v_clz_i32_u32_e32 v3, v3
	v_min_u32_e32 v3, 32, v3
	s_delay_alu instid0(VALU_DEP_1) | instskip(SKIP_1) | instid1(VALU_DEP_2)
	v_sub_nc_u32_e32 v23, 29, v3
	v_subrev_nc_u32_e32 v3, 28, v3
	v_dual_mov_b32 v19, v87 :: v_dual_cndmask_b32 v31, v22, v23, vcc_lo
	s_delay_alu instid0(VALU_DEP_2) | instskip(NEXT) | instid1(VALU_DEP_1)
	v_cndmask_b32_e32 v3, 0, v3, vcc_lo
	v_lshlrev_b64_e32 v[22:23], v3, v[18:19]
	v_lshlrev_b32_e32 v3, 24, v18
	s_delay_alu instid0(VALU_DEP_4) | instskip(NEXT) | instid1(VALU_DEP_2)
	v_lshl_add_u32 v19, v31, 23, 0x3c000000
	v_and_b32_e32 v3, 0x80000000, v3
	s_delay_alu instid0(VALU_DEP_4) | instskip(NEXT) | instid1(VALU_DEP_1)
	v_lshlrev_b32_e32 v18, 20, v22
	v_and_b32_e32 v18, 0x700000, v18
	s_delay_alu instid0(VALU_DEP_1)
	v_or3_b32 v3, v18, v3, v19
.LBB6_5348:                             ;   in Loop: Header=BB6_3974 Depth=2
	s_or_b32 exec_lo, exec_lo, s27
.LBB6_5349:                             ;   in Loop: Header=BB6_3974 Depth=2
	s_delay_alu instid0(SALU_CYCLE_1)
	s_or_b32 exec_lo, exec_lo, s26
.LBB6_5350:                             ;   in Loop: Header=BB6_3974 Depth=2
	s_delay_alu instid0(SALU_CYCLE_1) | instskip(NEXT) | instid1(VALU_DEP_1)
	s_or_b32 exec_lo, exec_lo, s7
	v_dual_mul_f32 v18, v2, v3 :: v_dual_mov_b32 v3, v87
	s_delay_alu instid0(VALU_DEP_1) | instskip(NEXT) | instid1(VALU_DEP_1)
	v_and_b32_e32 v2, 0x7f800000, v18
	v_cmp_ne_u64_e32 vcc_lo, 0x7f800000, v[2:3]
	v_lshrrev_b32_e32 v3, 24, v18
                                        ; implicit-def: $vgpr2
	s_and_saveexec_b32 s7, vcc_lo
	s_delay_alu instid0(SALU_CYCLE_1)
	s_xor_b32 s26, exec_lo, s7
	s_cbranch_execz .LBB6_5364
; %bb.5351:                             ;   in Loop: Header=BB6_3974 Depth=2
	v_and_b32_e32 v22, 0x7fffffff, v18
	v_mov_b32_e32 v23, v87
	v_and_b32_e32 v3, 0x80, v3
                                        ; implicit-def: $vgpr2
	s_mov_b32 s7, exec_lo
	s_delay_alu instid0(VALU_DEP_2)
	v_cmpx_gt_u64_e32 0x43e00001, v[22:23]
	s_xor_b32 s27, exec_lo, s7
	s_cbranch_execz .LBB6_5361
; %bb.5352:                             ;   in Loop: Header=BB6_3974 Depth=2
	v_mov_b32_e32 v2, 0
	s_mov_b32 s28, exec_lo
	v_cmpx_ne_u32_e32 0, v18
	s_cbranch_execz .LBB6_5360
; %bb.5353:                             ;   in Loop: Header=BB6_3974 Depth=2
	v_bfe_u32 v2, v18, 23, 8
	v_and_b32_e32 v19, 0x7fffff, v18
	s_delay_alu instid0(VALU_DEP_2) | instskip(SKIP_2) | instid1(VALU_DEP_4)
	v_cmp_gt_u32_e64 s7, 0x7a, v2
	v_sub_nc_u32_e32 v18, 0x79, v2
	v_cmp_eq_u32_e32 vcc_lo, 0, v2
	v_or_b32_e32 v22, 0x800000, v19
	s_delay_alu instid0(VALU_DEP_3) | instskip(NEXT) | instid1(VALU_DEP_1)
	v_cndmask_b32_e64 v18, 0, v18, s7
	v_cndmask_b32_e64 v31, v18, 0x78, vcc_lo
	s_delay_alu instid0(VALU_DEP_3) | instskip(NEXT) | instid1(VALU_DEP_2)
	v_dual_cndmask_b32 v18, v22, v19 :: v_dual_mov_b32 v19, v87
	v_dual_add_nc_u32 v22, 20, v31 :: v_dual_add_nc_u32 v54, 19, v31
	s_delay_alu instid0(VALU_DEP_1) | instskip(NEXT) | instid1(VALU_DEP_2)
	v_lshlrev_b64_e64 v[22:23], v22, -1
	v_lshlrev_b64_e64 v[54:55], v54, 1
	s_delay_alu instid0(VALU_DEP_2) | instskip(SKIP_1) | instid1(VALU_DEP_4)
	v_bfi_b32 v22, v22, 0, v18
	v_lshrrev_b64 v[18:19], v31, v[18:19]
	v_bfi_b32 v23, v23, 0, 0
	s_delay_alu instid0(VALU_DEP_1) | instskip(NEXT) | instid1(VALU_DEP_3)
	v_cmp_eq_u64_e64 s7, v[22:23], v[54:55]
	v_mov_b64_e32 v[22:23], v[18:19]
	s_and_saveexec_b32 s29, s7
; %bb.5354:                             ;   in Loop: Header=BB6_3974 Depth=2
	v_bfe_u32 v22, v18, 20, 1
	v_mov_b32_e32 v23, v87
	s_delay_alu instid0(VALU_DEP_1) | instskip(NEXT) | instid1(VALU_DEP_1)
	v_add_nc_u64_e32 v[22:23], v[18:19], v[22:23]
	v_add_nc_u64_e32 v[22:23], -1, v[22:23]
; %bb.5355:                             ;   in Loop: Header=BB6_3974 Depth=2
	s_or_b32 exec_lo, exec_lo, s29
	v_add_nc_u32_e32 v2, 0xffffff81, v2
	v_lshrrev_b32_e32 v19, 23, v18
	s_mov_b32 s7, exec_lo
	s_delay_alu instid0(VALU_DEP_2) | instskip(NEXT) | instid1(VALU_DEP_1)
	v_cndmask_b32_e64 v2, v2, 0xffffff82, vcc_lo
	v_add3_u32 v23, v31, v2, v19
	v_and_b32_e32 v2, 0xfffff, v22
	s_delay_alu instid0(VALU_DEP_2) | instskip(NEXT) | instid1(VALU_DEP_2)
	v_dual_mov_b32 v19, v87 :: v_dual_add_nc_u32 v22, 6, v23
	v_add_nc_u32_e32 v18, v2, v18
                                        ; implicit-def: $vgpr2
	s_delay_alu instid0(VALU_DEP_2)
	v_cmpx_ne_u32_e32 0, v22
	s_xor_b32 s7, exec_lo, s7
; %bb.5356:                             ;   in Loop: Header=BB6_3974 Depth=2
	s_delay_alu instid0(VALU_DEP_2) | instskip(SKIP_1) | instid1(VALU_DEP_1)
	v_cmp_lt_u64_e32 vcc_lo, 0xffffff, v[18:19]
	v_add_nc_u32_e32 v2, 7, v23
	v_cndmask_b32_e32 v2, v22, v2, vcc_lo
	v_cndmask_b32_e64 v22, 0, 1, vcc_lo
	s_delay_alu instid0(VALU_DEP_1)
	v_lshrrev_b64 v[18:19], v22, v[18:19]
; %bb.5357:                             ;   in Loop: Header=BB6_3974 Depth=2
	s_and_not1_saveexec_b32 s7, s7
; %bb.5358:                             ;   in Loop: Header=BB6_3974 Depth=2
	s_delay_alu instid0(VALU_DEP_1)
	v_bfe_u32 v2, v18, 23, 1
; %bb.5359:                             ;   in Loop: Header=BB6_3974 Depth=2
	s_or_b32 exec_lo, exec_lo, s7
	s_delay_alu instid0(VALU_DEP_2) | instskip(NEXT) | instid1(VALU_DEP_2)
	v_lshrrev_b64 v[18:19], 20, v[18:19]
	v_cmp_gt_i32_e32 vcc_lo, 16, v2
	v_min_i32_e32 v22, 15, v2
	v_cmp_eq_u32_e64 s7, 0, v2
	s_delay_alu instid0(VALU_DEP_2) | instskip(SKIP_1) | instid1(VALU_DEP_2)
	v_dual_cndmask_b32 v19, 0, v19 :: v_dual_lshlrev_b32 v22, 3, v22
	v_cndmask_b32_e32 v18, 7, v18, vcc_lo
	v_and_b32_e32 v22, 0xf8, v22
	s_delay_alu instid0(VALU_DEP_2) | instskip(NEXT) | instid1(VALU_DEP_2)
	v_cmp_eq_u64_e32 vcc_lo, 0, v[18:19]
	v_and_or_b32 v2, v18, 7, v22
	s_and_b32 s7, s7, vcc_lo
	s_delay_alu instid0(VALU_DEP_1) | instid1(SALU_CYCLE_1)
	v_cndmask_b32_e64 v2, v2, 0, s7
	s_delay_alu instid0(VALU_DEP_1)
	v_or_b32_e32 v2, v2, v3
.LBB6_5360:                             ;   in Loop: Header=BB6_3974 Depth=2
	s_or_b32 exec_lo, exec_lo, s28
                                        ; implicit-def: $vgpr3
.LBB6_5361:                             ;   in Loop: Header=BB6_3974 Depth=2
	s_and_not1_saveexec_b32 s7, s27
; %bb.5362:                             ;   in Loop: Header=BB6_3974 Depth=2
	v_or_b32_e32 v2, 0x7e, v3
; %bb.5363:                             ;   in Loop: Header=BB6_3974 Depth=2
	s_or_b32 exec_lo, exec_lo, s7
                                        ; implicit-def: $vgpr3
.LBB6_5364:                             ;   in Loop: Header=BB6_3974 Depth=2
	s_and_not1_saveexec_b32 s7, s26
; %bb.5365:                             ;   in Loop: Header=BB6_3974 Depth=2
	v_or_b32_e32 v2, 0x7f, v3
; %bb.5366:                             ;   in Loop: Header=BB6_3974 Depth=2
	s_or_b32 exec_lo, exec_lo, s7
	v_lshrrev_b16 v19, 8, v86
	v_dual_mov_b32 v3, 0 :: v_dual_mov_b32 v18, 0
	s_mov_b32 s7, exec_lo
	s_delay_alu instid0(VALU_DEP_2)
	v_cmpx_ne_u16_e32 0, v19
	s_cbranch_execz .LBB6_5374
; %bb.5367:                             ;   in Loop: Header=BB6_3974 Depth=2
	v_bfrev_b32_e32 v18, 1
	s_mov_b32 s26, exec_lo
	v_cmpx_ne_u16_e32 0x80, v19
	s_cbranch_execz .LBB6_5373
; %bb.5368:                             ;   in Loop: Header=BB6_3974 Depth=2
	v_and_b32_e32 v19, 0xffff, v19
	v_mov_b32_e32 v18, 0x7f800001
	s_mov_b32 s27, exec_lo
	s_delay_alu instid0(VALU_DEP_2) | instskip(NEXT) | instid1(VALU_DEP_1)
	v_and_b32_e32 v23, 0x7f, v19
	v_cmpx_ne_u32_e32 0x7f, v23
	s_cbranch_execz .LBB6_5372
; %bb.5369:                             ;   in Loop: Header=BB6_3974 Depth=2
	v_dual_mov_b32 v19, v87 :: v_dual_bitop2_b32 v18, 7, v19 bitop3:0x40
	v_lshrrev_b32_e32 v22, 3, v23
	s_mov_b32 s28, exec_lo
	v_cmpx_gt_u32_e32 8, v23
; %bb.5370:                             ;   in Loop: Header=BB6_3974 Depth=2
	s_delay_alu instid0(VALU_DEP_3) | instskip(NEXT) | instid1(VALU_DEP_1)
	v_clz_i32_u32_e32 v22, v18
	v_min_u32_e32 v22, 32, v22
	s_delay_alu instid0(VALU_DEP_1) | instskip(SKIP_1) | instid1(VALU_DEP_2)
	v_subrev_nc_u32_e32 v23, 28, v22
	v_sub_nc_u32_e32 v22, 29, v22
	v_lshlrev_b64_e32 v[18:19], v23, v[18:19]
	s_delay_alu instid0(VALU_DEP_1)
	v_and_b32_e32 v18, 7, v18
; %bb.5371:                             ;   in Loop: Header=BB6_3974 Depth=2
	s_or_b32 exec_lo, exec_lo, s28
	v_lshlrev_b32_e32 v19, 16, v86
	s_delay_alu instid0(VALU_DEP_2) | instskip(SKIP_1) | instid1(VALU_DEP_3)
	v_lshlrev_b32_e32 v18, 20, v18
	v_lshl_add_u32 v22, v22, 23, 0x3c000000
	v_and_b32_e32 v19, 0x80000000, v19
	s_delay_alu instid0(VALU_DEP_1)
	v_or3_b32 v18, v18, v19, v22
.LBB6_5372:                             ;   in Loop: Header=BB6_3974 Depth=2
	s_or_b32 exec_lo, exec_lo, s27
.LBB6_5373:                             ;   in Loop: Header=BB6_3974 Depth=2
	s_delay_alu instid0(SALU_CYCLE_1)
	s_or_b32 exec_lo, exec_lo, s26
.LBB6_5374:                             ;   in Loop: Header=BB6_3974 Depth=2
	s_delay_alu instid0(SALU_CYCLE_1) | instskip(SKIP_2) | instid1(VALU_DEP_1)
	s_or_b32 exec_lo, exec_lo, s7
	v_lshrrev_b16 v19, 8, v21
	s_mov_b32 s7, exec_lo
	v_cmpx_ne_u16_e32 0, v19
	s_cbranch_execz .LBB6_5382
; %bb.5375:                             ;   in Loop: Header=BB6_3974 Depth=2
	v_bfrev_b32_e32 v3, 1
	s_mov_b32 s26, exec_lo
	v_cmpx_ne_u16_e32 0x80, v19
	s_cbranch_execz .LBB6_5381
; %bb.5376:                             ;   in Loop: Header=BB6_3974 Depth=2
	v_and_b32_e32 v22, 0xffff, v19
	v_mov_b32_e32 v3, 0x7f800001
	s_mov_b32 s27, exec_lo
	s_delay_alu instid0(VALU_DEP_2) | instskip(NEXT) | instid1(VALU_DEP_1)
	v_and_b32_e32 v19, 0x7f, v22
	v_cmpx_ne_u32_e32 0x7f, v19
	s_cbranch_execz .LBB6_5380
; %bb.5377:                             ;   in Loop: Header=BB6_3974 Depth=2
	v_dual_lshrrev_b32 v3, 3, v19 :: v_dual_bitop2_b32 v86, 7, v22 bitop3:0x40
	s_mov_b32 s28, exec_lo
	v_cmpx_gt_u32_e32 8, v19
; %bb.5378:                             ;   in Loop: Header=BB6_3974 Depth=2
	s_delay_alu instid0(VALU_DEP_2) | instskip(NEXT) | instid1(VALU_DEP_1)
	v_clz_i32_u32_e32 v3, v86
	v_min_u32_e32 v3, 32, v3
	s_delay_alu instid0(VALU_DEP_1) | instskip(NEXT) | instid1(VALU_DEP_1)
	v_subrev_nc_u32_e32 v19, 28, v3
	v_lshlrev_b64_e32 v[22:23], v19, v[86:87]
	s_delay_alu instid0(VALU_DEP_1)
	v_dual_sub_nc_u32 v3, 29, v3 :: v_dual_bitop2_b32 v86, 7, v22 bitop3:0x40
; %bb.5379:                             ;   in Loop: Header=BB6_3974 Depth=2
	s_or_b32 exec_lo, exec_lo, s28
	s_delay_alu instid0(VALU_DEP_1) | instskip(NEXT) | instid1(VALU_DEP_2)
	v_dual_lshlrev_b32 v19, 16, v21 :: v_dual_lshlrev_b32 v22, 20, v86
	v_lshl_add_u32 v3, v3, 23, 0x3c000000
	s_delay_alu instid0(VALU_DEP_2) | instskip(NEXT) | instid1(VALU_DEP_1)
	v_and_b32_e32 v19, 0x80000000, v19
	v_or3_b32 v3, v22, v19, v3
.LBB6_5380:                             ;   in Loop: Header=BB6_3974 Depth=2
	s_or_b32 exec_lo, exec_lo, s27
.LBB6_5381:                             ;   in Loop: Header=BB6_3974 Depth=2
	s_delay_alu instid0(SALU_CYCLE_1)
	s_or_b32 exec_lo, exec_lo, s26
.LBB6_5382:                             ;   in Loop: Header=BB6_3974 Depth=2
	s_delay_alu instid0(SALU_CYCLE_1) | instskip(NEXT) | instid1(VALU_DEP_1)
	s_or_b32 exec_lo, exec_lo, s7
	v_mul_f32_e32 v18, v18, v3
                                        ; implicit-def: $vgpr3
	s_mov_b32 s7, exec_lo
	s_delay_alu instid0(VALU_DEP_1) | instskip(SKIP_1) | instid1(VALU_DEP_2)
	v_and_b32_e32 v86, 0x7f800000, v18
	v_lshrrev_b32_e32 v19, 24, v18
	v_cmpx_ne_u64_e32 0x7f800000, v[86:87]
	s_xor_b32 s26, exec_lo, s7
	s_cbranch_execz .LBB6_5396
; %bb.5383:                             ;   in Loop: Header=BB6_3974 Depth=2
	v_and_b32_e32 v86, 0x7fffffff, v18
	v_and_b32_e32 v31, 0x80, v19
                                        ; implicit-def: $vgpr3
	s_mov_b32 s7, exec_lo
	s_delay_alu instid0(VALU_DEP_2)
	v_cmpx_gt_u64_e32 0x43e00001, v[86:87]
	s_xor_b32 s27, exec_lo, s7
	s_cbranch_execz .LBB6_5393
; %bb.5384:                             ;   in Loop: Header=BB6_3974 Depth=2
	v_mov_b32_e32 v3, 0
	s_mov_b32 s28, exec_lo
	v_cmpx_ne_u32_e32 0, v18
	s_cbranch_execz .LBB6_5392
; %bb.5385:                             ;   in Loop: Header=BB6_3974 Depth=2
	v_bfe_u32 v3, v18, 23, 8
	v_and_b32_e32 v19, 0x7fffff, v18
	s_delay_alu instid0(VALU_DEP_2) | instskip(SKIP_2) | instid1(VALU_DEP_4)
	v_cmp_gt_u32_e64 s7, 0x7a, v3
	v_sub_nc_u32_e32 v18, 0x79, v3
	v_cmp_eq_u32_e32 vcc_lo, 0, v3
	v_or_b32_e32 v22, 0x800000, v19
	s_delay_alu instid0(VALU_DEP_1) | instskip(NEXT) | instid1(VALU_DEP_1)
	v_dual_cndmask_b32 v18, 0, v18, s7 :: v_dual_cndmask_b32 v86, v22, v19, vcc_lo
	v_cndmask_b32_e64 v54, v18, 0x78, vcc_lo
	s_delay_alu instid0(VALU_DEP_1) | instskip(NEXT) | instid1(VALU_DEP_1)
	v_dual_add_nc_u32 v18, 20, v54 :: v_dual_add_nc_u32 v22, 19, v54
	v_lshlrev_b64_e64 v[18:19], v18, -1
	s_delay_alu instid0(VALU_DEP_2) | instskip(NEXT) | instid1(VALU_DEP_2)
	v_lshlrev_b64_e64 v[22:23], v22, 1
	v_bfi_b32 v19, v19, 0, 0
	s_delay_alu instid0(VALU_DEP_3) | instskip(NEXT) | instid1(VALU_DEP_1)
	v_bfi_b32 v18, v18, 0, v86
	v_cmp_eq_u64_e64 s7, v[18:19], v[22:23]
	v_lshrrev_b64 v[18:19], v54, v[86:87]
	s_delay_alu instid0(VALU_DEP_1)
	v_mov_b64_e32 v[22:23], v[18:19]
	s_and_saveexec_b32 s29, s7
; %bb.5386:                             ;   in Loop: Header=BB6_3974 Depth=2
	v_bfe_u32 v86, v18, 20, 1
	s_delay_alu instid0(VALU_DEP_1) | instskip(NEXT) | instid1(VALU_DEP_1)
	v_add_nc_u64_e32 v[22:23], v[18:19], v[86:87]
	v_add_nc_u64_e32 v[22:23], -1, v[22:23]
; %bb.5387:                             ;   in Loop: Header=BB6_3974 Depth=2
	s_or_b32 exec_lo, exec_lo, s29
	v_add_nc_u32_e32 v3, 0xffffff81, v3
	v_lshrrev_b32_e32 v19, 23, v18
	s_mov_b32 s7, exec_lo
	s_delay_alu instid0(VALU_DEP_2) | instskip(NEXT) | instid1(VALU_DEP_1)
	v_cndmask_b32_e64 v3, v3, 0xffffff82, vcc_lo
	v_add3_u32 v23, v54, v3, v19
	v_and_b32_e32 v3, 0xfffff, v22
	s_delay_alu instid0(VALU_DEP_1) | instskip(NEXT) | instid1(VALU_DEP_1)
	v_dual_add_nc_u32 v22, 6, v23 :: v_dual_add_nc_u32 v86, v3, v18
                                        ; implicit-def: $vgpr18_vgpr19
                                        ; implicit-def: $vgpr3
	v_cmpx_ne_u32_e32 0, v22
	s_xor_b32 s7, exec_lo, s7
; %bb.5388:                             ;   in Loop: Header=BB6_3974 Depth=2
	s_delay_alu instid0(VALU_DEP_2) | instskip(SKIP_2) | instid1(VALU_DEP_2)
	v_cmp_lt_u64_e32 vcc_lo, 0xffffff, v[86:87]
	v_add_nc_u32_e32 v3, 7, v23
	v_cndmask_b32_e64 v18, 0, 1, vcc_lo
	v_cndmask_b32_e32 v3, v22, v3, vcc_lo
	s_delay_alu instid0(VALU_DEP_2)
	v_lshrrev_b64 v[18:19], v18, v[86:87]
; %bb.5389:                             ;   in Loop: Header=BB6_3974 Depth=2
	s_and_not1_saveexec_b32 s7, s7
; %bb.5390:                             ;   in Loop: Header=BB6_3974 Depth=2
	v_mov_b64_e32 v[18:19], v[86:87]
	v_bfe_u32 v3, v86, 23, 1
; %bb.5391:                             ;   in Loop: Header=BB6_3974 Depth=2
	s_or_b32 exec_lo, exec_lo, s7
	s_delay_alu instid0(VALU_DEP_2) | instskip(NEXT) | instid1(VALU_DEP_2)
	v_lshrrev_b64 v[18:19], 20, v[18:19]
	v_cmp_gt_i32_e32 vcc_lo, 16, v3
	v_min_i32_e32 v22, 15, v3
	v_cmp_eq_u32_e64 s7, 0, v3
	s_delay_alu instid0(VALU_DEP_4) | instskip(NEXT) | instid1(VALU_DEP_3)
	v_cndmask_b32_e32 v18, 7, v18, vcc_lo
	v_dual_cndmask_b32 v19, 0, v19 :: v_dual_lshlrev_b32 v22, 3, v22
	s_delay_alu instid0(VALU_DEP_1) | instskip(NEXT) | instid1(VALU_DEP_2)
	v_and_b32_e32 v22, 0xf8, v22
	v_cmp_eq_u64_e32 vcc_lo, 0, v[18:19]
	s_delay_alu instid0(VALU_DEP_2)
	v_and_or_b32 v3, v18, 7, v22
	s_and_b32 s7, s7, vcc_lo
	s_delay_alu instid0(VALU_DEP_1) | instid1(SALU_CYCLE_1)
	v_cndmask_b32_e64 v3, v3, 0, s7
	s_delay_alu instid0(VALU_DEP_1)
	v_or_b32_e32 v3, v3, v31
.LBB6_5392:                             ;   in Loop: Header=BB6_3974 Depth=2
	s_or_b32 exec_lo, exec_lo, s28
                                        ; implicit-def: $vgpr31
.LBB6_5393:                             ;   in Loop: Header=BB6_3974 Depth=2
	s_and_not1_saveexec_b32 s7, s27
; %bb.5394:                             ;   in Loop: Header=BB6_3974 Depth=2
	v_or_b32_e32 v3, 0x7e, v31
; %bb.5395:                             ;   in Loop: Header=BB6_3974 Depth=2
	s_or_b32 exec_lo, exec_lo, s7
                                        ; implicit-def: $vgpr19
.LBB6_5396:                             ;   in Loop: Header=BB6_3974 Depth=2
	s_and_not1_saveexec_b32 s7, s26
; %bb.5397:                             ;   in Loop: Header=BB6_3974 Depth=2
	v_or_b32_e32 v3, 0x7f, v19
; %bb.5398:                             ;   in Loop: Header=BB6_3974 Depth=2
	s_or_b32 exec_lo, exec_lo, s7
	v_dual_lshrrev_b32 v22, 16, v25 :: v_dual_mov_b32 v18, 0
	v_mov_b32_e32 v19, 0
	s_mov_b32 s7, exec_lo
	s_delay_alu instid0(VALU_DEP_2) | instskip(NEXT) | instid1(VALU_DEP_1)
	v_and_b32_e32 v23, 0xff, v22
	v_cmpx_ne_u16_e32 0, v23
	s_cbranch_execz .LBB6_5406
; %bb.5399:                             ;   in Loop: Header=BB6_3974 Depth=2
	v_bfrev_b32_e32 v19, 1
	s_mov_b32 s26, exec_lo
	v_cmpx_ne_u16_e32 0x80, v23
	s_cbranch_execz .LBB6_5405
; %bb.5400:                             ;   in Loop: Header=BB6_3974 Depth=2
	v_bfe_u32 v23, v25, 16, 7
	v_mov_b32_e32 v19, 0x7f800001
	s_mov_b32 s27, exec_lo
	s_delay_alu instid0(VALU_DEP_2)
	v_cmpx_ne_u32_e32 0x7f, v23
	s_cbranch_execz .LBB6_5404
; %bb.5401:                             ;   in Loop: Header=BB6_3974 Depth=2
	v_dual_lshrrev_b32 v19, 3, v23 :: v_dual_bitop2_b32 v86, 7, v22 bitop3:0x40
	s_mov_b32 s28, exec_lo
	v_cmpx_gt_u32_e32 8, v23
; %bb.5402:                             ;   in Loop: Header=BB6_3974 Depth=2
	s_delay_alu instid0(VALU_DEP_2) | instskip(NEXT) | instid1(VALU_DEP_1)
	v_clz_i32_u32_e32 v19, v86
	v_min_u32_e32 v19, 32, v19
	s_delay_alu instid0(VALU_DEP_1) | instskip(NEXT) | instid1(VALU_DEP_1)
	v_subrev_nc_u32_e32 v23, 28, v19
	v_lshlrev_b64_e32 v[54:55], v23, v[86:87]
	s_delay_alu instid0(VALU_DEP_1)
	v_dual_sub_nc_u32 v19, 29, v19 :: v_dual_bitop2_b32 v86, 7, v54 bitop3:0x40
; %bb.5403:                             ;   in Loop: Header=BB6_3974 Depth=2
	s_or_b32 exec_lo, exec_lo, s28
	v_lshlrev_b32_e32 v22, 24, v22
	s_delay_alu instid0(VALU_DEP_2) | instskip(NEXT) | instid1(VALU_DEP_3)
	v_lshlrev_b32_e32 v23, 20, v86
	v_lshl_add_u32 v19, v19, 23, 0x3c000000
	s_delay_alu instid0(VALU_DEP_3) | instskip(NEXT) | instid1(VALU_DEP_1)
	v_and_b32_e32 v22, 0x80000000, v22
	v_or3_b32 v19, v23, v22, v19
.LBB6_5404:                             ;   in Loop: Header=BB6_3974 Depth=2
	s_or_b32 exec_lo, exec_lo, s27
.LBB6_5405:                             ;   in Loop: Header=BB6_3974 Depth=2
	s_delay_alu instid0(SALU_CYCLE_1)
	s_or_b32 exec_lo, exec_lo, s26
.LBB6_5406:                             ;   in Loop: Header=BB6_3974 Depth=2
	s_delay_alu instid0(SALU_CYCLE_1) | instskip(SKIP_2) | instid1(VALU_DEP_1)
	s_or_b32 exec_lo, exec_lo, s7
	v_lshrrev_b32_e32 v22, 16, v21
	s_mov_b32 s7, exec_lo
	v_and_b32_e32 v23, 0xff, v22
	s_delay_alu instid0(VALU_DEP_1)
	v_cmpx_ne_u16_e32 0, v23
	s_cbranch_execz .LBB6_5414
; %bb.5407:                             ;   in Loop: Header=BB6_3974 Depth=2
	v_bfrev_b32_e32 v18, 1
	s_mov_b32 s26, exec_lo
	v_cmpx_ne_u16_e32 0x80, v23
	s_cbranch_execz .LBB6_5413
; %bb.5408:                             ;   in Loop: Header=BB6_3974 Depth=2
	v_bfe_u32 v23, v21, 16, 7
	v_mov_b32_e32 v18, 0x7f800001
	s_mov_b32 s27, exec_lo
	s_delay_alu instid0(VALU_DEP_2)
	v_cmpx_ne_u32_e32 0x7f, v23
	s_cbranch_execz .LBB6_5412
; %bb.5409:                             ;   in Loop: Header=BB6_3974 Depth=2
	v_dual_lshrrev_b32 v18, 3, v23 :: v_dual_bitop2_b32 v86, 7, v22 bitop3:0x40
	s_mov_b32 s28, exec_lo
	v_cmpx_gt_u32_e32 8, v23
; %bb.5410:                             ;   in Loop: Header=BB6_3974 Depth=2
	s_delay_alu instid0(VALU_DEP_2) | instskip(NEXT) | instid1(VALU_DEP_1)
	v_clz_i32_u32_e32 v18, v86
	v_min_u32_e32 v18, 32, v18
	s_delay_alu instid0(VALU_DEP_1) | instskip(SKIP_1) | instid1(VALU_DEP_2)
	v_subrev_nc_u32_e32 v22, 28, v18
	v_sub_nc_u32_e32 v18, 29, v18
	v_lshlrev_b64_e32 v[22:23], v22, v[86:87]
	s_delay_alu instid0(VALU_DEP_1)
	v_and_b32_e32 v86, 7, v22
; %bb.5411:                             ;   in Loop: Header=BB6_3974 Depth=2
	s_or_b32 exec_lo, exec_lo, s28
	s_delay_alu instid0(VALU_DEP_1) | instskip(SKIP_1) | instid1(VALU_DEP_2)
	v_dual_lshlrev_b32 v22, 8, v21 :: v_dual_lshlrev_b32 v23, 20, v86
	v_lshl_add_u32 v18, v18, 23, 0x3c000000
	v_and_b32_e32 v22, 0x80000000, v22
	s_delay_alu instid0(VALU_DEP_1)
	v_or3_b32 v18, v23, v22, v18
.LBB6_5412:                             ;   in Loop: Header=BB6_3974 Depth=2
	s_or_b32 exec_lo, exec_lo, s27
.LBB6_5413:                             ;   in Loop: Header=BB6_3974 Depth=2
	s_delay_alu instid0(SALU_CYCLE_1)
	s_or_b32 exec_lo, exec_lo, s26
.LBB6_5414:                             ;   in Loop: Header=BB6_3974 Depth=2
	s_delay_alu instid0(SALU_CYCLE_1) | instskip(NEXT) | instid1(VALU_DEP_1)
	s_or_b32 exec_lo, exec_lo, s7
	v_mul_f32_e32 v18, v19, v18
                                        ; implicit-def: $vgpr22
	s_mov_b32 s7, exec_lo
	s_delay_alu instid0(VALU_DEP_1) | instskip(SKIP_1) | instid1(VALU_DEP_2)
	v_and_b32_e32 v86, 0x7f800000, v18
	v_lshrrev_b32_e32 v19, 24, v18
	v_cmpx_ne_u64_e32 0x7f800000, v[86:87]
	s_xor_b32 s26, exec_lo, s7
	s_cbranch_execz .LBB6_5428
; %bb.5415:                             ;   in Loop: Header=BB6_3974 Depth=2
	v_and_b32_e32 v86, 0x7fffffff, v18
	v_and_b32_e32 v31, 0x80, v19
                                        ; implicit-def: $vgpr22
	s_mov_b32 s7, exec_lo
	s_delay_alu instid0(VALU_DEP_2)
	v_cmpx_gt_u64_e32 0x43e00001, v[86:87]
	s_xor_b32 s27, exec_lo, s7
	s_cbranch_execz .LBB6_5425
; %bb.5416:                             ;   in Loop: Header=BB6_3974 Depth=2
	v_mov_b32_e32 v22, 0
	s_mov_b32 s28, exec_lo
	v_cmpx_ne_u32_e32 0, v18
	s_cbranch_execz .LBB6_5424
; %bb.5417:                             ;   in Loop: Header=BB6_3974 Depth=2
	v_bfe_u32 v54, v18, 23, 8
	v_and_b32_e32 v19, 0x7fffff, v18
	s_delay_alu instid0(VALU_DEP_2) | instskip(SKIP_2) | instid1(VALU_DEP_4)
	v_cmp_gt_u32_e64 s7, 0x7a, v54
	v_sub_nc_u32_e32 v18, 0x79, v54
	v_cmp_eq_u32_e32 vcc_lo, 0, v54
	v_or_b32_e32 v22, 0x800000, v19
	s_delay_alu instid0(VALU_DEP_1) | instskip(NEXT) | instid1(VALU_DEP_1)
	v_dual_cndmask_b32 v18, 0, v18, s7 :: v_dual_cndmask_b32 v86, v22, v19, vcc_lo
	v_cndmask_b32_e64 v55, v18, 0x78, vcc_lo
	s_delay_alu instid0(VALU_DEP_1) | instskip(NEXT) | instid1(VALU_DEP_1)
	v_dual_add_nc_u32 v18, 20, v55 :: v_dual_add_nc_u32 v22, 19, v55
	v_lshlrev_b64_e64 v[18:19], v18, -1
	s_delay_alu instid0(VALU_DEP_2) | instskip(NEXT) | instid1(VALU_DEP_2)
	v_lshlrev_b64_e64 v[22:23], v22, 1
	v_bfi_b32 v19, v19, 0, 0
	s_delay_alu instid0(VALU_DEP_3) | instskip(NEXT) | instid1(VALU_DEP_1)
	v_bfi_b32 v18, v18, 0, v86
	v_cmp_eq_u64_e64 s7, v[18:19], v[22:23]
	v_lshrrev_b64 v[18:19], v55, v[86:87]
	s_delay_alu instid0(VALU_DEP_1)
	v_mov_b64_e32 v[22:23], v[18:19]
	s_and_saveexec_b32 s29, s7
; %bb.5418:                             ;   in Loop: Header=BB6_3974 Depth=2
	v_bfe_u32 v86, v18, 20, 1
	s_delay_alu instid0(VALU_DEP_1) | instskip(NEXT) | instid1(VALU_DEP_1)
	v_add_nc_u64_e32 v[22:23], v[18:19], v[86:87]
	v_add_nc_u64_e32 v[22:23], -1, v[22:23]
; %bb.5419:                             ;   in Loop: Header=BB6_3974 Depth=2
	s_or_b32 exec_lo, exec_lo, s29
	v_add_nc_u32_e32 v19, 0xffffff81, v54
	v_lshrrev_b32_e32 v23, 23, v18
	s_mov_b32 s7, exec_lo
	s_delay_alu instid0(VALU_DEP_2) | instskip(NEXT) | instid1(VALU_DEP_1)
	v_cndmask_b32_e64 v19, v19, 0xffffff82, vcc_lo
	v_add3_u32 v23, v55, v19, v23
	v_and_b32_e32 v19, 0xfffff, v22
                                        ; implicit-def: $vgpr22
	s_delay_alu instid0(VALU_DEP_1) | instskip(NEXT) | instid1(VALU_DEP_1)
	v_dual_add_nc_u32 v54, 6, v23 :: v_dual_add_nc_u32 v86, v19, v18
                                        ; implicit-def: $vgpr18_vgpr19
	v_cmpx_ne_u32_e32 0, v54
	s_xor_b32 s7, exec_lo, s7
; %bb.5420:                             ;   in Loop: Header=BB6_3974 Depth=2
	s_delay_alu instid0(VALU_DEP_2) | instskip(SKIP_1) | instid1(VALU_DEP_1)
	v_cmp_lt_u64_e32 vcc_lo, 0xffffff, v[86:87]
	v_add_nc_u32_e32 v18, 7, v23
	v_cndmask_b32_e32 v22, v54, v18, vcc_lo
	v_cndmask_b32_e64 v18, 0, 1, vcc_lo
	s_delay_alu instid0(VALU_DEP_1)
	v_lshrrev_b64 v[18:19], v18, v[86:87]
; %bb.5421:                             ;   in Loop: Header=BB6_3974 Depth=2
	s_and_not1_saveexec_b32 s7, s7
; %bb.5422:                             ;   in Loop: Header=BB6_3974 Depth=2
	v_mov_b64_e32 v[18:19], v[86:87]
	v_bfe_u32 v22, v86, 23, 1
; %bb.5423:                             ;   in Loop: Header=BB6_3974 Depth=2
	s_or_b32 exec_lo, exec_lo, s7
	s_delay_alu instid0(VALU_DEP_2) | instskip(NEXT) | instid1(VALU_DEP_2)
	v_lshrrev_b64 v[18:19], 20, v[18:19]
	v_cmp_gt_i32_e32 vcc_lo, 16, v22
	v_min_i32_e32 v23, 15, v22
	v_cmp_eq_u32_e64 s7, 0, v22
	s_delay_alu instid0(VALU_DEP_4) | instskip(NEXT) | instid1(VALU_DEP_3)
	v_cndmask_b32_e32 v19, 0, v19, vcc_lo
	v_dual_cndmask_b32 v18, 7, v18 :: v_dual_lshlrev_b32 v23, 3, v23
	s_delay_alu instid0(VALU_DEP_1) | instskip(NEXT) | instid1(VALU_DEP_2)
	v_and_b32_e32 v23, 0xf8, v23
	v_cmp_eq_u64_e32 vcc_lo, 0, v[18:19]
	s_delay_alu instid0(VALU_DEP_2)
	v_and_or_b32 v18, v18, 7, v23
	s_and_b32 s7, s7, vcc_lo
	s_delay_alu instid0(VALU_DEP_1) | instid1(SALU_CYCLE_1)
	v_cndmask_b32_e64 v18, v18, 0, s7
	s_delay_alu instid0(VALU_DEP_1)
	v_or_b32_e32 v22, v18, v31
.LBB6_5424:                             ;   in Loop: Header=BB6_3974 Depth=2
	s_or_b32 exec_lo, exec_lo, s28
                                        ; implicit-def: $vgpr31
.LBB6_5425:                             ;   in Loop: Header=BB6_3974 Depth=2
	s_and_not1_saveexec_b32 s7, s27
; %bb.5426:                             ;   in Loop: Header=BB6_3974 Depth=2
	v_or_b32_e32 v22, 0x7e, v31
; %bb.5427:                             ;   in Loop: Header=BB6_3974 Depth=2
	s_or_b32 exec_lo, exec_lo, s7
                                        ; implicit-def: $vgpr19
.LBB6_5428:                             ;   in Loop: Header=BB6_3974 Depth=2
	s_and_not1_saveexec_b32 s7, s26
; %bb.5429:                             ;   in Loop: Header=BB6_3974 Depth=2
	v_or_b32_e32 v22, 0x7f, v19
; %bb.5430:                             ;   in Loop: Header=BB6_3974 Depth=2
	s_or_b32 exec_lo, exec_lo, s7
	v_dual_mov_b32 v18, 0 :: v_dual_mov_b32 v19, 0
	s_mov_b32 s7, exec_lo
	v_cmpx_lt_u64_e64 s[12:13], v[24:25]
	s_cbranch_execz .LBB6_5438
; %bb.5431:                             ;   in Loop: Header=BB6_3974 Depth=2
	v_lshrrev_b32_e32 v23, 24, v25
	v_bfrev_b32_e32 v19, 1
	s_mov_b32 s26, exec_lo
	s_delay_alu instid0(VALU_DEP_2)
	v_cmpx_ne_u32_e32 0x80, v23
	s_cbranch_execz .LBB6_5437
; %bb.5432:                             ;   in Loop: Header=BB6_3974 Depth=2
	v_bfe_u32 v24, v25, 24, 7
	v_mov_b32_e32 v19, 0x7f800001
	s_mov_b32 s27, exec_lo
	s_delay_alu instid0(VALU_DEP_2)
	v_cmpx_ne_u32_e32 0x7f, v24
	s_cbranch_execz .LBB6_5436
; %bb.5433:                             ;   in Loop: Header=BB6_3974 Depth=2
	v_dual_lshrrev_b32 v19, 3, v24 :: v_dual_bitop2_b32 v86, 7, v23 bitop3:0x40
	s_mov_b32 s28, exec_lo
	v_cmpx_gt_u32_e32 8, v24
; %bb.5434:                             ;   in Loop: Header=BB6_3974 Depth=2
	s_delay_alu instid0(VALU_DEP_2) | instskip(NEXT) | instid1(VALU_DEP_1)
	v_clz_i32_u32_e32 v19, v86
	v_min_u32_e32 v19, 32, v19
	s_delay_alu instid0(VALU_DEP_1) | instskip(NEXT) | instid1(VALU_DEP_1)
	v_subrev_nc_u32_e32 v24, 28, v19
	v_lshlrev_b64_e32 v[24:25], v24, v[86:87]
	s_delay_alu instid0(VALU_DEP_1)
	v_dual_sub_nc_u32 v19, 29, v19 :: v_dual_bitop2_b32 v86, 7, v24 bitop3:0x40
; %bb.5435:                             ;   in Loop: Header=BB6_3974 Depth=2
	s_or_b32 exec_lo, exec_lo, s28
	s_delay_alu instid0(VALU_DEP_1) | instskip(NEXT) | instid1(VALU_DEP_2)
	v_dual_lshlrev_b32 v23, 24, v23 :: v_dual_lshlrev_b32 v24, 20, v86
	v_lshl_add_u32 v19, v19, 23, 0x3c000000
	s_delay_alu instid0(VALU_DEP_2) | instskip(NEXT) | instid1(VALU_DEP_1)
	v_and_b32_e32 v23, 0x80000000, v23
	v_or3_b32 v19, v24, v23, v19
.LBB6_5436:                             ;   in Loop: Header=BB6_3974 Depth=2
	s_or_b32 exec_lo, exec_lo, s27
.LBB6_5437:                             ;   in Loop: Header=BB6_3974 Depth=2
	s_delay_alu instid0(SALU_CYCLE_1)
	s_or_b32 exec_lo, exec_lo, s26
.LBB6_5438:                             ;   in Loop: Header=BB6_3974 Depth=2
	s_delay_alu instid0(SALU_CYCLE_1) | instskip(NEXT) | instid1(SALU_CYCLE_1)
	s_or_b32 exec_lo, exec_lo, s7
	s_mov_b32 s7, exec_lo
	v_cmpx_lt_u64_e64 s[12:13], v[20:21]
	s_cbranch_execz .LBB6_5446
; %bb.5439:                             ;   in Loop: Header=BB6_3974 Depth=2
	v_lshrrev_b32_e32 v20, 24, v21
	v_bfrev_b32_e32 v18, 1
	s_mov_b32 s26, exec_lo
	s_delay_alu instid0(VALU_DEP_2)
	v_cmpx_ne_u32_e32 0x80, v20
	s_cbranch_execz .LBB6_5445
; %bb.5440:                             ;   in Loop: Header=BB6_3974 Depth=2
	v_bfe_u32 v21, v21, 24, 7
	v_mov_b32_e32 v18, 0x7f800001
	s_mov_b32 s27, exec_lo
	s_delay_alu instid0(VALU_DEP_2)
	v_cmpx_ne_u32_e32 0x7f, v21
	s_cbranch_execz .LBB6_5444
; %bb.5441:                             ;   in Loop: Header=BB6_3974 Depth=2
	v_dual_lshrrev_b32 v18, 3, v21 :: v_dual_bitop2_b32 v86, 7, v20 bitop3:0x40
	s_mov_b32 s28, exec_lo
	v_cmpx_gt_u32_e32 8, v21
; %bb.5442:                             ;   in Loop: Header=BB6_3974 Depth=2
	s_delay_alu instid0(VALU_DEP_2) | instskip(NEXT) | instid1(VALU_DEP_1)
	v_clz_i32_u32_e32 v18, v86
	v_min_u32_e32 v18, 32, v18
	s_delay_alu instid0(VALU_DEP_1) | instskip(NEXT) | instid1(VALU_DEP_1)
	v_subrev_nc_u32_e32 v21, 28, v18
	v_lshlrev_b64_e32 v[24:25], v21, v[86:87]
	s_delay_alu instid0(VALU_DEP_1)
	v_dual_sub_nc_u32 v18, 29, v18 :: v_dual_bitop2_b32 v86, 7, v24 bitop3:0x40
; %bb.5443:                             ;   in Loop: Header=BB6_3974 Depth=2
	s_or_b32 exec_lo, exec_lo, s28
	s_delay_alu instid0(VALU_DEP_1) | instskip(NEXT) | instid1(VALU_DEP_2)
	v_dual_lshlrev_b32 v20, 24, v20 :: v_dual_lshlrev_b32 v21, 20, v86
	v_lshl_add_u32 v18, v18, 23, 0x3c000000
	s_delay_alu instid0(VALU_DEP_2) | instskip(NEXT) | instid1(VALU_DEP_1)
	v_and_b32_e32 v20, 0x80000000, v20
	v_or3_b32 v18, v21, v20, v18
.LBB6_5444:                             ;   in Loop: Header=BB6_3974 Depth=2
	s_or_b32 exec_lo, exec_lo, s27
.LBB6_5445:                             ;   in Loop: Header=BB6_3974 Depth=2
	s_delay_alu instid0(SALU_CYCLE_1)
	s_or_b32 exec_lo, exec_lo, s26
.LBB6_5446:                             ;   in Loop: Header=BB6_3974 Depth=2
	s_delay_alu instid0(SALU_CYCLE_1) | instskip(NEXT) | instid1(VALU_DEP_1)
	s_or_b32 exec_lo, exec_lo, s7
	v_mul_f32_e32 v18, v19, v18
                                        ; implicit-def: $vgpr23
	s_mov_b32 s7, exec_lo
	s_delay_alu instid0(VALU_DEP_1) | instskip(SKIP_1) | instid1(VALU_DEP_2)
	v_and_b32_e32 v86, 0x7f800000, v18
	v_lshrrev_b32_e32 v19, 24, v18
	v_cmpx_ne_u64_e32 0x7f800000, v[86:87]
	s_xor_b32 s26, exec_lo, s7
	s_cbranch_execz .LBB6_5460
; %bb.5447:                             ;   in Loop: Header=BB6_3974 Depth=2
	v_and_b32_e32 v86, 0x7fffffff, v18
	v_and_b32_e32 v24, 0x80, v19
                                        ; implicit-def: $vgpr23
	s_mov_b32 s7, exec_lo
	s_delay_alu instid0(VALU_DEP_2)
	v_cmpx_gt_u64_e32 0x43e00001, v[86:87]
	s_xor_b32 s27, exec_lo, s7
	s_cbranch_execz .LBB6_5457
; %bb.5448:                             ;   in Loop: Header=BB6_3974 Depth=2
	v_mov_b32_e32 v23, 0
	s_mov_b32 s28, exec_lo
	v_cmpx_ne_u32_e32 0, v18
	s_cbranch_execz .LBB6_5456
; %bb.5449:                             ;   in Loop: Header=BB6_3974 Depth=2
	v_bfe_u32 v23, v18, 23, 8
	v_and_b32_e32 v20, 0x7fffff, v18
	s_delay_alu instid0(VALU_DEP_2) | instskip(NEXT) | instid1(VALU_DEP_2)
	v_cmp_gt_u32_e32 vcc_lo, 0x7a, v23
	v_or_b32_e32 v21, 0x800000, v20
	v_sub_nc_u32_e32 v19, 0x79, v23
	s_delay_alu instid0(VALU_DEP_1) | instskip(SKIP_1) | instid1(VALU_DEP_2)
	v_cndmask_b32_e32 v19, 0, v19, vcc_lo
	v_cmp_eq_u32_e32 vcc_lo, 0, v23
	v_cndmask_b32_e64 v25, v19, 0x78, vcc_lo
	s_delay_alu instid0(VALU_DEP_1) | instskip(SKIP_1) | instid1(VALU_DEP_2)
	v_dual_cndmask_b32 v86, v21, v20, vcc_lo :: v_dual_add_nc_u32 v18, 20, v25
	v_add_nc_u32_e32 v31, 19, v25
	v_lshlrev_b64_e64 v[18:19], v18, -1
	s_delay_alu instid0(VALU_DEP_2) | instskip(NEXT) | instid1(VALU_DEP_2)
	v_lshlrev_b64_e64 v[20:21], v31, 1
	v_bfi_b32 v55, v19, 0, 0
	s_delay_alu instid0(VALU_DEP_3) | instskip(SKIP_1) | instid1(VALU_DEP_2)
	v_bfi_b32 v54, v18, 0, v86
	v_lshrrev_b64 v[18:19], v25, v[86:87]
	v_cmp_eq_u64_e64 s7, v[54:55], v[20:21]
	s_delay_alu instid0(VALU_DEP_2)
	v_mov_b64_e32 v[20:21], v[18:19]
	s_and_saveexec_b32 s29, s7
; %bb.5450:                             ;   in Loop: Header=BB6_3974 Depth=2
	v_bfe_u32 v86, v18, 20, 1
	s_delay_alu instid0(VALU_DEP_1) | instskip(NEXT) | instid1(VALU_DEP_1)
	v_add_nc_u64_e32 v[20:21], v[18:19], v[86:87]
	v_add_nc_u64_e32 v[20:21], -1, v[20:21]
; %bb.5451:                             ;   in Loop: Header=BB6_3974 Depth=2
	s_or_b32 exec_lo, exec_lo, s29
	v_add_nc_u32_e32 v19, 0xffffff81, v23
	v_lshrrev_b32_e32 v21, 23, v18
	s_mov_b32 s7, exec_lo
	s_delay_alu instid0(VALU_DEP_2) | instskip(NEXT) | instid1(VALU_DEP_1)
	v_cndmask_b32_e64 v19, v19, 0xffffff82, vcc_lo
	v_add3_u32 v21, v25, v19, v21
	v_and_b32_e32 v19, 0xfffff, v20
                                        ; implicit-def: $vgpr20
	s_delay_alu instid0(VALU_DEP_1) | instskip(NEXT) | instid1(VALU_DEP_1)
	v_dual_add_nc_u32 v23, 6, v21 :: v_dual_add_nc_u32 v86, v19, v18
                                        ; implicit-def: $vgpr18_vgpr19
	v_cmpx_ne_u32_e32 0, v23
	s_xor_b32 s7, exec_lo, s7
; %bb.5452:                             ;   in Loop: Header=BB6_3974 Depth=2
	s_delay_alu instid0(VALU_DEP_2) | instskip(SKIP_1) | instid1(VALU_DEP_1)
	v_cmp_lt_u64_e32 vcc_lo, 0xffffff, v[86:87]
	v_add_nc_u32_e32 v18, 7, v21
	v_cndmask_b32_e32 v20, v23, v18, vcc_lo
	v_cndmask_b32_e64 v18, 0, 1, vcc_lo
	s_delay_alu instid0(VALU_DEP_1)
	v_lshrrev_b64 v[18:19], v18, v[86:87]
; %bb.5453:                             ;   in Loop: Header=BB6_3974 Depth=2
	s_and_not1_saveexec_b32 s7, s7
; %bb.5454:                             ;   in Loop: Header=BB6_3974 Depth=2
	v_mov_b64_e32 v[18:19], v[86:87]
	v_bfe_u32 v20, v86, 23, 1
; %bb.5455:                             ;   in Loop: Header=BB6_3974 Depth=2
	s_or_b32 exec_lo, exec_lo, s7
	s_delay_alu instid0(VALU_DEP_2) | instskip(NEXT) | instid1(VALU_DEP_2)
	v_lshrrev_b64 v[18:19], 20, v[18:19]
	v_cmp_gt_i32_e32 vcc_lo, 16, v20
	v_min_i32_e32 v21, 15, v20
	v_cmp_eq_u32_e64 s7, 0, v20
	s_delay_alu instid0(VALU_DEP_2) | instskip(SKIP_1) | instid1(VALU_DEP_2)
	v_dual_cndmask_b32 v19, 0, v19, vcc_lo :: v_dual_lshlrev_b32 v21, 3, v21
	v_cndmask_b32_e32 v18, 7, v18, vcc_lo
	v_and_b32_e32 v21, 0xf8, v21
	s_delay_alu instid0(VALU_DEP_2) | instskip(NEXT) | instid1(VALU_DEP_2)
	v_cmp_eq_u64_e32 vcc_lo, 0, v[18:19]
	v_and_or_b32 v18, v18, 7, v21
	s_and_b32 s7, s7, vcc_lo
	s_delay_alu instid0(VALU_DEP_1) | instid1(SALU_CYCLE_1)
	v_cndmask_b32_e64 v18, v18, 0, s7
	s_delay_alu instid0(VALU_DEP_1)
	v_or_b32_e32 v23, v18, v24
.LBB6_5456:                             ;   in Loop: Header=BB6_3974 Depth=2
	s_or_b32 exec_lo, exec_lo, s28
                                        ; implicit-def: $vgpr24
.LBB6_5457:                             ;   in Loop: Header=BB6_3974 Depth=2
	s_and_not1_saveexec_b32 s7, s27
; %bb.5458:                             ;   in Loop: Header=BB6_3974 Depth=2
	v_or_b32_e32 v23, 0x7e, v24
; %bb.5459:                             ;   in Loop: Header=BB6_3974 Depth=2
	s_or_b32 exec_lo, exec_lo, s7
                                        ; implicit-def: $vgpr19
.LBB6_5460:                             ;   in Loop: Header=BB6_3974 Depth=2
	s_and_not1_saveexec_b32 s7, s26
; %bb.5461:                             ;   in Loop: Header=BB6_3974 Depth=2
	v_or_b32_e32 v23, 0x7f, v19
; %bb.5462:                             ;   in Loop: Header=BB6_3974 Depth=2
	s_or_b32 exec_lo, exec_lo, s7
	v_and_b32_e32 v20, 0xff, v14
	v_dual_mov_b32 v18, 0 :: v_dual_mov_b32 v19, 0
	s_mov_b32 s7, exec_lo
	s_delay_alu instid0(VALU_DEP_2)
	v_cmpx_ne_u16_e32 0, v20
	s_cbranch_execz .LBB6_5468
; %bb.5463:                             ;   in Loop: Header=BB6_3974 Depth=2
	v_bfrev_b32_e32 v19, 1
	s_mov_b32 s26, exec_lo
	v_cmpx_ne_u16_e32 0x80, v20
	s_cbranch_execz .LBB6_5467
; %bb.5464:                             ;   in Loop: Header=BB6_3974 Depth=2
	v_and_b32_e32 v20, 0x7f, v14
	v_mov_b32_e32 v19, 0x7f800001
	s_mov_b32 s27, exec_lo
	s_delay_alu instid0(VALU_DEP_2)
	v_cmpx_ne_u32_e32 0x7f, v20
	s_cbranch_execz .LBB6_5466
; %bb.5465:                             ;   in Loop: Header=BB6_3974 Depth=2
	v_dual_lshrrev_b32 v21, 3, v20 :: v_dual_bitop2_b32 v19, 7, v14 bitop3:0x40
	v_cmp_gt_u32_e32 vcc_lo, 8, v20
	s_delay_alu instid0(VALU_DEP_2) | instskip(NEXT) | instid1(VALU_DEP_1)
	v_clz_i32_u32_e32 v19, v19
	v_min_u32_e32 v19, 32, v19
	s_delay_alu instid0(VALU_DEP_1) | instskip(NEXT) | instid1(VALU_DEP_1)
	v_subrev_nc_u32_e32 v24, 28, v19
	v_dual_cndmask_b32 v20, 0, v24 :: v_dual_sub_nc_u32 v19, 29, v19
	s_delay_alu instid0(VALU_DEP_1) | instskip(NEXT) | instid1(VALU_DEP_2)
	v_cndmask_b32_e32 v19, v21, v19, vcc_lo
	v_lshlrev_b64_e32 v[20:21], v20, v[14:15]
	v_lshlrev_b32_e32 v21, 24, v14
	s_delay_alu instid0(VALU_DEP_3) | instskip(NEXT) | instid1(VALU_DEP_2)
	v_lshl_add_u32 v19, v19, 23, 0x3c000000
	v_and_b32_e32 v21, 0x80000000, v21
	s_delay_alu instid0(VALU_DEP_4) | instskip(NEXT) | instid1(VALU_DEP_1)
	v_lshlrev_b32_e32 v20, 20, v20
	v_and_b32_e32 v20, 0x700000, v20
	s_delay_alu instid0(VALU_DEP_1)
	v_or3_b32 v19, v20, v21, v19
.LBB6_5466:                             ;   in Loop: Header=BB6_3974 Depth=2
	s_or_b32 exec_lo, exec_lo, s27
.LBB6_5467:                             ;   in Loop: Header=BB6_3974 Depth=2
	s_delay_alu instid0(SALU_CYCLE_1)
	s_or_b32 exec_lo, exec_lo, s26
.LBB6_5468:                             ;   in Loop: Header=BB6_3974 Depth=2
	s_delay_alu instid0(SALU_CYCLE_1) | instskip(SKIP_3) | instid1(VALU_DEP_1)
	s_or_b32 exec_lo, exec_lo, s7
	s_wait_loadcnt 0x0
	v_and_b32_e32 v20, 0xff, v10
	s_mov_b32 s7, exec_lo
	v_cmpx_ne_u16_e32 0, v20
	s_cbranch_execz .LBB6_5474
; %bb.5469:                             ;   in Loop: Header=BB6_3974 Depth=2
	v_bfrev_b32_e32 v18, 1
	s_mov_b32 s26, exec_lo
	v_cmpx_ne_u16_e32 0x80, v20
	s_cbranch_execz .LBB6_5473
; %bb.5470:                             ;   in Loop: Header=BB6_3974 Depth=2
	v_and_b32_e32 v20, 0x7f, v10
	v_mov_b32_e32 v18, 0x7f800001
	s_mov_b32 s27, exec_lo
	s_delay_alu instid0(VALU_DEP_2)
	v_cmpx_ne_u32_e32 0x7f, v20
	s_cbranch_execz .LBB6_5472
; %bb.5471:                             ;   in Loop: Header=BB6_3974 Depth=2
	v_dual_lshrrev_b32 v21, 3, v20 :: v_dual_bitop2_b32 v18, 7, v10 bitop3:0x40
	v_cmp_gt_u32_e32 vcc_lo, 8, v20
	s_delay_alu instid0(VALU_DEP_2) | instskip(NEXT) | instid1(VALU_DEP_1)
	v_clz_i32_u32_e32 v18, v18
	v_min_u32_e32 v18, 32, v18
	s_delay_alu instid0(VALU_DEP_1) | instskip(NEXT) | instid1(VALU_DEP_1)
	v_subrev_nc_u32_e32 v24, 28, v18
	v_dual_sub_nc_u32 v18, 29, v18 :: v_dual_cndmask_b32 v20, 0, v24, vcc_lo
	s_delay_alu instid0(VALU_DEP_1) | instskip(NEXT) | instid1(VALU_DEP_2)
	v_cndmask_b32_e32 v18, v21, v18, vcc_lo
	v_lshlrev_b64_e32 v[20:21], v20, v[10:11]
	v_lshlrev_b32_e32 v21, 24, v10
	s_delay_alu instid0(VALU_DEP_1) | instskip(NEXT) | instid1(VALU_DEP_3)
	v_and_b32_e32 v21, 0x80000000, v21
	v_lshlrev_b32_e32 v20, 20, v20
	v_lshl_add_u32 v18, v18, 23, 0x3c000000
	s_delay_alu instid0(VALU_DEP_2) | instskip(NEXT) | instid1(VALU_DEP_1)
	v_and_b32_e32 v20, 0x700000, v20
	v_or3_b32 v18, v20, v21, v18
.LBB6_5472:                             ;   in Loop: Header=BB6_3974 Depth=2
	s_or_b32 exec_lo, exec_lo, s27
.LBB6_5473:                             ;   in Loop: Header=BB6_3974 Depth=2
	s_delay_alu instid0(SALU_CYCLE_1)
	s_or_b32 exec_lo, exec_lo, s26
.LBB6_5474:                             ;   in Loop: Header=BB6_3974 Depth=2
	s_delay_alu instid0(SALU_CYCLE_1) | instskip(NEXT) | instid1(VALU_DEP_1)
	s_or_b32 exec_lo, exec_lo, s7
	v_mul_f32_e32 v18, v19, v18
                                        ; implicit-def: $vgpr24
	s_mov_b32 s7, exec_lo
	s_delay_alu instid0(VALU_DEP_1) | instskip(SKIP_1) | instid1(VALU_DEP_2)
	v_and_b32_e32 v86, 0x7f800000, v18
	v_lshrrev_b32_e32 v19, 24, v18
	v_cmpx_ne_u64_e32 0x7f800000, v[86:87]
	s_xor_b32 s26, exec_lo, s7
	s_cbranch_execz .LBB6_5488
; %bb.5475:                             ;   in Loop: Header=BB6_3974 Depth=2
	v_and_b32_e32 v86, 0x7fffffff, v18
	v_and_b32_e32 v25, 0x80, v19
                                        ; implicit-def: $vgpr24
	s_mov_b32 s7, exec_lo
	s_delay_alu instid0(VALU_DEP_2)
	v_cmpx_gt_u64_e32 0x43e00001, v[86:87]
	s_xor_b32 s27, exec_lo, s7
	s_cbranch_execz .LBB6_5485
; %bb.5476:                             ;   in Loop: Header=BB6_3974 Depth=2
	v_mov_b32_e32 v24, 0
	s_mov_b32 s28, exec_lo
	v_cmpx_ne_u32_e32 0, v18
	s_cbranch_execz .LBB6_5484
; %bb.5477:                             ;   in Loop: Header=BB6_3974 Depth=2
	v_bfe_u32 v24, v18, 23, 8
	v_and_b32_e32 v20, 0x7fffff, v18
	s_delay_alu instid0(VALU_DEP_2) | instskip(SKIP_1) | instid1(VALU_DEP_3)
	v_sub_nc_u32_e32 v19, 0x79, v24
	v_cmp_gt_u32_e32 vcc_lo, 0x7a, v24
	v_or_b32_e32 v21, 0x800000, v20
	s_delay_alu instid0(VALU_DEP_3) | instskip(SKIP_1) | instid1(VALU_DEP_3)
	v_cndmask_b32_e32 v19, 0, v19, vcc_lo
	v_cmp_eq_u32_e32 vcc_lo, 0, v24
	v_cndmask_b32_e32 v86, v21, v20, vcc_lo
	s_delay_alu instid0(VALU_DEP_3) | instskip(NEXT) | instid1(VALU_DEP_1)
	v_cndmask_b32_e64 v31, v19, 0x78, vcc_lo
	v_dual_add_nc_u32 v18, 20, v31 :: v_dual_add_nc_u32 v54, 19, v31
	s_delay_alu instid0(VALU_DEP_1) | instskip(NEXT) | instid1(VALU_DEP_2)
	v_lshlrev_b64_e64 v[18:19], v18, -1
	v_lshlrev_b64_e64 v[20:21], v54, 1
	s_delay_alu instid0(VALU_DEP_2) | instskip(NEXT) | instid1(VALU_DEP_3)
	v_bfi_b32 v55, v19, 0, 0
	v_bfi_b32 v54, v18, 0, v86
	v_lshrrev_b64 v[18:19], v31, v[86:87]
	s_delay_alu instid0(VALU_DEP_2) | instskip(NEXT) | instid1(VALU_DEP_2)
	v_cmp_eq_u64_e64 s7, v[54:55], v[20:21]
	v_mov_b64_e32 v[20:21], v[18:19]
	s_and_saveexec_b32 s29, s7
; %bb.5478:                             ;   in Loop: Header=BB6_3974 Depth=2
	v_bfe_u32 v86, v18, 20, 1
	s_delay_alu instid0(VALU_DEP_1) | instskip(NEXT) | instid1(VALU_DEP_1)
	v_add_nc_u64_e32 v[20:21], v[18:19], v[86:87]
	v_add_nc_u64_e32 v[20:21], -1, v[20:21]
; %bb.5479:                             ;   in Loop: Header=BB6_3974 Depth=2
	s_or_b32 exec_lo, exec_lo, s29
	v_add_nc_u32_e32 v19, 0xffffff81, v24
	v_lshrrev_b32_e32 v21, 23, v18
	s_mov_b32 s7, exec_lo
	s_delay_alu instid0(VALU_DEP_2) | instskip(NEXT) | instid1(VALU_DEP_1)
	v_cndmask_b32_e64 v19, v19, 0xffffff82, vcc_lo
	v_add3_u32 v21, v31, v19, v21
	v_and_b32_e32 v19, 0xfffff, v20
                                        ; implicit-def: $vgpr20
	s_delay_alu instid0(VALU_DEP_1) | instskip(NEXT) | instid1(VALU_DEP_1)
	v_dual_add_nc_u32 v24, 6, v21 :: v_dual_add_nc_u32 v86, v19, v18
                                        ; implicit-def: $vgpr18_vgpr19
	v_cmpx_ne_u32_e32 0, v24
	s_xor_b32 s7, exec_lo, s7
; %bb.5480:                             ;   in Loop: Header=BB6_3974 Depth=2
	s_delay_alu instid0(VALU_DEP_2) | instskip(SKIP_1) | instid1(VALU_DEP_1)
	v_cmp_lt_u64_e32 vcc_lo, 0xffffff, v[86:87]
	v_add_nc_u32_e32 v18, 7, v21
	v_cndmask_b32_e32 v20, v24, v18, vcc_lo
	v_cndmask_b32_e64 v18, 0, 1, vcc_lo
	s_delay_alu instid0(VALU_DEP_1)
	v_lshrrev_b64 v[18:19], v18, v[86:87]
; %bb.5481:                             ;   in Loop: Header=BB6_3974 Depth=2
	s_and_not1_saveexec_b32 s7, s7
; %bb.5482:                             ;   in Loop: Header=BB6_3974 Depth=2
	v_mov_b64_e32 v[18:19], v[86:87]
	v_bfe_u32 v20, v86, 23, 1
; %bb.5483:                             ;   in Loop: Header=BB6_3974 Depth=2
	s_or_b32 exec_lo, exec_lo, s7
	s_delay_alu instid0(VALU_DEP_2) | instskip(NEXT) | instid1(VALU_DEP_2)
	v_lshrrev_b64 v[18:19], 20, v[18:19]
	v_cmp_gt_i32_e32 vcc_lo, 16, v20
	v_min_i32_e32 v21, 15, v20
	v_cmp_eq_u32_e64 s7, 0, v20
	s_delay_alu instid0(VALU_DEP_2) | instskip(SKIP_1) | instid1(VALU_DEP_2)
	v_dual_cndmask_b32 v19, 0, v19, vcc_lo :: v_dual_lshlrev_b32 v21, 3, v21
	v_cndmask_b32_e32 v18, 7, v18, vcc_lo
	v_and_b32_e32 v21, 0xf8, v21
	s_delay_alu instid0(VALU_DEP_2) | instskip(NEXT) | instid1(VALU_DEP_2)
	v_cmp_eq_u64_e32 vcc_lo, 0, v[18:19]
	v_and_or_b32 v18, v18, 7, v21
	s_and_b32 s7, s7, vcc_lo
	s_delay_alu instid0(VALU_DEP_1) | instid1(SALU_CYCLE_1)
	v_cndmask_b32_e64 v18, v18, 0, s7
	s_delay_alu instid0(VALU_DEP_1)
	v_or_b32_e32 v24, v18, v25
.LBB6_5484:                             ;   in Loop: Header=BB6_3974 Depth=2
	s_or_b32 exec_lo, exec_lo, s28
                                        ; implicit-def: $vgpr25
.LBB6_5485:                             ;   in Loop: Header=BB6_3974 Depth=2
	s_and_not1_saveexec_b32 s7, s27
; %bb.5486:                             ;   in Loop: Header=BB6_3974 Depth=2
	v_or_b32_e32 v24, 0x7e, v25
; %bb.5487:                             ;   in Loop: Header=BB6_3974 Depth=2
	s_or_b32 exec_lo, exec_lo, s7
                                        ; implicit-def: $vgpr19
.LBB6_5488:                             ;   in Loop: Header=BB6_3974 Depth=2
	s_and_not1_saveexec_b32 s7, s26
; %bb.5489:                             ;   in Loop: Header=BB6_3974 Depth=2
	v_or_b32_e32 v24, 0x7f, v19
; %bb.5490:                             ;   in Loop: Header=BB6_3974 Depth=2
	s_or_b32 exec_lo, exec_lo, s7
	v_lshrrev_b16 v20, 8, v14
	v_dual_mov_b32 v18, 0 :: v_dual_mov_b32 v19, 0
	s_mov_b32 s7, exec_lo
	s_delay_alu instid0(VALU_DEP_2)
	v_cmpx_ne_u16_e32 0, v20
	s_cbranch_execz .LBB6_5498
; %bb.5491:                             ;   in Loop: Header=BB6_3974 Depth=2
	v_bfrev_b32_e32 v19, 1
	s_mov_b32 s26, exec_lo
	v_cmpx_ne_u16_e32 0x80, v20
	s_cbranch_execz .LBB6_5497
; %bb.5492:                             ;   in Loop: Header=BB6_3974 Depth=2
	v_and_b32_e32 v21, 0xffff, v20
	v_mov_b32_e32 v19, 0x7f800001
	s_mov_b32 s27, exec_lo
	s_delay_alu instid0(VALU_DEP_2) | instskip(NEXT) | instid1(VALU_DEP_1)
	v_and_b32_e32 v20, 0x7f, v21
	v_cmpx_ne_u32_e32 0x7f, v20
	s_cbranch_execz .LBB6_5496
; %bb.5493:                             ;   in Loop: Header=BB6_3974 Depth=2
	v_dual_lshrrev_b32 v19, 3, v20 :: v_dual_bitop2_b32 v86, 7, v21 bitop3:0x40
	s_mov_b32 s28, exec_lo
	v_cmpx_gt_u32_e32 8, v20
; %bb.5494:                             ;   in Loop: Header=BB6_3974 Depth=2
	s_delay_alu instid0(VALU_DEP_2) | instskip(NEXT) | instid1(VALU_DEP_1)
	v_clz_i32_u32_e32 v19, v86
	v_min_u32_e32 v19, 32, v19
	s_delay_alu instid0(VALU_DEP_1) | instskip(NEXT) | instid1(VALU_DEP_1)
	v_subrev_nc_u32_e32 v20, 28, v19
	v_lshlrev_b64_e32 v[20:21], v20, v[86:87]
	s_delay_alu instid0(VALU_DEP_1)
	v_dual_sub_nc_u32 v19, 29, v19 :: v_dual_bitop2_b32 v86, 7, v20 bitop3:0x40
; %bb.5495:                             ;   in Loop: Header=BB6_3974 Depth=2
	s_or_b32 exec_lo, exec_lo, s28
	v_lshlrev_b32_e32 v20, 16, v14
	s_delay_alu instid0(VALU_DEP_2) | instskip(NEXT) | instid1(VALU_DEP_3)
	v_lshlrev_b32_e32 v21, 20, v86
	v_lshl_add_u32 v19, v19, 23, 0x3c000000
	s_delay_alu instid0(VALU_DEP_3) | instskip(NEXT) | instid1(VALU_DEP_1)
	v_and_b32_e32 v20, 0x80000000, v20
	v_or3_b32 v19, v21, v20, v19
.LBB6_5496:                             ;   in Loop: Header=BB6_3974 Depth=2
	s_or_b32 exec_lo, exec_lo, s27
.LBB6_5497:                             ;   in Loop: Header=BB6_3974 Depth=2
	s_delay_alu instid0(SALU_CYCLE_1)
	s_or_b32 exec_lo, exec_lo, s26
.LBB6_5498:                             ;   in Loop: Header=BB6_3974 Depth=2
	s_delay_alu instid0(SALU_CYCLE_1) | instskip(SKIP_2) | instid1(VALU_DEP_1)
	s_or_b32 exec_lo, exec_lo, s7
	v_lshrrev_b16 v20, 8, v10
	s_mov_b32 s7, exec_lo
	v_cmpx_ne_u16_e32 0, v20
	s_cbranch_execz .LBB6_5506
; %bb.5499:                             ;   in Loop: Header=BB6_3974 Depth=2
	v_bfrev_b32_e32 v18, 1
	s_mov_b32 s26, exec_lo
	v_cmpx_ne_u16_e32 0x80, v20
	s_cbranch_execz .LBB6_5505
; %bb.5500:                             ;   in Loop: Header=BB6_3974 Depth=2
	v_and_b32_e32 v21, 0xffff, v20
	v_mov_b32_e32 v18, 0x7f800001
	s_mov_b32 s27, exec_lo
	s_delay_alu instid0(VALU_DEP_2) | instskip(NEXT) | instid1(VALU_DEP_1)
	v_and_b32_e32 v20, 0x7f, v21
	v_cmpx_ne_u32_e32 0x7f, v20
	s_cbranch_execz .LBB6_5504
; %bb.5501:                             ;   in Loop: Header=BB6_3974 Depth=2
	v_dual_lshrrev_b32 v18, 3, v20 :: v_dual_bitop2_b32 v86, 7, v21 bitop3:0x40
	s_mov_b32 s28, exec_lo
	v_cmpx_gt_u32_e32 8, v20
; %bb.5502:                             ;   in Loop: Header=BB6_3974 Depth=2
	s_delay_alu instid0(VALU_DEP_2) | instskip(NEXT) | instid1(VALU_DEP_1)
	v_clz_i32_u32_e32 v18, v86
	v_min_u32_e32 v18, 32, v18
	s_delay_alu instid0(VALU_DEP_1) | instskip(NEXT) | instid1(VALU_DEP_1)
	v_subrev_nc_u32_e32 v20, 28, v18
	v_lshlrev_b64_e32 v[20:21], v20, v[86:87]
	s_delay_alu instid0(VALU_DEP_1)
	v_dual_sub_nc_u32 v18, 29, v18 :: v_dual_bitop2_b32 v86, 7, v20 bitop3:0x40
; %bb.5503:                             ;   in Loop: Header=BB6_3974 Depth=2
	s_or_b32 exec_lo, exec_lo, s28
	v_lshlrev_b32_e32 v20, 16, v10
	s_delay_alu instid0(VALU_DEP_2) | instskip(NEXT) | instid1(VALU_DEP_3)
	v_lshlrev_b32_e32 v21, 20, v86
	v_lshl_add_u32 v18, v18, 23, 0x3c000000
	s_delay_alu instid0(VALU_DEP_3) | instskip(NEXT) | instid1(VALU_DEP_1)
	v_and_b32_e32 v20, 0x80000000, v20
	v_or3_b32 v18, v21, v20, v18
.LBB6_5504:                             ;   in Loop: Header=BB6_3974 Depth=2
	s_or_b32 exec_lo, exec_lo, s27
.LBB6_5505:                             ;   in Loop: Header=BB6_3974 Depth=2
	s_delay_alu instid0(SALU_CYCLE_1)
	s_or_b32 exec_lo, exec_lo, s26
.LBB6_5506:                             ;   in Loop: Header=BB6_3974 Depth=2
	s_delay_alu instid0(SALU_CYCLE_1) | instskip(NEXT) | instid1(VALU_DEP_1)
	s_or_b32 exec_lo, exec_lo, s7
	v_mul_f32_e32 v18, v19, v18
                                        ; implicit-def: $vgpr25
	s_mov_b32 s7, exec_lo
	s_delay_alu instid0(VALU_DEP_1) | instskip(SKIP_1) | instid1(VALU_DEP_2)
	v_and_b32_e32 v86, 0x7f800000, v18
	v_lshrrev_b32_e32 v19, 24, v18
	v_cmpx_ne_u64_e32 0x7f800000, v[86:87]
	s_xor_b32 s26, exec_lo, s7
	s_cbranch_execz .LBB6_5520
; %bb.5507:                             ;   in Loop: Header=BB6_3974 Depth=2
	v_and_b32_e32 v86, 0x7fffffff, v18
	v_and_b32_e32 v31, 0x80, v19
                                        ; implicit-def: $vgpr25
	s_mov_b32 s7, exec_lo
	s_delay_alu instid0(VALU_DEP_2)
	v_cmpx_gt_u64_e32 0x43e00001, v[86:87]
	s_xor_b32 s27, exec_lo, s7
	s_cbranch_execz .LBB6_5517
; %bb.5508:                             ;   in Loop: Header=BB6_3974 Depth=2
	v_mov_b32_e32 v25, 0
	s_mov_b32 s28, exec_lo
	v_cmpx_ne_u32_e32 0, v18
	s_cbranch_execz .LBB6_5516
; %bb.5509:                             ;   in Loop: Header=BB6_3974 Depth=2
	v_bfe_u32 v25, v18, 23, 8
	v_and_b32_e32 v19, 0x7fffff, v18
	s_delay_alu instid0(VALU_DEP_2) | instskip(SKIP_2) | instid1(VALU_DEP_4)
	v_cmp_gt_u32_e64 s7, 0x7a, v25
	v_sub_nc_u32_e32 v18, 0x79, v25
	v_cmp_eq_u32_e32 vcc_lo, 0, v25
	v_or_b32_e32 v20, 0x800000, v19
	s_delay_alu instid0(VALU_DEP_1) | instskip(NEXT) | instid1(VALU_DEP_1)
	v_dual_cndmask_b32 v18, 0, v18, s7 :: v_dual_cndmask_b32 v86, v20, v19, vcc_lo
	v_cndmask_b32_e64 v54, v18, 0x78, vcc_lo
	s_delay_alu instid0(VALU_DEP_1) | instskip(NEXT) | instid1(VALU_DEP_1)
	v_dual_add_nc_u32 v18, 20, v54 :: v_dual_add_nc_u32 v20, 19, v54
	v_lshlrev_b64_e64 v[18:19], v18, -1
	s_delay_alu instid0(VALU_DEP_2) | instskip(NEXT) | instid1(VALU_DEP_2)
	v_lshlrev_b64_e64 v[20:21], v20, 1
	v_bfi_b32 v19, v19, 0, 0
	s_delay_alu instid0(VALU_DEP_3) | instskip(NEXT) | instid1(VALU_DEP_1)
	v_bfi_b32 v18, v18, 0, v86
	v_cmp_eq_u64_e64 s7, v[18:19], v[20:21]
	v_lshrrev_b64 v[18:19], v54, v[86:87]
	s_delay_alu instid0(VALU_DEP_1)
	v_mov_b64_e32 v[20:21], v[18:19]
	s_and_saveexec_b32 s29, s7
; %bb.5510:                             ;   in Loop: Header=BB6_3974 Depth=2
	v_bfe_u32 v86, v18, 20, 1
	s_delay_alu instid0(VALU_DEP_1) | instskip(NEXT) | instid1(VALU_DEP_1)
	v_add_nc_u64_e32 v[20:21], v[18:19], v[86:87]
	v_add_nc_u64_e32 v[20:21], -1, v[20:21]
; %bb.5511:                             ;   in Loop: Header=BB6_3974 Depth=2
	s_or_b32 exec_lo, exec_lo, s29
	v_add_nc_u32_e32 v19, 0xffffff81, v25
	v_lshrrev_b32_e32 v21, 23, v18
	s_mov_b32 s7, exec_lo
	s_delay_alu instid0(VALU_DEP_2) | instskip(NEXT) | instid1(VALU_DEP_1)
	v_cndmask_b32_e64 v19, v19, 0xffffff82, vcc_lo
	v_add3_u32 v21, v54, v19, v21
	v_and_b32_e32 v19, 0xfffff, v20
                                        ; implicit-def: $vgpr20
	s_delay_alu instid0(VALU_DEP_1) | instskip(NEXT) | instid1(VALU_DEP_1)
	v_dual_add_nc_u32 v25, 6, v21 :: v_dual_add_nc_u32 v86, v19, v18
                                        ; implicit-def: $vgpr18_vgpr19
	v_cmpx_ne_u32_e32 0, v25
	s_xor_b32 s7, exec_lo, s7
; %bb.5512:                             ;   in Loop: Header=BB6_3974 Depth=2
	s_delay_alu instid0(VALU_DEP_2) | instskip(SKIP_1) | instid1(VALU_DEP_1)
	v_cmp_lt_u64_e32 vcc_lo, 0xffffff, v[86:87]
	v_add_nc_u32_e32 v18, 7, v21
	v_cndmask_b32_e32 v20, v25, v18, vcc_lo
	v_cndmask_b32_e64 v18, 0, 1, vcc_lo
	s_delay_alu instid0(VALU_DEP_1)
	v_lshrrev_b64 v[18:19], v18, v[86:87]
; %bb.5513:                             ;   in Loop: Header=BB6_3974 Depth=2
	s_and_not1_saveexec_b32 s7, s7
; %bb.5514:                             ;   in Loop: Header=BB6_3974 Depth=2
	v_mov_b64_e32 v[18:19], v[86:87]
	v_bfe_u32 v20, v86, 23, 1
; %bb.5515:                             ;   in Loop: Header=BB6_3974 Depth=2
	s_or_b32 exec_lo, exec_lo, s7
	s_delay_alu instid0(VALU_DEP_2) | instskip(NEXT) | instid1(VALU_DEP_2)
	v_lshrrev_b64 v[18:19], 20, v[18:19]
	v_cmp_gt_i32_e32 vcc_lo, 16, v20
	v_min_i32_e32 v21, 15, v20
	v_cmp_eq_u32_e64 s7, 0, v20
	s_delay_alu instid0(VALU_DEP_2) | instskip(SKIP_1) | instid1(VALU_DEP_2)
	v_dual_cndmask_b32 v19, 0, v19, vcc_lo :: v_dual_lshlrev_b32 v21, 3, v21
	v_cndmask_b32_e32 v18, 7, v18, vcc_lo
	v_and_b32_e32 v21, 0xf8, v21
	s_delay_alu instid0(VALU_DEP_2) | instskip(NEXT) | instid1(VALU_DEP_2)
	v_cmp_eq_u64_e32 vcc_lo, 0, v[18:19]
	v_and_or_b32 v18, v18, 7, v21
	s_and_b32 s7, s7, vcc_lo
	s_delay_alu instid0(VALU_DEP_1) | instid1(SALU_CYCLE_1)
	v_cndmask_b32_e64 v18, v18, 0, s7
	s_delay_alu instid0(VALU_DEP_1)
	v_or_b32_e32 v25, v18, v31
.LBB6_5516:                             ;   in Loop: Header=BB6_3974 Depth=2
	s_or_b32 exec_lo, exec_lo, s28
                                        ; implicit-def: $vgpr31
.LBB6_5517:                             ;   in Loop: Header=BB6_3974 Depth=2
	s_and_not1_saveexec_b32 s7, s27
; %bb.5518:                             ;   in Loop: Header=BB6_3974 Depth=2
	v_or_b32_e32 v25, 0x7e, v31
; %bb.5519:                             ;   in Loop: Header=BB6_3974 Depth=2
	s_or_b32 exec_lo, exec_lo, s7
                                        ; implicit-def: $vgpr19
.LBB6_5520:                             ;   in Loop: Header=BB6_3974 Depth=2
	s_and_not1_saveexec_b32 s7, s26
; %bb.5521:                             ;   in Loop: Header=BB6_3974 Depth=2
	v_or_b32_e32 v25, 0x7f, v19
; %bb.5522:                             ;   in Loop: Header=BB6_3974 Depth=2
	s_or_b32 exec_lo, exec_lo, s7
	v_dual_lshrrev_b32 v20, 16, v14 :: v_dual_mov_b32 v18, 0
	v_mov_b32_e32 v19, 0
	s_mov_b32 s7, exec_lo
	s_delay_alu instid0(VALU_DEP_2) | instskip(NEXT) | instid1(VALU_DEP_1)
	v_and_b32_e32 v21, 0xff, v20
	v_cmpx_ne_u16_e32 0, v21
	s_cbranch_execz .LBB6_5530
; %bb.5523:                             ;   in Loop: Header=BB6_3974 Depth=2
	v_bfrev_b32_e32 v19, 1
	s_mov_b32 s26, exec_lo
	v_cmpx_ne_u16_e32 0x80, v21
	s_cbranch_execz .LBB6_5529
; %bb.5524:                             ;   in Loop: Header=BB6_3974 Depth=2
	v_bfe_u32 v21, v14, 16, 7
	v_mov_b32_e32 v19, 0x7f800001
	s_mov_b32 s27, exec_lo
	s_delay_alu instid0(VALU_DEP_2)
	v_cmpx_ne_u32_e32 0x7f, v21
	s_cbranch_execz .LBB6_5528
; %bb.5525:                             ;   in Loop: Header=BB6_3974 Depth=2
	v_dual_lshrrev_b32 v19, 3, v21 :: v_dual_bitop2_b32 v86, 7, v20 bitop3:0x40
	s_mov_b32 s28, exec_lo
	v_cmpx_gt_u32_e32 8, v21
; %bb.5526:                             ;   in Loop: Header=BB6_3974 Depth=2
	s_delay_alu instid0(VALU_DEP_2) | instskip(NEXT) | instid1(VALU_DEP_1)
	v_clz_i32_u32_e32 v19, v86
	v_min_u32_e32 v19, 32, v19
	s_delay_alu instid0(VALU_DEP_1) | instskip(NEXT) | instid1(VALU_DEP_1)
	v_subrev_nc_u32_e32 v21, 28, v19
	v_lshlrev_b64_e32 v[54:55], v21, v[86:87]
	s_delay_alu instid0(VALU_DEP_1)
	v_dual_sub_nc_u32 v19, 29, v19 :: v_dual_bitop2_b32 v86, 7, v54 bitop3:0x40
; %bb.5527:                             ;   in Loop: Header=BB6_3974 Depth=2
	s_or_b32 exec_lo, exec_lo, s28
	s_delay_alu instid0(VALU_DEP_1) | instskip(NEXT) | instid1(VALU_DEP_2)
	v_dual_lshlrev_b32 v20, 24, v20 :: v_dual_lshlrev_b32 v21, 20, v86
	v_lshl_add_u32 v19, v19, 23, 0x3c000000
	s_delay_alu instid0(VALU_DEP_2) | instskip(NEXT) | instid1(VALU_DEP_1)
	v_and_b32_e32 v20, 0x80000000, v20
	v_or3_b32 v19, v21, v20, v19
.LBB6_5528:                             ;   in Loop: Header=BB6_3974 Depth=2
	s_or_b32 exec_lo, exec_lo, s27
.LBB6_5529:                             ;   in Loop: Header=BB6_3974 Depth=2
	s_delay_alu instid0(SALU_CYCLE_1)
	s_or_b32 exec_lo, exec_lo, s26
.LBB6_5530:                             ;   in Loop: Header=BB6_3974 Depth=2
	s_delay_alu instid0(SALU_CYCLE_1) | instskip(SKIP_2) | instid1(VALU_DEP_1)
	s_or_b32 exec_lo, exec_lo, s7
	v_lshrrev_b32_e32 v20, 16, v10
	s_mov_b32 s7, exec_lo
	v_and_b32_e32 v21, 0xff, v20
	s_delay_alu instid0(VALU_DEP_1)
	v_cmpx_ne_u16_e32 0, v21
	s_cbranch_execz .LBB6_5538
; %bb.5531:                             ;   in Loop: Header=BB6_3974 Depth=2
	v_bfrev_b32_e32 v18, 1
	s_mov_b32 s26, exec_lo
	v_cmpx_ne_u16_e32 0x80, v21
	s_cbranch_execz .LBB6_5537
; %bb.5532:                             ;   in Loop: Header=BB6_3974 Depth=2
	v_bfe_u32 v21, v10, 16, 7
	v_mov_b32_e32 v18, 0x7f800001
	s_mov_b32 s27, exec_lo
	s_delay_alu instid0(VALU_DEP_2)
	v_cmpx_ne_u32_e32 0x7f, v21
	s_cbranch_execz .LBB6_5536
; %bb.5533:                             ;   in Loop: Header=BB6_3974 Depth=2
	v_dual_lshrrev_b32 v18, 3, v21 :: v_dual_bitop2_b32 v86, 7, v20 bitop3:0x40
	s_mov_b32 s28, exec_lo
	v_cmpx_gt_u32_e32 8, v21
; %bb.5534:                             ;   in Loop: Header=BB6_3974 Depth=2
	s_delay_alu instid0(VALU_DEP_2) | instskip(NEXT) | instid1(VALU_DEP_1)
	v_clz_i32_u32_e32 v18, v86
	v_min_u32_e32 v18, 32, v18
	s_delay_alu instid0(VALU_DEP_1) | instskip(NEXT) | instid1(VALU_DEP_1)
	v_subrev_nc_u32_e32 v20, 28, v18
	v_lshlrev_b64_e32 v[20:21], v20, v[86:87]
	s_delay_alu instid0(VALU_DEP_1)
	v_dual_sub_nc_u32 v18, 29, v18 :: v_dual_bitop2_b32 v86, 7, v20 bitop3:0x40
; %bb.5535:                             ;   in Loop: Header=BB6_3974 Depth=2
	s_or_b32 exec_lo, exec_lo, s28
	v_lshlrev_b32_e32 v20, 8, v10
	s_delay_alu instid0(VALU_DEP_2) | instskip(NEXT) | instid1(VALU_DEP_3)
	v_lshlrev_b32_e32 v21, 20, v86
	v_lshl_add_u32 v18, v18, 23, 0x3c000000
	s_delay_alu instid0(VALU_DEP_3) | instskip(NEXT) | instid1(VALU_DEP_1)
	v_and_b32_e32 v20, 0x80000000, v20
	v_or3_b32 v18, v21, v20, v18
.LBB6_5536:                             ;   in Loop: Header=BB6_3974 Depth=2
	s_or_b32 exec_lo, exec_lo, s27
.LBB6_5537:                             ;   in Loop: Header=BB6_3974 Depth=2
	s_delay_alu instid0(SALU_CYCLE_1)
	s_or_b32 exec_lo, exec_lo, s26
.LBB6_5538:                             ;   in Loop: Header=BB6_3974 Depth=2
	s_delay_alu instid0(SALU_CYCLE_1) | instskip(NEXT) | instid1(VALU_DEP_1)
	s_or_b32 exec_lo, exec_lo, s7
	v_mul_f32_e32 v18, v19, v18
                                        ; implicit-def: $vgpr123
	s_mov_b32 s7, exec_lo
	s_delay_alu instid0(VALU_DEP_1) | instskip(SKIP_1) | instid1(VALU_DEP_2)
	v_and_b32_e32 v86, 0x7f800000, v18
	v_lshrrev_b32_e32 v19, 24, v18
	v_cmpx_ne_u64_e32 0x7f800000, v[86:87]
	s_xor_b32 s26, exec_lo, s7
	s_cbranch_execz .LBB6_5552
; %bb.5539:                             ;   in Loop: Header=BB6_3974 Depth=2
	v_and_b32_e32 v86, 0x7fffffff, v18
	v_and_b32_e32 v31, 0x80, v19
                                        ; implicit-def: $vgpr123
	s_mov_b32 s7, exec_lo
	s_delay_alu instid0(VALU_DEP_2)
	v_cmpx_gt_u64_e32 0x43e00001, v[86:87]
	s_xor_b32 s27, exec_lo, s7
	s_cbranch_execz .LBB6_5549
; %bb.5540:                             ;   in Loop: Header=BB6_3974 Depth=2
	v_mov_b32_e32 v123, 0
	s_mov_b32 s28, exec_lo
	v_cmpx_ne_u32_e32 0, v18
	s_cbranch_execz .LBB6_5548
; %bb.5541:                             ;   in Loop: Header=BB6_3974 Depth=2
	v_bfe_u32 v54, v18, 23, 8
	v_and_b32_e32 v19, 0x7fffff, v18
	s_delay_alu instid0(VALU_DEP_2) | instskip(SKIP_2) | instid1(VALU_DEP_4)
	v_cmp_gt_u32_e64 s7, 0x7a, v54
	v_sub_nc_u32_e32 v18, 0x79, v54
	v_cmp_eq_u32_e32 vcc_lo, 0, v54
	v_or_b32_e32 v20, 0x800000, v19
	s_delay_alu instid0(VALU_DEP_1) | instskip(NEXT) | instid1(VALU_DEP_1)
	v_dual_cndmask_b32 v18, 0, v18, s7 :: v_dual_cndmask_b32 v86, v20, v19, vcc_lo
	v_cndmask_b32_e64 v55, v18, 0x78, vcc_lo
	s_delay_alu instid0(VALU_DEP_1) | instskip(NEXT) | instid1(VALU_DEP_1)
	v_dual_add_nc_u32 v18, 20, v55 :: v_dual_add_nc_u32 v20, 19, v55
	v_lshlrev_b64_e64 v[18:19], v18, -1
	s_delay_alu instid0(VALU_DEP_2) | instskip(NEXT) | instid1(VALU_DEP_2)
	v_lshlrev_b64_e64 v[20:21], v20, 1
	v_bfi_b32 v19, v19, 0, 0
	s_delay_alu instid0(VALU_DEP_3) | instskip(NEXT) | instid1(VALU_DEP_1)
	v_bfi_b32 v18, v18, 0, v86
	v_cmp_eq_u64_e64 s7, v[18:19], v[20:21]
	v_lshrrev_b64 v[18:19], v55, v[86:87]
	s_delay_alu instid0(VALU_DEP_1)
	v_mov_b64_e32 v[20:21], v[18:19]
	s_and_saveexec_b32 s29, s7
; %bb.5542:                             ;   in Loop: Header=BB6_3974 Depth=2
	v_bfe_u32 v86, v18, 20, 1
	s_delay_alu instid0(VALU_DEP_1) | instskip(NEXT) | instid1(VALU_DEP_1)
	v_add_nc_u64_e32 v[20:21], v[18:19], v[86:87]
	v_add_nc_u64_e32 v[20:21], -1, v[20:21]
; %bb.5543:                             ;   in Loop: Header=BB6_3974 Depth=2
	s_or_b32 exec_lo, exec_lo, s29
	v_add_nc_u32_e32 v19, 0xffffff81, v54
	v_lshrrev_b32_e32 v21, 23, v18
	s_mov_b32 s7, exec_lo
	s_delay_alu instid0(VALU_DEP_2) | instskip(NEXT) | instid1(VALU_DEP_1)
	v_cndmask_b32_e64 v19, v19, 0xffffff82, vcc_lo
	v_add3_u32 v21, v55, v19, v21
	v_and_b32_e32 v19, 0xfffff, v20
                                        ; implicit-def: $vgpr20
	s_delay_alu instid0(VALU_DEP_1) | instskip(NEXT) | instid1(VALU_DEP_1)
	v_dual_add_nc_u32 v54, 6, v21 :: v_dual_add_nc_u32 v86, v19, v18
                                        ; implicit-def: $vgpr18_vgpr19
	v_cmpx_ne_u32_e32 0, v54
	s_xor_b32 s7, exec_lo, s7
; %bb.5544:                             ;   in Loop: Header=BB6_3974 Depth=2
	s_delay_alu instid0(VALU_DEP_2) | instskip(SKIP_1) | instid1(VALU_DEP_1)
	v_cmp_lt_u64_e32 vcc_lo, 0xffffff, v[86:87]
	v_add_nc_u32_e32 v18, 7, v21
	v_cndmask_b32_e32 v20, v54, v18, vcc_lo
	v_cndmask_b32_e64 v18, 0, 1, vcc_lo
	s_delay_alu instid0(VALU_DEP_1)
	v_lshrrev_b64 v[18:19], v18, v[86:87]
; %bb.5545:                             ;   in Loop: Header=BB6_3974 Depth=2
	s_and_not1_saveexec_b32 s7, s7
; %bb.5546:                             ;   in Loop: Header=BB6_3974 Depth=2
	v_mov_b64_e32 v[18:19], v[86:87]
	v_bfe_u32 v20, v86, 23, 1
; %bb.5547:                             ;   in Loop: Header=BB6_3974 Depth=2
	s_or_b32 exec_lo, exec_lo, s7
	s_delay_alu instid0(VALU_DEP_2) | instskip(NEXT) | instid1(VALU_DEP_2)
	v_lshrrev_b64 v[18:19], 20, v[18:19]
	v_cmp_gt_i32_e32 vcc_lo, 16, v20
	v_min_i32_e32 v21, 15, v20
	v_cmp_eq_u32_e64 s7, 0, v20
	s_delay_alu instid0(VALU_DEP_2) | instskip(SKIP_1) | instid1(VALU_DEP_2)
	v_dual_cndmask_b32 v19, 0, v19, vcc_lo :: v_dual_lshlrev_b32 v21, 3, v21
	v_cndmask_b32_e32 v18, 7, v18, vcc_lo
	v_and_b32_e32 v21, 0xf8, v21
	s_delay_alu instid0(VALU_DEP_2) | instskip(NEXT) | instid1(VALU_DEP_2)
	v_cmp_eq_u64_e32 vcc_lo, 0, v[18:19]
	v_and_or_b32 v18, v18, 7, v21
	s_and_b32 s7, s7, vcc_lo
	s_delay_alu instid0(VALU_DEP_1) | instid1(SALU_CYCLE_1)
	v_cndmask_b32_e64 v18, v18, 0, s7
	s_delay_alu instid0(VALU_DEP_1)
	v_or_b32_e32 v123, v18, v31
.LBB6_5548:                             ;   in Loop: Header=BB6_3974 Depth=2
	s_or_b32 exec_lo, exec_lo, s28
                                        ; implicit-def: $vgpr31
.LBB6_5549:                             ;   in Loop: Header=BB6_3974 Depth=2
	s_and_not1_saveexec_b32 s7, s27
; %bb.5550:                             ;   in Loop: Header=BB6_3974 Depth=2
	v_or_b32_e32 v123, 0x7e, v31
; %bb.5551:                             ;   in Loop: Header=BB6_3974 Depth=2
	s_or_b32 exec_lo, exec_lo, s7
                                        ; implicit-def: $vgpr19
.LBB6_5552:                             ;   in Loop: Header=BB6_3974 Depth=2
	s_and_not1_saveexec_b32 s7, s26
; %bb.5553:                             ;   in Loop: Header=BB6_3974 Depth=2
	v_or_b32_e32 v123, 0x7f, v19
; %bb.5554:                             ;   in Loop: Header=BB6_3974 Depth=2
	s_or_b32 exec_lo, exec_lo, s7
	v_dual_mov_b32 v18, 0 :: v_dual_mov_b32 v19, 0
	s_mov_b32 s7, exec_lo
	v_cmpx_lt_u32_e32 0xffffff, v14
	s_cbranch_execz .LBB6_5562
; %bb.5555:                             ;   in Loop: Header=BB6_3974 Depth=2
	v_lshrrev_b32_e32 v20, 24, v14
	v_bfrev_b32_e32 v19, 1
	s_mov_b32 s26, exec_lo
	s_delay_alu instid0(VALU_DEP_2)
	v_cmpx_ne_u32_e32 0x80, v20
	s_cbranch_execz .LBB6_5561
; %bb.5556:                             ;   in Loop: Header=BB6_3974 Depth=2
	v_bfe_u32 v21, v14, 24, 7
	v_mov_b32_e32 v19, 0x7f800001
	s_mov_b32 s27, exec_lo
	s_delay_alu instid0(VALU_DEP_2)
	v_cmpx_ne_u32_e32 0x7f, v21
	s_cbranch_execz .LBB6_5560
; %bb.5557:                             ;   in Loop: Header=BB6_3974 Depth=2
	v_dual_lshrrev_b32 v19, 3, v21 :: v_dual_bitop2_b32 v86, 7, v20 bitop3:0x40
	s_mov_b32 s28, exec_lo
	v_cmpx_gt_u32_e32 8, v21
; %bb.5558:                             ;   in Loop: Header=BB6_3974 Depth=2
	s_delay_alu instid0(VALU_DEP_2) | instskip(NEXT) | instid1(VALU_DEP_1)
	v_clz_i32_u32_e32 v19, v86
	v_min_u32_e32 v19, 32, v19
	s_delay_alu instid0(VALU_DEP_1) | instskip(NEXT) | instid1(VALU_DEP_1)
	v_subrev_nc_u32_e32 v21, 28, v19
	v_lshlrev_b64_e32 v[54:55], v21, v[86:87]
	s_delay_alu instid0(VALU_DEP_1)
	v_dual_sub_nc_u32 v19, 29, v19 :: v_dual_bitop2_b32 v86, 7, v54 bitop3:0x40
; %bb.5559:                             ;   in Loop: Header=BB6_3974 Depth=2
	s_or_b32 exec_lo, exec_lo, s28
	s_delay_alu instid0(VALU_DEP_1) | instskip(NEXT) | instid1(VALU_DEP_2)
	v_dual_lshlrev_b32 v20, 24, v20 :: v_dual_lshlrev_b32 v21, 20, v86
	v_lshl_add_u32 v19, v19, 23, 0x3c000000
	s_delay_alu instid0(VALU_DEP_2) | instskip(NEXT) | instid1(VALU_DEP_1)
	v_and_b32_e32 v20, 0x80000000, v20
	v_or3_b32 v19, v21, v20, v19
.LBB6_5560:                             ;   in Loop: Header=BB6_3974 Depth=2
	s_or_b32 exec_lo, exec_lo, s27
.LBB6_5561:                             ;   in Loop: Header=BB6_3974 Depth=2
	s_delay_alu instid0(SALU_CYCLE_1)
	s_or_b32 exec_lo, exec_lo, s26
.LBB6_5562:                             ;   in Loop: Header=BB6_3974 Depth=2
	s_delay_alu instid0(SALU_CYCLE_1) | instskip(NEXT) | instid1(SALU_CYCLE_1)
	s_or_b32 exec_lo, exec_lo, s7
	s_mov_b32 s7, exec_lo
	v_cmpx_lt_u32_e32 0xffffff, v10
	s_cbranch_execz .LBB6_5570
; %bb.5563:                             ;   in Loop: Header=BB6_3974 Depth=2
	v_lshrrev_b32_e32 v20, 24, v10
	v_bfrev_b32_e32 v18, 1
	s_mov_b32 s26, exec_lo
	s_delay_alu instid0(VALU_DEP_2)
	v_cmpx_ne_u32_e32 0x80, v20
	s_cbranch_execz .LBB6_5569
; %bb.5564:                             ;   in Loop: Header=BB6_3974 Depth=2
	v_bfe_u32 v21, v10, 24, 7
	v_mov_b32_e32 v18, 0x7f800001
	s_mov_b32 s27, exec_lo
	s_delay_alu instid0(VALU_DEP_2)
	v_cmpx_ne_u32_e32 0x7f, v21
	s_cbranch_execz .LBB6_5568
; %bb.5565:                             ;   in Loop: Header=BB6_3974 Depth=2
	v_dual_lshrrev_b32 v18, 3, v21 :: v_dual_bitop2_b32 v86, 7, v20 bitop3:0x40
	s_mov_b32 s28, exec_lo
	v_cmpx_gt_u32_e32 8, v21
; %bb.5566:                             ;   in Loop: Header=BB6_3974 Depth=2
	s_delay_alu instid0(VALU_DEP_2) | instskip(NEXT) | instid1(VALU_DEP_1)
	v_clz_i32_u32_e32 v18, v86
	v_min_u32_e32 v18, 32, v18
	s_delay_alu instid0(VALU_DEP_1) | instskip(SKIP_1) | instid1(VALU_DEP_2)
	v_subrev_nc_u32_e32 v21, 28, v18
	v_sub_nc_u32_e32 v18, 29, v18
	v_lshlrev_b64_e32 v[54:55], v21, v[86:87]
	s_delay_alu instid0(VALU_DEP_1)
	v_and_b32_e32 v86, 7, v54
; %bb.5567:                             ;   in Loop: Header=BB6_3974 Depth=2
	s_or_b32 exec_lo, exec_lo, s28
	s_delay_alu instid0(VALU_DEP_1) | instskip(SKIP_1) | instid1(VALU_DEP_2)
	v_dual_lshlrev_b32 v20, 24, v20 :: v_dual_lshlrev_b32 v21, 20, v86
	v_lshl_add_u32 v18, v18, 23, 0x3c000000
	v_and_b32_e32 v20, 0x80000000, v20
	s_delay_alu instid0(VALU_DEP_1)
	v_or3_b32 v18, v21, v20, v18
.LBB6_5568:                             ;   in Loop: Header=BB6_3974 Depth=2
	s_or_b32 exec_lo, exec_lo, s27
.LBB6_5569:                             ;   in Loop: Header=BB6_3974 Depth=2
	s_delay_alu instid0(SALU_CYCLE_1)
	s_or_b32 exec_lo, exec_lo, s26
.LBB6_5570:                             ;   in Loop: Header=BB6_3974 Depth=2
	s_delay_alu instid0(SALU_CYCLE_1) | instskip(NEXT) | instid1(VALU_DEP_1)
	s_or_b32 exec_lo, exec_lo, s7
	v_mul_f32_e32 v18, v19, v18
                                        ; implicit-def: $vgpr124
	s_mov_b32 s7, exec_lo
	s_delay_alu instid0(VALU_DEP_1) | instskip(SKIP_1) | instid1(VALU_DEP_2)
	v_and_b32_e32 v86, 0x7f800000, v18
	v_lshrrev_b32_e32 v19, 24, v18
	v_cmpx_ne_u64_e32 0x7f800000, v[86:87]
	s_xor_b32 s26, exec_lo, s7
	s_cbranch_execz .LBB6_5584
; %bb.5571:                             ;   in Loop: Header=BB6_3974 Depth=2
	v_and_b32_e32 v86, 0x7fffffff, v18
	v_and_b32_e32 v31, 0x80, v19
                                        ; implicit-def: $vgpr124
	s_mov_b32 s7, exec_lo
	s_delay_alu instid0(VALU_DEP_2)
	v_cmpx_gt_u64_e32 0x43e00001, v[86:87]
	s_xor_b32 s27, exec_lo, s7
	s_cbranch_execz .LBB6_5581
; %bb.5572:                             ;   in Loop: Header=BB6_3974 Depth=2
	v_mov_b32_e32 v124, 0
	s_mov_b32 s28, exec_lo
	v_cmpx_ne_u32_e32 0, v18
	s_cbranch_execz .LBB6_5580
; %bb.5573:                             ;   in Loop: Header=BB6_3974 Depth=2
	v_bfe_u32 v54, v18, 23, 8
	v_and_b32_e32 v19, 0x7fffff, v18
	s_delay_alu instid0(VALU_DEP_2) | instskip(SKIP_2) | instid1(VALU_DEP_4)
	v_cmp_gt_u32_e64 s7, 0x7a, v54
	v_sub_nc_u32_e32 v18, 0x79, v54
	v_cmp_eq_u32_e32 vcc_lo, 0, v54
	v_or_b32_e32 v20, 0x800000, v19
	s_delay_alu instid0(VALU_DEP_1) | instskip(NEXT) | instid1(VALU_DEP_1)
	v_dual_cndmask_b32 v18, 0, v18, s7 :: v_dual_cndmask_b32 v86, v20, v19, vcc_lo
	v_cndmask_b32_e64 v55, v18, 0x78, vcc_lo
	s_delay_alu instid0(VALU_DEP_1) | instskip(NEXT) | instid1(VALU_DEP_1)
	v_dual_add_nc_u32 v18, 20, v55 :: v_dual_add_nc_u32 v20, 19, v55
	v_lshlrev_b64_e64 v[18:19], v18, -1
	s_delay_alu instid0(VALU_DEP_2) | instskip(NEXT) | instid1(VALU_DEP_2)
	v_lshlrev_b64_e64 v[20:21], v20, 1
	v_bfi_b32 v19, v19, 0, 0
	s_delay_alu instid0(VALU_DEP_3) | instskip(NEXT) | instid1(VALU_DEP_1)
	v_bfi_b32 v18, v18, 0, v86
	v_cmp_eq_u64_e64 s7, v[18:19], v[20:21]
	v_lshrrev_b64 v[18:19], v55, v[86:87]
	s_delay_alu instid0(VALU_DEP_1)
	v_mov_b64_e32 v[20:21], v[18:19]
	s_and_saveexec_b32 s29, s7
; %bb.5574:                             ;   in Loop: Header=BB6_3974 Depth=2
	v_bfe_u32 v86, v18, 20, 1
	s_delay_alu instid0(VALU_DEP_1) | instskip(NEXT) | instid1(VALU_DEP_1)
	v_add_nc_u64_e32 v[20:21], v[18:19], v[86:87]
	v_add_nc_u64_e32 v[20:21], -1, v[20:21]
; %bb.5575:                             ;   in Loop: Header=BB6_3974 Depth=2
	s_or_b32 exec_lo, exec_lo, s29
	v_add_nc_u32_e32 v19, 0xffffff81, v54
	v_lshrrev_b32_e32 v21, 23, v18
	s_mov_b32 s7, exec_lo
	s_delay_alu instid0(VALU_DEP_2) | instskip(NEXT) | instid1(VALU_DEP_1)
	v_cndmask_b32_e64 v19, v19, 0xffffff82, vcc_lo
	v_add3_u32 v21, v55, v19, v21
	v_and_b32_e32 v19, 0xfffff, v20
                                        ; implicit-def: $vgpr20
	s_delay_alu instid0(VALU_DEP_1) | instskip(NEXT) | instid1(VALU_DEP_1)
	v_dual_add_nc_u32 v54, 6, v21 :: v_dual_add_nc_u32 v86, v19, v18
                                        ; implicit-def: $vgpr18_vgpr19
	v_cmpx_ne_u32_e32 0, v54
	s_xor_b32 s7, exec_lo, s7
; %bb.5576:                             ;   in Loop: Header=BB6_3974 Depth=2
	s_delay_alu instid0(VALU_DEP_2) | instskip(SKIP_1) | instid1(VALU_DEP_1)
	v_cmp_lt_u64_e32 vcc_lo, 0xffffff, v[86:87]
	v_add_nc_u32_e32 v18, 7, v21
	v_cndmask_b32_e32 v20, v54, v18, vcc_lo
	v_cndmask_b32_e64 v18, 0, 1, vcc_lo
	s_delay_alu instid0(VALU_DEP_1)
	v_lshrrev_b64 v[18:19], v18, v[86:87]
; %bb.5577:                             ;   in Loop: Header=BB6_3974 Depth=2
	s_and_not1_saveexec_b32 s7, s7
; %bb.5578:                             ;   in Loop: Header=BB6_3974 Depth=2
	v_mov_b64_e32 v[18:19], v[86:87]
	v_bfe_u32 v20, v86, 23, 1
; %bb.5579:                             ;   in Loop: Header=BB6_3974 Depth=2
	s_or_b32 exec_lo, exec_lo, s7
	s_delay_alu instid0(VALU_DEP_2) | instskip(NEXT) | instid1(VALU_DEP_2)
	v_lshrrev_b64 v[18:19], 20, v[18:19]
	v_cmp_gt_i32_e32 vcc_lo, 16, v20
	v_min_i32_e32 v21, 15, v20
	v_cmp_eq_u32_e64 s7, 0, v20
	s_delay_alu instid0(VALU_DEP_2) | instskip(SKIP_1) | instid1(VALU_DEP_2)
	v_dual_cndmask_b32 v19, 0, v19, vcc_lo :: v_dual_lshlrev_b32 v21, 3, v21
	v_cndmask_b32_e32 v18, 7, v18, vcc_lo
	v_and_b32_e32 v21, 0xf8, v21
	s_delay_alu instid0(VALU_DEP_2) | instskip(NEXT) | instid1(VALU_DEP_2)
	v_cmp_eq_u64_e32 vcc_lo, 0, v[18:19]
	v_and_or_b32 v18, v18, 7, v21
	s_and_b32 s7, s7, vcc_lo
	s_delay_alu instid0(VALU_DEP_1) | instid1(SALU_CYCLE_1)
	v_cndmask_b32_e64 v18, v18, 0, s7
	s_delay_alu instid0(VALU_DEP_1)
	v_or_b32_e32 v124, v18, v31
.LBB6_5580:                             ;   in Loop: Header=BB6_3974 Depth=2
	s_or_b32 exec_lo, exec_lo, s28
                                        ; implicit-def: $vgpr31
.LBB6_5581:                             ;   in Loop: Header=BB6_3974 Depth=2
	s_and_not1_saveexec_b32 s7, s27
; %bb.5582:                             ;   in Loop: Header=BB6_3974 Depth=2
	v_or_b32_e32 v124, 0x7e, v31
; %bb.5583:                             ;   in Loop: Header=BB6_3974 Depth=2
	s_or_b32 exec_lo, exec_lo, s7
                                        ; implicit-def: $vgpr19
.LBB6_5584:                             ;   in Loop: Header=BB6_3974 Depth=2
	s_and_not1_saveexec_b32 s7, s26
; %bb.5585:                             ;   in Loop: Header=BB6_3974 Depth=2
	v_or_b32_e32 v124, 0x7f, v19
; %bb.5586:                             ;   in Loop: Header=BB6_3974 Depth=2
	s_or_b32 exec_lo, exec_lo, s7
	v_and_b32_e32 v20, 0xff, v15
	v_dual_mov_b32 v86, v15 :: v_dual_mov_b32 v18, 0
	v_mov_b32_e32 v19, 0
	s_mov_b32 s7, exec_lo
	s_delay_alu instid0(VALU_DEP_3)
	v_cmpx_ne_u16_e32 0, v20
	s_cbranch_execz .LBB6_5592
; %bb.5587:                             ;   in Loop: Header=BB6_3974 Depth=2
	v_bfrev_b32_e32 v19, 1
	s_mov_b32 s26, exec_lo
	v_cmpx_ne_u16_e32 0x80, v20
	s_cbranch_execz .LBB6_5591
; %bb.5588:                             ;   in Loop: Header=BB6_3974 Depth=2
	v_and_b32_e32 v20, 0x7f, v15
	v_mov_b32_e32 v19, 0x7f800001
	s_mov_b32 s27, exec_lo
	s_delay_alu instid0(VALU_DEP_2)
	v_cmpx_ne_u32_e32 0x7f, v20
	s_cbranch_execz .LBB6_5590
; %bb.5589:                             ;   in Loop: Header=BB6_3974 Depth=2
	v_dual_lshrrev_b32 v21, 3, v20 :: v_dual_bitop2_b32 v19, 7, v15 bitop3:0x40
	v_cmp_gt_u32_e32 vcc_lo, 8, v20
	s_delay_alu instid0(VALU_DEP_2) | instskip(NEXT) | instid1(VALU_DEP_1)
	v_clz_i32_u32_e32 v19, v19
	v_min_u32_e32 v19, 32, v19
	s_delay_alu instid0(VALU_DEP_1) | instskip(NEXT) | instid1(VALU_DEP_1)
	v_subrev_nc_u32_e32 v20, 28, v19
	v_dual_cndmask_b32 v20, 0, v20 :: v_dual_sub_nc_u32 v19, 29, v19
	s_delay_alu instid0(VALU_DEP_1) | instskip(NEXT) | instid1(VALU_DEP_2)
	v_cndmask_b32_e32 v19, v21, v19, vcc_lo
	v_lshlrev_b64_e32 v[20:21], v20, v[86:87]
	v_lshlrev_b32_e32 v21, 24, v86
	s_delay_alu instid0(VALU_DEP_1) | instskip(NEXT) | instid1(VALU_DEP_3)
	v_and_b32_e32 v21, 0x80000000, v21
	v_lshlrev_b32_e32 v20, 20, v20
	v_lshl_add_u32 v19, v19, 23, 0x3c000000
	s_delay_alu instid0(VALU_DEP_2) | instskip(NEXT) | instid1(VALU_DEP_1)
	v_and_b32_e32 v20, 0x700000, v20
	v_or3_b32 v19, v20, v21, v19
.LBB6_5590:                             ;   in Loop: Header=BB6_3974 Depth=2
	s_or_b32 exec_lo, exec_lo, s27
.LBB6_5591:                             ;   in Loop: Header=BB6_3974 Depth=2
	s_delay_alu instid0(SALU_CYCLE_1)
	s_or_b32 exec_lo, exec_lo, s26
.LBB6_5592:                             ;   in Loop: Header=BB6_3974 Depth=2
	s_delay_alu instid0(SALU_CYCLE_1) | instskip(SKIP_2) | instid1(VALU_DEP_1)
	s_or_b32 exec_lo, exec_lo, s7
	v_and_b32_e32 v20, 0xff, v11
	s_mov_b32 s7, exec_lo
	v_cmpx_ne_u16_e32 0, v20
	s_cbranch_execz .LBB6_5598
; %bb.5593:                             ;   in Loop: Header=BB6_3974 Depth=2
	v_bfrev_b32_e32 v18, 1
	s_mov_b32 s26, exec_lo
	v_cmpx_ne_u16_e32 0x80, v20
	s_cbranch_execz .LBB6_5597
; %bb.5594:                             ;   in Loop: Header=BB6_3974 Depth=2
	v_and_b32_e32 v20, 0x7f, v11
	v_mov_b32_e32 v18, 0x7f800001
	s_mov_b32 s27, exec_lo
	s_delay_alu instid0(VALU_DEP_2)
	v_cmpx_ne_u32_e32 0x7f, v20
	s_cbranch_execz .LBB6_5596
; %bb.5595:                             ;   in Loop: Header=BB6_3974 Depth=2
	v_dual_lshrrev_b32 v31, 3, v20 :: v_dual_bitop2_b32 v18, 7, v11 bitop3:0x40
	v_cmp_gt_u32_e32 vcc_lo, 8, v20
	v_mov_b32_e32 v20, v11
	s_delay_alu instid0(VALU_DEP_3) | instskip(NEXT) | instid1(VALU_DEP_1)
	v_clz_i32_u32_e32 v18, v18
	v_min_u32_e32 v18, 32, v18
	s_delay_alu instid0(VALU_DEP_1) | instskip(SKIP_2) | instid1(VALU_DEP_3)
	v_sub_nc_u32_e32 v54, 29, v18
	v_subrev_nc_u32_e32 v18, 28, v18
	v_mov_b32_e32 v21, v87
	v_cndmask_b32_e32 v31, v31, v54, vcc_lo
	s_delay_alu instid0(VALU_DEP_3) | instskip(NEXT) | instid1(VALU_DEP_1)
	v_cndmask_b32_e32 v18, 0, v18, vcc_lo
	v_lshlrev_b64_e32 v[54:55], v18, v[20:21]
	v_lshlrev_b32_e32 v18, 24, v20
	s_delay_alu instid0(VALU_DEP_4) | instskip(NEXT) | instid1(VALU_DEP_2)
	v_lshl_add_u32 v21, v31, 23, 0x3c000000
	v_and_b32_e32 v18, 0x80000000, v18
	s_delay_alu instid0(VALU_DEP_4) | instskip(NEXT) | instid1(VALU_DEP_1)
	v_lshlrev_b32_e32 v20, 20, v54
	v_and_b32_e32 v20, 0x700000, v20
	s_delay_alu instid0(VALU_DEP_1)
	v_or3_b32 v18, v20, v18, v21
.LBB6_5596:                             ;   in Loop: Header=BB6_3974 Depth=2
	s_or_b32 exec_lo, exec_lo, s27
.LBB6_5597:                             ;   in Loop: Header=BB6_3974 Depth=2
	s_delay_alu instid0(SALU_CYCLE_1)
	s_or_b32 exec_lo, exec_lo, s26
.LBB6_5598:                             ;   in Loop: Header=BB6_3974 Depth=2
	s_delay_alu instid0(SALU_CYCLE_1) | instskip(NEXT) | instid1(VALU_DEP_1)
	s_or_b32 exec_lo, exec_lo, s7
	v_mul_f32_e32 v18, v19, v18
	v_mov_b32_e32 v21, v87
                                        ; implicit-def: $vgpr125
	s_mov_b32 s7, exec_lo
	s_delay_alu instid0(VALU_DEP_2) | instskip(SKIP_1) | instid1(VALU_DEP_2)
	v_and_b32_e32 v20, 0x7f800000, v18
	v_lshrrev_b32_e32 v19, 24, v18
	v_cmpx_ne_u64_e32 0x7f800000, v[20:21]
	s_xor_b32 s26, exec_lo, s7
	s_cbranch_execz .LBB6_5612
; %bb.5599:                             ;   in Loop: Header=BB6_3974 Depth=2
	v_and_b32_e32 v20, 0x7fffffff, v18
	v_mov_b32_e32 v21, v87
	v_and_b32_e32 v31, 0x80, v19
                                        ; implicit-def: $vgpr125
	s_mov_b32 s7, exec_lo
	s_delay_alu instid0(VALU_DEP_2)
	v_cmpx_gt_u64_e32 0x43e00001, v[20:21]
	s_xor_b32 s27, exec_lo, s7
	s_cbranch_execz .LBB6_5609
; %bb.5600:                             ;   in Loop: Header=BB6_3974 Depth=2
	v_mov_b32_e32 v125, 0
	s_mov_b32 s28, exec_lo
	v_cmpx_ne_u32_e32 0, v18
	s_cbranch_execz .LBB6_5608
; %bb.5601:                             ;   in Loop: Header=BB6_3974 Depth=2
	v_bfe_u32 v54, v18, 23, 8
	v_and_b32_e32 v19, 0x7fffff, v18
	s_delay_alu instid0(VALU_DEP_2) | instskip(SKIP_2) | instid1(VALU_DEP_4)
	v_cmp_gt_u32_e64 s7, 0x7a, v54
	v_sub_nc_u32_e32 v18, 0x79, v54
	v_cmp_eq_u32_e32 vcc_lo, 0, v54
	v_or_b32_e32 v20, 0x800000, v19
	s_delay_alu instid0(VALU_DEP_3) | instskip(NEXT) | instid1(VALU_DEP_1)
	v_cndmask_b32_e64 v18, 0, v18, s7
	v_cndmask_b32_e64 v55, v18, 0x78, vcc_lo
	s_delay_alu instid0(VALU_DEP_3) | instskip(NEXT) | instid1(VALU_DEP_2)
	v_dual_cndmask_b32 v18, v20, v19 :: v_dual_mov_b32 v19, v87
	v_dual_add_nc_u32 v20, 20, v55 :: v_dual_add_nc_u32 v66, 19, v55
	s_delay_alu instid0(VALU_DEP_1) | instskip(NEXT) | instid1(VALU_DEP_2)
	v_lshlrev_b64_e64 v[20:21], v20, -1
	v_lshlrev_b64_e64 v[102:103], v66, 1
	s_delay_alu instid0(VALU_DEP_2) | instskip(SKIP_1) | instid1(VALU_DEP_4)
	v_bfi_b32 v20, v20, 0, v18
	v_lshrrev_b64 v[18:19], v55, v[18:19]
	v_bfi_b32 v21, v21, 0, 0
	s_delay_alu instid0(VALU_DEP_1) | instskip(NEXT) | instid1(VALU_DEP_3)
	v_cmp_eq_u64_e64 s7, v[20:21], v[102:103]
	v_mov_b64_e32 v[20:21], v[18:19]
	s_and_saveexec_b32 s29, s7
; %bb.5602:                             ;   in Loop: Header=BB6_3974 Depth=2
	v_bfe_u32 v20, v18, 20, 1
	v_mov_b32_e32 v21, v87
	s_delay_alu instid0(VALU_DEP_1) | instskip(NEXT) | instid1(VALU_DEP_1)
	v_add_nc_u64_e32 v[20:21], v[18:19], v[20:21]
	v_add_nc_u64_e32 v[20:21], -1, v[20:21]
; %bb.5603:                             ;   in Loop: Header=BB6_3974 Depth=2
	s_or_b32 exec_lo, exec_lo, s29
	v_add_nc_u32_e32 v19, 0xffffff81, v54
	v_lshrrev_b32_e32 v21, 23, v18
	s_mov_b32 s7, exec_lo
	s_delay_alu instid0(VALU_DEP_2) | instskip(NEXT) | instid1(VALU_DEP_1)
	v_cndmask_b32_e64 v19, v19, 0xffffff82, vcc_lo
	v_add3_u32 v54, v55, v19, v21
	v_and_b32_e32 v19, 0xfffff, v20
                                        ; implicit-def: $vgpr20
	s_delay_alu instid0(VALU_DEP_2) | instskip(NEXT) | instid1(VALU_DEP_2)
	v_add_nc_u32_e32 v21, 6, v54
	v_add_nc_u32_e32 v18, v19, v18
	v_mov_b32_e32 v19, v87
	s_delay_alu instid0(VALU_DEP_3)
	v_cmpx_ne_u32_e32 0, v21
	s_xor_b32 s7, exec_lo, s7
; %bb.5604:                             ;   in Loop: Header=BB6_3974 Depth=2
	s_delay_alu instid0(VALU_DEP_2) | instskip(SKIP_1) | instid1(VALU_DEP_1)
	v_cmp_lt_u64_e32 vcc_lo, 0xffffff, v[18:19]
	v_add_nc_u32_e32 v20, 7, v54
	v_cndmask_b32_e32 v20, v21, v20, vcc_lo
	v_cndmask_b32_e64 v21, 0, 1, vcc_lo
	s_delay_alu instid0(VALU_DEP_1)
	v_lshrrev_b64 v[18:19], v21, v[18:19]
; %bb.5605:                             ;   in Loop: Header=BB6_3974 Depth=2
	s_and_not1_saveexec_b32 s7, s7
; %bb.5606:                             ;   in Loop: Header=BB6_3974 Depth=2
	s_delay_alu instid0(VALU_DEP_1)
	v_bfe_u32 v20, v18, 23, 1
; %bb.5607:                             ;   in Loop: Header=BB6_3974 Depth=2
	s_or_b32 exec_lo, exec_lo, s7
	s_delay_alu instid0(VALU_DEP_2) | instskip(NEXT) | instid1(VALU_DEP_2)
	v_lshrrev_b64 v[18:19], 20, v[18:19]
	v_cmp_gt_i32_e32 vcc_lo, 16, v20
	v_min_i32_e32 v21, 15, v20
	v_cmp_eq_u32_e64 s7, 0, v20
	s_delay_alu instid0(VALU_DEP_2) | instskip(SKIP_1) | instid1(VALU_DEP_2)
	v_dual_cndmask_b32 v19, 0, v19, vcc_lo :: v_dual_lshlrev_b32 v21, 3, v21
	v_cndmask_b32_e32 v18, 7, v18, vcc_lo
	v_and_b32_e32 v21, 0xf8, v21
	s_delay_alu instid0(VALU_DEP_2) | instskip(NEXT) | instid1(VALU_DEP_2)
	v_cmp_eq_u64_e32 vcc_lo, 0, v[18:19]
	v_and_or_b32 v18, v18, 7, v21
	s_and_b32 s7, s7, vcc_lo
	s_delay_alu instid0(VALU_DEP_1) | instid1(SALU_CYCLE_1)
	v_cndmask_b32_e64 v18, v18, 0, s7
	s_delay_alu instid0(VALU_DEP_1)
	v_or_b32_e32 v125, v18, v31
.LBB6_5608:                             ;   in Loop: Header=BB6_3974 Depth=2
	s_or_b32 exec_lo, exec_lo, s28
                                        ; implicit-def: $vgpr31
.LBB6_5609:                             ;   in Loop: Header=BB6_3974 Depth=2
	s_and_not1_saveexec_b32 s7, s27
; %bb.5610:                             ;   in Loop: Header=BB6_3974 Depth=2
	v_or_b32_e32 v125, 0x7e, v31
; %bb.5611:                             ;   in Loop: Header=BB6_3974 Depth=2
	s_or_b32 exec_lo, exec_lo, s7
                                        ; implicit-def: $vgpr19
.LBB6_5612:                             ;   in Loop: Header=BB6_3974 Depth=2
	s_and_not1_saveexec_b32 s7, s26
; %bb.5613:                             ;   in Loop: Header=BB6_3974 Depth=2
	v_or_b32_e32 v125, 0x7f, v19
; %bb.5614:                             ;   in Loop: Header=BB6_3974 Depth=2
	s_or_b32 exec_lo, exec_lo, s7
	v_lshrrev_b16 v19, 8, v86
	v_dual_mov_b32 v20, 0 :: v_dual_mov_b32 v18, 0
	s_mov_b32 s7, exec_lo
	s_delay_alu instid0(VALU_DEP_2)
	v_cmpx_ne_u16_e32 0, v19
	s_cbranch_execz .LBB6_5622
; %bb.5615:                             ;   in Loop: Header=BB6_3974 Depth=2
	v_bfrev_b32_e32 v18, 1
	s_mov_b32 s26, exec_lo
	v_cmpx_ne_u16_e32 0x80, v19
	s_cbranch_execz .LBB6_5621
; %bb.5616:                             ;   in Loop: Header=BB6_3974 Depth=2
	v_and_b32_e32 v19, 0xffff, v19
	v_mov_b32_e32 v18, 0x7f800001
	s_mov_b32 s27, exec_lo
	s_delay_alu instid0(VALU_DEP_2) | instskip(NEXT) | instid1(VALU_DEP_1)
	v_and_b32_e32 v31, 0x7f, v19
	v_cmpx_ne_u32_e32 0x7f, v31
	s_cbranch_execz .LBB6_5620
; %bb.5617:                             ;   in Loop: Header=BB6_3974 Depth=2
	v_dual_mov_b32 v19, v87 :: v_dual_bitop2_b32 v18, 7, v19 bitop3:0x40
	v_lshrrev_b32_e32 v21, 3, v31
	s_mov_b32 s28, exec_lo
	v_cmpx_gt_u32_e32 8, v31
; %bb.5618:                             ;   in Loop: Header=BB6_3974 Depth=2
	s_delay_alu instid0(VALU_DEP_3) | instskip(NEXT) | instid1(VALU_DEP_1)
	v_clz_i32_u32_e32 v21, v18
	v_min_u32_e32 v21, 32, v21
	s_delay_alu instid0(VALU_DEP_1) | instskip(NEXT) | instid1(VALU_DEP_1)
	v_subrev_nc_u32_e32 v31, 28, v21
	v_lshlrev_b64_e32 v[18:19], v31, v[18:19]
	s_delay_alu instid0(VALU_DEP_1)
	v_dual_sub_nc_u32 v21, 29, v21 :: v_dual_bitop2_b32 v18, 7, v18 bitop3:0x40
; %bb.5619:                             ;   in Loop: Header=BB6_3974 Depth=2
	s_or_b32 exec_lo, exec_lo, s28
	v_lshlrev_b32_e32 v19, 16, v86
	s_delay_alu instid0(VALU_DEP_2) | instskip(NEXT) | instid1(VALU_DEP_3)
	v_lshlrev_b32_e32 v18, 20, v18
	v_lshl_add_u32 v21, v21, 23, 0x3c000000
	s_delay_alu instid0(VALU_DEP_3) | instskip(NEXT) | instid1(VALU_DEP_1)
	v_and_b32_e32 v19, 0x80000000, v19
	v_or3_b32 v18, v18, v19, v21
.LBB6_5620:                             ;   in Loop: Header=BB6_3974 Depth=2
	s_or_b32 exec_lo, exec_lo, s27
.LBB6_5621:                             ;   in Loop: Header=BB6_3974 Depth=2
	s_delay_alu instid0(SALU_CYCLE_1)
	s_or_b32 exec_lo, exec_lo, s26
.LBB6_5622:                             ;   in Loop: Header=BB6_3974 Depth=2
	s_delay_alu instid0(SALU_CYCLE_1) | instskip(SKIP_2) | instid1(VALU_DEP_1)
	s_or_b32 exec_lo, exec_lo, s7
	v_lshrrev_b16 v19, 8, v11
	s_mov_b32 s7, exec_lo
	v_cmpx_ne_u16_e32 0, v19
	s_cbranch_execz .LBB6_5630
; %bb.5623:                             ;   in Loop: Header=BB6_3974 Depth=2
	v_bfrev_b32_e32 v20, 1
	s_mov_b32 s26, exec_lo
	v_cmpx_ne_u16_e32 0x80, v19
	s_cbranch_execz .LBB6_5629
; %bb.5624:                             ;   in Loop: Header=BB6_3974 Depth=2
	v_and_b32_e32 v19, 0xffff, v19
	v_mov_b32_e32 v20, 0x7f800001
	s_mov_b32 s27, exec_lo
	s_delay_alu instid0(VALU_DEP_2) | instskip(NEXT) | instid1(VALU_DEP_1)
	v_and_b32_e32 v21, 0x7f, v19
	v_cmpx_ne_u32_e32 0x7f, v21
	s_cbranch_execz .LBB6_5628
; %bb.5625:                             ;   in Loop: Header=BB6_3974 Depth=2
	v_dual_lshrrev_b32 v19, 3, v21 :: v_dual_bitop2_b32 v86, 7, v19 bitop3:0x40
	s_mov_b32 s28, exec_lo
	v_cmpx_gt_u32_e32 8, v21
; %bb.5626:                             ;   in Loop: Header=BB6_3974 Depth=2
	s_delay_alu instid0(VALU_DEP_2) | instskip(NEXT) | instid1(VALU_DEP_1)
	v_clz_i32_u32_e32 v19, v86
	v_min_u32_e32 v19, 32, v19
	s_delay_alu instid0(VALU_DEP_1) | instskip(NEXT) | instid1(VALU_DEP_1)
	v_subrev_nc_u32_e32 v20, 28, v19
	v_lshlrev_b64_e32 v[20:21], v20, v[86:87]
	s_delay_alu instid0(VALU_DEP_1)
	v_dual_sub_nc_u32 v19, 29, v19 :: v_dual_bitop2_b32 v86, 7, v20 bitop3:0x40
; %bb.5627:                             ;   in Loop: Header=BB6_3974 Depth=2
	s_or_b32 exec_lo, exec_lo, s28
	s_delay_alu instid0(VALU_DEP_1) | instskip(NEXT) | instid1(VALU_DEP_2)
	v_dual_lshlrev_b32 v20, 16, v11 :: v_dual_lshlrev_b32 v21, 20, v86
	v_lshl_add_u32 v19, v19, 23, 0x3c000000
	s_delay_alu instid0(VALU_DEP_2) | instskip(NEXT) | instid1(VALU_DEP_1)
	v_and_b32_e32 v20, 0x80000000, v20
	v_or3_b32 v20, v21, v20, v19
.LBB6_5628:                             ;   in Loop: Header=BB6_3974 Depth=2
	s_or_b32 exec_lo, exec_lo, s27
.LBB6_5629:                             ;   in Loop: Header=BB6_3974 Depth=2
	s_delay_alu instid0(SALU_CYCLE_1)
	s_or_b32 exec_lo, exec_lo, s26
.LBB6_5630:                             ;   in Loop: Header=BB6_3974 Depth=2
	s_delay_alu instid0(SALU_CYCLE_1) | instskip(NEXT) | instid1(VALU_DEP_1)
	s_or_b32 exec_lo, exec_lo, s7
	v_mul_f32_e32 v18, v18, v20
                                        ; implicit-def: $vgpr126
	s_mov_b32 s7, exec_lo
	s_delay_alu instid0(VALU_DEP_1) | instskip(SKIP_1) | instid1(VALU_DEP_2)
	v_and_b32_e32 v86, 0x7f800000, v18
	v_lshrrev_b32_e32 v19, 24, v18
	v_cmpx_ne_u64_e32 0x7f800000, v[86:87]
	s_xor_b32 s26, exec_lo, s7
	s_cbranch_execz .LBB6_5644
; %bb.5631:                             ;   in Loop: Header=BB6_3974 Depth=2
	v_and_b32_e32 v86, 0x7fffffff, v18
	v_and_b32_e32 v31, 0x80, v19
                                        ; implicit-def: $vgpr126
	s_mov_b32 s7, exec_lo
	s_delay_alu instid0(VALU_DEP_2)
	v_cmpx_gt_u64_e32 0x43e00001, v[86:87]
	s_xor_b32 s27, exec_lo, s7
	s_cbranch_execz .LBB6_5641
; %bb.5632:                             ;   in Loop: Header=BB6_3974 Depth=2
	v_mov_b32_e32 v126, 0
	s_mov_b32 s28, exec_lo
	v_cmpx_ne_u32_e32 0, v18
	s_cbranch_execz .LBB6_5640
; %bb.5633:                             ;   in Loop: Header=BB6_3974 Depth=2
	v_bfe_u32 v54, v18, 23, 8
	v_and_b32_e32 v19, 0x7fffff, v18
	s_delay_alu instid0(VALU_DEP_2) | instskip(SKIP_2) | instid1(VALU_DEP_4)
	v_cmp_gt_u32_e64 s7, 0x7a, v54
	v_sub_nc_u32_e32 v18, 0x79, v54
	v_cmp_eq_u32_e32 vcc_lo, 0, v54
	v_or_b32_e32 v20, 0x800000, v19
	s_delay_alu instid0(VALU_DEP_1) | instskip(NEXT) | instid1(VALU_DEP_1)
	v_dual_cndmask_b32 v18, 0, v18, s7 :: v_dual_cndmask_b32 v86, v20, v19, vcc_lo
	v_cndmask_b32_e64 v55, v18, 0x78, vcc_lo
	s_delay_alu instid0(VALU_DEP_1) | instskip(NEXT) | instid1(VALU_DEP_1)
	v_dual_add_nc_u32 v18, 20, v55 :: v_dual_add_nc_u32 v20, 19, v55
	v_lshlrev_b64_e64 v[18:19], v18, -1
	s_delay_alu instid0(VALU_DEP_2) | instskip(NEXT) | instid1(VALU_DEP_2)
	v_lshlrev_b64_e64 v[20:21], v20, 1
	v_bfi_b32 v19, v19, 0, 0
	s_delay_alu instid0(VALU_DEP_3) | instskip(NEXT) | instid1(VALU_DEP_1)
	v_bfi_b32 v18, v18, 0, v86
	v_cmp_eq_u64_e64 s7, v[18:19], v[20:21]
	v_lshrrev_b64 v[18:19], v55, v[86:87]
	s_delay_alu instid0(VALU_DEP_1)
	v_mov_b64_e32 v[20:21], v[18:19]
	s_and_saveexec_b32 s29, s7
; %bb.5634:                             ;   in Loop: Header=BB6_3974 Depth=2
	v_bfe_u32 v86, v18, 20, 1
	s_delay_alu instid0(VALU_DEP_1) | instskip(NEXT) | instid1(VALU_DEP_1)
	v_add_nc_u64_e32 v[20:21], v[18:19], v[86:87]
	v_add_nc_u64_e32 v[20:21], -1, v[20:21]
; %bb.5635:                             ;   in Loop: Header=BB6_3974 Depth=2
	s_or_b32 exec_lo, exec_lo, s29
	v_add_nc_u32_e32 v19, 0xffffff81, v54
	v_lshrrev_b32_e32 v21, 23, v18
	s_mov_b32 s7, exec_lo
	s_delay_alu instid0(VALU_DEP_2) | instskip(NEXT) | instid1(VALU_DEP_1)
	v_cndmask_b32_e64 v19, v19, 0xffffff82, vcc_lo
	v_add3_u32 v54, v55, v19, v21
	v_and_b32_e32 v19, 0xfffff, v20
                                        ; implicit-def: $vgpr20
	s_delay_alu instid0(VALU_DEP_2) | instskip(NEXT) | instid1(VALU_DEP_2)
	v_add_nc_u32_e32 v21, 6, v54
	v_add_nc_u32_e32 v86, v19, v18
                                        ; implicit-def: $vgpr18_vgpr19
	s_delay_alu instid0(VALU_DEP_2)
	v_cmpx_ne_u32_e32 0, v21
	s_xor_b32 s7, exec_lo, s7
; %bb.5636:                             ;   in Loop: Header=BB6_3974 Depth=2
	s_delay_alu instid0(VALU_DEP_2) | instskip(SKIP_1) | instid1(VALU_DEP_1)
	v_cmp_lt_u64_e32 vcc_lo, 0xffffff, v[86:87]
	v_add_nc_u32_e32 v18, 7, v54
	v_cndmask_b32_e32 v20, v21, v18, vcc_lo
	v_cndmask_b32_e64 v18, 0, 1, vcc_lo
	s_delay_alu instid0(VALU_DEP_1)
	v_lshrrev_b64 v[18:19], v18, v[86:87]
; %bb.5637:                             ;   in Loop: Header=BB6_3974 Depth=2
	s_and_not1_saveexec_b32 s7, s7
; %bb.5638:                             ;   in Loop: Header=BB6_3974 Depth=2
	v_mov_b64_e32 v[18:19], v[86:87]
	v_bfe_u32 v20, v86, 23, 1
; %bb.5639:                             ;   in Loop: Header=BB6_3974 Depth=2
	s_or_b32 exec_lo, exec_lo, s7
	s_delay_alu instid0(VALU_DEP_2) | instskip(NEXT) | instid1(VALU_DEP_2)
	v_lshrrev_b64 v[18:19], 20, v[18:19]
	v_cmp_gt_i32_e32 vcc_lo, 16, v20
	v_min_i32_e32 v21, 15, v20
	v_cmp_eq_u32_e64 s7, 0, v20
	s_delay_alu instid0(VALU_DEP_2) | instskip(SKIP_1) | instid1(VALU_DEP_2)
	v_dual_cndmask_b32 v19, 0, v19, vcc_lo :: v_dual_lshlrev_b32 v21, 3, v21
	v_cndmask_b32_e32 v18, 7, v18, vcc_lo
	v_and_b32_e32 v21, 0xf8, v21
	s_delay_alu instid0(VALU_DEP_2) | instskip(NEXT) | instid1(VALU_DEP_2)
	v_cmp_eq_u64_e32 vcc_lo, 0, v[18:19]
	v_and_or_b32 v18, v18, 7, v21
	s_and_b32 s7, s7, vcc_lo
	s_delay_alu instid0(VALU_DEP_1) | instid1(SALU_CYCLE_1)
	v_cndmask_b32_e64 v18, v18, 0, s7
	s_delay_alu instid0(VALU_DEP_1)
	v_or_b32_e32 v126, v18, v31
.LBB6_5640:                             ;   in Loop: Header=BB6_3974 Depth=2
	s_or_b32 exec_lo, exec_lo, s28
                                        ; implicit-def: $vgpr31
.LBB6_5641:                             ;   in Loop: Header=BB6_3974 Depth=2
	s_and_not1_saveexec_b32 s7, s27
; %bb.5642:                             ;   in Loop: Header=BB6_3974 Depth=2
	v_or_b32_e32 v126, 0x7e, v31
; %bb.5643:                             ;   in Loop: Header=BB6_3974 Depth=2
	s_or_b32 exec_lo, exec_lo, s7
                                        ; implicit-def: $vgpr19
.LBB6_5644:                             ;   in Loop: Header=BB6_3974 Depth=2
	s_and_not1_saveexec_b32 s7, s26
; %bb.5645:                             ;   in Loop: Header=BB6_3974 Depth=2
	v_or_b32_e32 v126, 0x7f, v19
; %bb.5646:                             ;   in Loop: Header=BB6_3974 Depth=2
	s_or_b32 exec_lo, exec_lo, s7
	v_dual_lshrrev_b32 v20, 16, v15 :: v_dual_mov_b32 v18, 0
	v_mov_b32_e32 v19, 0
	s_mov_b32 s7, exec_lo
	s_delay_alu instid0(VALU_DEP_2) | instskip(NEXT) | instid1(VALU_DEP_1)
	v_and_b32_e32 v21, 0xff, v20
	v_cmpx_ne_u16_e32 0, v21
	s_cbranch_execz .LBB6_5654
; %bb.5647:                             ;   in Loop: Header=BB6_3974 Depth=2
	v_bfrev_b32_e32 v19, 1
	s_mov_b32 s26, exec_lo
	v_cmpx_ne_u16_e32 0x80, v21
	s_cbranch_execz .LBB6_5653
; %bb.5648:                             ;   in Loop: Header=BB6_3974 Depth=2
	v_bfe_u32 v21, v15, 16, 7
	v_mov_b32_e32 v19, 0x7f800001
	s_mov_b32 s27, exec_lo
	s_delay_alu instid0(VALU_DEP_2)
	v_cmpx_ne_u32_e32 0x7f, v21
	s_cbranch_execz .LBB6_5652
; %bb.5649:                             ;   in Loop: Header=BB6_3974 Depth=2
	v_dual_lshrrev_b32 v19, 3, v21 :: v_dual_bitop2_b32 v86, 7, v20 bitop3:0x40
	s_mov_b32 s28, exec_lo
	v_cmpx_gt_u32_e32 8, v21
; %bb.5650:                             ;   in Loop: Header=BB6_3974 Depth=2
	s_delay_alu instid0(VALU_DEP_2) | instskip(NEXT) | instid1(VALU_DEP_1)
	v_clz_i32_u32_e32 v19, v86
	v_min_u32_e32 v19, 32, v19
	s_delay_alu instid0(VALU_DEP_1) | instskip(NEXT) | instid1(VALU_DEP_1)
	v_subrev_nc_u32_e32 v21, 28, v19
	v_lshlrev_b64_e32 v[54:55], v21, v[86:87]
	s_delay_alu instid0(VALU_DEP_1)
	v_dual_sub_nc_u32 v19, 29, v19 :: v_dual_bitop2_b32 v86, 7, v54 bitop3:0x40
; %bb.5651:                             ;   in Loop: Header=BB6_3974 Depth=2
	s_or_b32 exec_lo, exec_lo, s28
	s_delay_alu instid0(VALU_DEP_1) | instskip(NEXT) | instid1(VALU_DEP_2)
	v_dual_lshlrev_b32 v20, 24, v20 :: v_dual_lshlrev_b32 v21, 20, v86
	v_lshl_add_u32 v19, v19, 23, 0x3c000000
	s_delay_alu instid0(VALU_DEP_2) | instskip(NEXT) | instid1(VALU_DEP_1)
	v_and_b32_e32 v20, 0x80000000, v20
	v_or3_b32 v19, v21, v20, v19
.LBB6_5652:                             ;   in Loop: Header=BB6_3974 Depth=2
	s_or_b32 exec_lo, exec_lo, s27
.LBB6_5653:                             ;   in Loop: Header=BB6_3974 Depth=2
	s_delay_alu instid0(SALU_CYCLE_1)
	s_or_b32 exec_lo, exec_lo, s26
.LBB6_5654:                             ;   in Loop: Header=BB6_3974 Depth=2
	s_delay_alu instid0(SALU_CYCLE_1) | instskip(SKIP_2) | instid1(VALU_DEP_1)
	s_or_b32 exec_lo, exec_lo, s7
	v_lshrrev_b32_e32 v20, 16, v11
	s_mov_b32 s7, exec_lo
	v_and_b32_e32 v21, 0xff, v20
	s_delay_alu instid0(VALU_DEP_1)
	v_cmpx_ne_u16_e32 0, v21
	s_cbranch_execz .LBB6_5662
; %bb.5655:                             ;   in Loop: Header=BB6_3974 Depth=2
	v_bfrev_b32_e32 v18, 1
	s_mov_b32 s26, exec_lo
	v_cmpx_ne_u16_e32 0x80, v21
	s_cbranch_execz .LBB6_5661
; %bb.5656:                             ;   in Loop: Header=BB6_3974 Depth=2
	v_bfe_u32 v21, v11, 16, 7
	v_mov_b32_e32 v18, 0x7f800001
	s_mov_b32 s27, exec_lo
	s_delay_alu instid0(VALU_DEP_2)
	v_cmpx_ne_u32_e32 0x7f, v21
	s_cbranch_execz .LBB6_5660
; %bb.5657:                             ;   in Loop: Header=BB6_3974 Depth=2
	v_dual_lshrrev_b32 v18, 3, v21 :: v_dual_bitop2_b32 v86, 7, v20 bitop3:0x40
	s_mov_b32 s28, exec_lo
	v_cmpx_gt_u32_e32 8, v21
; %bb.5658:                             ;   in Loop: Header=BB6_3974 Depth=2
	s_delay_alu instid0(VALU_DEP_2) | instskip(NEXT) | instid1(VALU_DEP_1)
	v_clz_i32_u32_e32 v18, v86
	v_min_u32_e32 v18, 32, v18
	s_delay_alu instid0(VALU_DEP_1) | instskip(NEXT) | instid1(VALU_DEP_1)
	v_subrev_nc_u32_e32 v20, 28, v18
	v_lshlrev_b64_e32 v[20:21], v20, v[86:87]
	s_delay_alu instid0(VALU_DEP_1)
	v_dual_sub_nc_u32 v18, 29, v18 :: v_dual_bitop2_b32 v86, 7, v20 bitop3:0x40
; %bb.5659:                             ;   in Loop: Header=BB6_3974 Depth=2
	s_or_b32 exec_lo, exec_lo, s28
	s_delay_alu instid0(VALU_DEP_1) | instskip(NEXT) | instid1(VALU_DEP_2)
	v_dual_lshlrev_b32 v20, 8, v11 :: v_dual_lshlrev_b32 v21, 20, v86
	v_lshl_add_u32 v18, v18, 23, 0x3c000000
	s_delay_alu instid0(VALU_DEP_2) | instskip(NEXT) | instid1(VALU_DEP_1)
	v_and_b32_e32 v20, 0x80000000, v20
	v_or3_b32 v18, v21, v20, v18
.LBB6_5660:                             ;   in Loop: Header=BB6_3974 Depth=2
	s_or_b32 exec_lo, exec_lo, s27
.LBB6_5661:                             ;   in Loop: Header=BB6_3974 Depth=2
	s_delay_alu instid0(SALU_CYCLE_1)
	s_or_b32 exec_lo, exec_lo, s26
.LBB6_5662:                             ;   in Loop: Header=BB6_3974 Depth=2
	s_delay_alu instid0(SALU_CYCLE_1) | instskip(NEXT) | instid1(VALU_DEP_1)
	s_or_b32 exec_lo, exec_lo, s7
	v_mul_f32_e32 v19, v19, v18
                                        ; implicit-def: $vgpr18
	s_mov_b32 s7, exec_lo
	s_delay_alu instid0(VALU_DEP_1) | instskip(SKIP_1) | instid1(VALU_DEP_2)
	v_and_b32_e32 v86, 0x7f800000, v19
	v_lshrrev_b32_e32 v20, 24, v19
	v_cmpx_ne_u64_e32 0x7f800000, v[86:87]
	s_xor_b32 s26, exec_lo, s7
	s_cbranch_execz .LBB6_5676
; %bb.5663:                             ;   in Loop: Header=BB6_3974 Depth=2
	v_and_b32_e32 v86, 0x7fffffff, v19
	v_and_b32_e32 v31, 0x80, v20
                                        ; implicit-def: $vgpr18
	s_mov_b32 s7, exec_lo
	s_delay_alu instid0(VALU_DEP_2)
	v_cmpx_gt_u64_e32 0x43e00001, v[86:87]
	s_xor_b32 s27, exec_lo, s7
	s_cbranch_execz .LBB6_5673
; %bb.5664:                             ;   in Loop: Header=BB6_3974 Depth=2
	v_mov_b32_e32 v18, 0
	s_mov_b32 s28, exec_lo
	v_cmpx_ne_u32_e32 0, v19
	s_cbranch_execz .LBB6_5672
; %bb.5665:                             ;   in Loop: Header=BB6_3974 Depth=2
	v_bfe_u32 v54, v19, 23, 8
	v_and_b32_e32 v18, 0x7fffff, v19
	s_delay_alu instid0(VALU_DEP_2) | instskip(SKIP_2) | instid1(VALU_DEP_4)
	v_cmp_gt_u32_e64 s7, 0x7a, v54
	v_sub_nc_u32_e32 v19, 0x79, v54
	v_cmp_eq_u32_e32 vcc_lo, 0, v54
	v_or_b32_e32 v20, 0x800000, v18
	s_delay_alu instid0(VALU_DEP_1) | instskip(NEXT) | instid1(VALU_DEP_1)
	v_dual_cndmask_b32 v19, 0, v19, s7 :: v_dual_cndmask_b32 v86, v20, v18, vcc_lo
	v_cndmask_b32_e64 v55, v19, 0x78, vcc_lo
	s_delay_alu instid0(VALU_DEP_1) | instskip(NEXT) | instid1(VALU_DEP_1)
	v_dual_add_nc_u32 v18, 20, v55 :: v_dual_add_nc_u32 v20, 19, v55
	v_lshlrev_b64_e64 v[18:19], v18, -1
	s_delay_alu instid0(VALU_DEP_2) | instskip(NEXT) | instid1(VALU_DEP_2)
	v_lshlrev_b64_e64 v[20:21], v20, 1
	v_bfi_b32 v19, v19, 0, 0
	s_delay_alu instid0(VALU_DEP_3) | instskip(NEXT) | instid1(VALU_DEP_1)
	v_bfi_b32 v18, v18, 0, v86
	v_cmp_eq_u64_e64 s7, v[18:19], v[20:21]
	v_lshrrev_b64 v[18:19], v55, v[86:87]
	s_delay_alu instid0(VALU_DEP_1)
	v_mov_b64_e32 v[20:21], v[18:19]
	s_and_saveexec_b32 s29, s7
; %bb.5666:                             ;   in Loop: Header=BB6_3974 Depth=2
	v_bfe_u32 v86, v18, 20, 1
	s_delay_alu instid0(VALU_DEP_1) | instskip(NEXT) | instid1(VALU_DEP_1)
	v_add_nc_u64_e32 v[20:21], v[18:19], v[86:87]
	v_add_nc_u64_e32 v[20:21], -1, v[20:21]
; %bb.5667:                             ;   in Loop: Header=BB6_3974 Depth=2
	s_or_b32 exec_lo, exec_lo, s29
	v_add_nc_u32_e32 v19, 0xffffff81, v54
	v_lshrrev_b32_e32 v21, 23, v18
	s_mov_b32 s7, exec_lo
	s_delay_alu instid0(VALU_DEP_2) | instskip(NEXT) | instid1(VALU_DEP_1)
	v_cndmask_b32_e64 v19, v19, 0xffffff82, vcc_lo
	v_add3_u32 v54, v55, v19, v21
	v_and_b32_e32 v19, 0xfffff, v20
                                        ; implicit-def: $vgpr20
	s_delay_alu instid0(VALU_DEP_2) | instskip(NEXT) | instid1(VALU_DEP_2)
	v_add_nc_u32_e32 v21, 6, v54
	v_add_nc_u32_e32 v86, v19, v18
                                        ; implicit-def: $vgpr18_vgpr19
	s_delay_alu instid0(VALU_DEP_2)
	v_cmpx_ne_u32_e32 0, v21
	s_xor_b32 s7, exec_lo, s7
; %bb.5668:                             ;   in Loop: Header=BB6_3974 Depth=2
	s_delay_alu instid0(VALU_DEP_2) | instskip(SKIP_1) | instid1(VALU_DEP_1)
	v_cmp_lt_u64_e32 vcc_lo, 0xffffff, v[86:87]
	v_add_nc_u32_e32 v18, 7, v54
	v_cndmask_b32_e32 v20, v21, v18, vcc_lo
	v_cndmask_b32_e64 v18, 0, 1, vcc_lo
	s_delay_alu instid0(VALU_DEP_1)
	v_lshrrev_b64 v[18:19], v18, v[86:87]
; %bb.5669:                             ;   in Loop: Header=BB6_3974 Depth=2
	s_and_not1_saveexec_b32 s7, s7
; %bb.5670:                             ;   in Loop: Header=BB6_3974 Depth=2
	v_mov_b64_e32 v[18:19], v[86:87]
	v_bfe_u32 v20, v86, 23, 1
; %bb.5671:                             ;   in Loop: Header=BB6_3974 Depth=2
	s_or_b32 exec_lo, exec_lo, s7
	s_delay_alu instid0(VALU_DEP_2) | instskip(NEXT) | instid1(VALU_DEP_2)
	v_lshrrev_b64 v[18:19], 20, v[18:19]
	v_cmp_gt_i32_e32 vcc_lo, 16, v20
	v_min_i32_e32 v21, 15, v20
	v_cmp_eq_u32_e64 s7, 0, v20
	s_delay_alu instid0(VALU_DEP_2) | instskip(SKIP_1) | instid1(VALU_DEP_2)
	v_dual_cndmask_b32 v19, 0, v19, vcc_lo :: v_dual_lshlrev_b32 v21, 3, v21
	v_cndmask_b32_e32 v18, 7, v18, vcc_lo
	v_and_b32_e32 v21, 0xf8, v21
	s_delay_alu instid0(VALU_DEP_2) | instskip(NEXT) | instid1(VALU_DEP_2)
	v_cmp_eq_u64_e32 vcc_lo, 0, v[18:19]
	v_and_or_b32 v18, v18, 7, v21
	s_and_b32 s7, s7, vcc_lo
	s_delay_alu instid0(VALU_DEP_1) | instid1(SALU_CYCLE_1)
	v_cndmask_b32_e64 v18, v18, 0, s7
	s_delay_alu instid0(VALU_DEP_1)
	v_or_b32_e32 v18, v18, v31
.LBB6_5672:                             ;   in Loop: Header=BB6_3974 Depth=2
	s_or_b32 exec_lo, exec_lo, s28
                                        ; implicit-def: $vgpr31
.LBB6_5673:                             ;   in Loop: Header=BB6_3974 Depth=2
	s_and_not1_saveexec_b32 s7, s27
; %bb.5674:                             ;   in Loop: Header=BB6_3974 Depth=2
	v_or_b32_e32 v18, 0x7e, v31
; %bb.5675:                             ;   in Loop: Header=BB6_3974 Depth=2
	s_or_b32 exec_lo, exec_lo, s7
                                        ; implicit-def: $vgpr20
.LBB6_5676:                             ;   in Loop: Header=BB6_3974 Depth=2
	s_and_not1_saveexec_b32 s7, s26
; %bb.5677:                             ;   in Loop: Header=BB6_3974 Depth=2
	v_or_b32_e32 v18, 0x7f, v20
; %bb.5678:                             ;   in Loop: Header=BB6_3974 Depth=2
	s_or_b32 exec_lo, exec_lo, s7
	v_cmp_lt_u64_e32 vcc_lo, s[12:13], v[14:15]
	v_dual_mov_b32 v14, 0 :: v_dual_mov_b32 v19, 0
	s_and_saveexec_b32 s7, vcc_lo
	s_cbranch_execz .LBB6_5686
; %bb.5679:                             ;   in Loop: Header=BB6_3974 Depth=2
	v_lshrrev_b32_e32 v20, 24, v15
	v_bfrev_b32_e32 v19, 1
	s_mov_b32 s26, exec_lo
	s_delay_alu instid0(VALU_DEP_2)
	v_cmpx_ne_u32_e32 0x80, v20
	s_cbranch_execz .LBB6_5685
; %bb.5680:                             ;   in Loop: Header=BB6_3974 Depth=2
	v_bfe_u32 v21, v15, 24, 7
	v_mov_b32_e32 v19, 0x7f800001
	s_mov_b32 s27, exec_lo
	s_delay_alu instid0(VALU_DEP_2)
	v_cmpx_ne_u32_e32 0x7f, v21
	s_cbranch_execz .LBB6_5684
; %bb.5681:                             ;   in Loop: Header=BB6_3974 Depth=2
	v_dual_lshrrev_b32 v15, 3, v21 :: v_dual_bitop2_b32 v86, 7, v20 bitop3:0x40
	s_mov_b32 s28, exec_lo
	v_cmpx_gt_u32_e32 8, v21
; %bb.5682:                             ;   in Loop: Header=BB6_3974 Depth=2
	s_delay_alu instid0(VALU_DEP_2) | instskip(NEXT) | instid1(VALU_DEP_1)
	v_clz_i32_u32_e32 v15, v86
	v_min_u32_e32 v15, 32, v15
	s_delay_alu instid0(VALU_DEP_1) | instskip(NEXT) | instid1(VALU_DEP_1)
	v_subrev_nc_u32_e32 v19, 28, v15
	v_lshlrev_b64_e32 v[54:55], v19, v[86:87]
	s_delay_alu instid0(VALU_DEP_1)
	v_dual_sub_nc_u32 v15, 29, v15 :: v_dual_bitop2_b32 v86, 7, v54 bitop3:0x40
; %bb.5683:                             ;   in Loop: Header=BB6_3974 Depth=2
	s_or_b32 exec_lo, exec_lo, s28
	s_delay_alu instid0(VALU_DEP_1) | instskip(NEXT) | instid1(VALU_DEP_2)
	v_dual_lshlrev_b32 v19, 24, v20 :: v_dual_lshlrev_b32 v20, 20, v86
	v_lshl_add_u32 v15, v15, 23, 0x3c000000
	s_delay_alu instid0(VALU_DEP_2) | instskip(NEXT) | instid1(VALU_DEP_1)
	v_and_b32_e32 v19, 0x80000000, v19
	v_or3_b32 v19, v20, v19, v15
.LBB6_5684:                             ;   in Loop: Header=BB6_3974 Depth=2
	s_or_b32 exec_lo, exec_lo, s27
.LBB6_5685:                             ;   in Loop: Header=BB6_3974 Depth=2
	s_delay_alu instid0(SALU_CYCLE_1)
	s_or_b32 exec_lo, exec_lo, s26
.LBB6_5686:                             ;   in Loop: Header=BB6_3974 Depth=2
	s_delay_alu instid0(SALU_CYCLE_1) | instskip(NEXT) | instid1(SALU_CYCLE_1)
	s_or_b32 exec_lo, exec_lo, s7
	s_mov_b32 s7, exec_lo
	v_cmpx_lt_u64_e64 s[12:13], v[10:11]
	s_cbranch_execz .LBB6_5694
; %bb.5687:                             ;   in Loop: Header=BB6_3974 Depth=2
	v_lshrrev_b32_e32 v10, 24, v11
	v_bfrev_b32_e32 v14, 1
	s_mov_b32 s26, exec_lo
	s_delay_alu instid0(VALU_DEP_2)
	v_cmpx_ne_u32_e32 0x80, v10
	s_cbranch_execz .LBB6_5693
; %bb.5688:                             ;   in Loop: Header=BB6_3974 Depth=2
	v_bfe_u32 v15, v11, 24, 7
	v_mov_b32_e32 v14, 0x7f800001
	s_mov_b32 s27, exec_lo
	s_delay_alu instid0(VALU_DEP_2)
	v_cmpx_ne_u32_e32 0x7f, v15
	s_cbranch_execz .LBB6_5692
; %bb.5689:                             ;   in Loop: Header=BB6_3974 Depth=2
	v_dual_lshrrev_b32 v11, 3, v15 :: v_dual_bitop2_b32 v86, 7, v10 bitop3:0x40
	s_mov_b32 s28, exec_lo
	v_cmpx_gt_u32_e32 8, v15
; %bb.5690:                             ;   in Loop: Header=BB6_3974 Depth=2
	s_delay_alu instid0(VALU_DEP_2) | instskip(NEXT) | instid1(VALU_DEP_1)
	v_clz_i32_u32_e32 v11, v86
	v_min_u32_e32 v11, 32, v11
	s_delay_alu instid0(VALU_DEP_1) | instskip(NEXT) | instid1(VALU_DEP_1)
	v_subrev_nc_u32_e32 v14, 28, v11
	v_lshlrev_b64_e32 v[14:15], v14, v[86:87]
	s_delay_alu instid0(VALU_DEP_1)
	v_dual_sub_nc_u32 v11, 29, v11 :: v_dual_bitop2_b32 v86, 7, v14 bitop3:0x40
; %bb.5691:                             ;   in Loop: Header=BB6_3974 Depth=2
	s_or_b32 exec_lo, exec_lo, s28
	v_lshlrev_b32_e32 v10, 24, v10
	s_delay_alu instid0(VALU_DEP_2) | instskip(NEXT) | instid1(VALU_DEP_3)
	v_lshlrev_b32_e32 v14, 20, v86
	v_lshl_add_u32 v11, v11, 23, 0x3c000000
	s_delay_alu instid0(VALU_DEP_3) | instskip(NEXT) | instid1(VALU_DEP_1)
	v_and_b32_e32 v10, 0x80000000, v10
	v_or3_b32 v14, v14, v10, v11
.LBB6_5692:                             ;   in Loop: Header=BB6_3974 Depth=2
	s_or_b32 exec_lo, exec_lo, s27
.LBB6_5693:                             ;   in Loop: Header=BB6_3974 Depth=2
	s_delay_alu instid0(SALU_CYCLE_1)
	s_or_b32 exec_lo, exec_lo, s26
.LBB6_5694:                             ;   in Loop: Header=BB6_3974 Depth=2
	s_delay_alu instid0(SALU_CYCLE_1) | instskip(NEXT) | instid1(VALU_DEP_1)
	s_or_b32 exec_lo, exec_lo, s7
	v_mul_f32_e32 v10, v19, v14
                                        ; implicit-def: $vgpr19
	s_mov_b32 s7, exec_lo
	s_delay_alu instid0(VALU_DEP_1) | instskip(SKIP_1) | instid1(VALU_DEP_2)
	v_and_b32_e32 v86, 0x7f800000, v10
	v_lshrrev_b32_e32 v11, 24, v10
	v_cmpx_ne_u64_e32 0x7f800000, v[86:87]
	s_xor_b32 s26, exec_lo, s7
	s_cbranch_execz .LBB6_5708
; %bb.5695:                             ;   in Loop: Header=BB6_3974 Depth=2
	v_and_b32_e32 v86, 0x7fffffff, v10
	v_and_b32_e32 v20, 0x80, v11
                                        ; implicit-def: $vgpr19
	s_mov_b32 s7, exec_lo
	s_delay_alu instid0(VALU_DEP_2)
	v_cmpx_gt_u64_e32 0x43e00001, v[86:87]
	s_xor_b32 s27, exec_lo, s7
	s_cbranch_execz .LBB6_5705
; %bb.5696:                             ;   in Loop: Header=BB6_3974 Depth=2
	v_mov_b32_e32 v19, 0
	s_mov_b32 s28, exec_lo
	v_cmpx_ne_u32_e32 0, v10
	s_cbranch_execz .LBB6_5704
; %bb.5697:                             ;   in Loop: Header=BB6_3974 Depth=2
	v_bfe_u32 v19, v10, 23, 8
	v_and_b32_e32 v11, 0x7fffff, v10
	s_delay_alu instid0(VALU_DEP_2) | instskip(SKIP_2) | instid1(VALU_DEP_4)
	v_cmp_gt_u32_e64 s7, 0x7a, v19
	v_sub_nc_u32_e32 v10, 0x79, v19
	v_cmp_eq_u32_e32 vcc_lo, 0, v19
	v_or_b32_e32 v14, 0x800000, v11
	s_delay_alu instid0(VALU_DEP_1) | instskip(NEXT) | instid1(VALU_DEP_1)
	v_dual_cndmask_b32 v10, 0, v10, s7 :: v_dual_cndmask_b32 v86, v14, v11, vcc_lo
	v_cndmask_b32_e64 v21, v10, 0x78, vcc_lo
	s_delay_alu instid0(VALU_DEP_1) | instskip(NEXT) | instid1(VALU_DEP_1)
	v_dual_add_nc_u32 v10, 20, v21 :: v_dual_add_nc_u32 v14, 19, v21
	v_lshlrev_b64_e64 v[10:11], v10, -1
	s_delay_alu instid0(VALU_DEP_2) | instskip(NEXT) | instid1(VALU_DEP_2)
	v_lshlrev_b64_e64 v[14:15], v14, 1
	v_bfi_b32 v11, v11, 0, 0
	s_delay_alu instid0(VALU_DEP_3) | instskip(NEXT) | instid1(VALU_DEP_1)
	v_bfi_b32 v10, v10, 0, v86
	v_cmp_eq_u64_e64 s7, v[10:11], v[14:15]
	v_lshrrev_b64 v[10:11], v21, v[86:87]
	s_delay_alu instid0(VALU_DEP_1)
	v_mov_b64_e32 v[14:15], v[10:11]
	s_and_saveexec_b32 s29, s7
; %bb.5698:                             ;   in Loop: Header=BB6_3974 Depth=2
	v_bfe_u32 v86, v10, 20, 1
	s_delay_alu instid0(VALU_DEP_1) | instskip(NEXT) | instid1(VALU_DEP_1)
	v_add_nc_u64_e32 v[14:15], v[10:11], v[86:87]
	v_add_nc_u64_e32 v[14:15], -1, v[14:15]
; %bb.5699:                             ;   in Loop: Header=BB6_3974 Depth=2
	s_or_b32 exec_lo, exec_lo, s29
	v_add_nc_u32_e32 v11, 0xffffff81, v19
	v_lshrrev_b32_e32 v15, 23, v10
	s_mov_b32 s7, exec_lo
	s_delay_alu instid0(VALU_DEP_2) | instskip(NEXT) | instid1(VALU_DEP_1)
	v_cndmask_b32_e64 v11, v11, 0xffffff82, vcc_lo
	v_add3_u32 v15, v21, v11, v15
	v_and_b32_e32 v11, 0xfffff, v14
                                        ; implicit-def: $vgpr14
	s_delay_alu instid0(VALU_DEP_1) | instskip(NEXT) | instid1(VALU_DEP_1)
	v_dual_add_nc_u32 v19, 6, v15 :: v_dual_add_nc_u32 v86, v11, v10
                                        ; implicit-def: $vgpr10_vgpr11
	v_cmpx_ne_u32_e32 0, v19
	s_xor_b32 s7, exec_lo, s7
; %bb.5700:                             ;   in Loop: Header=BB6_3974 Depth=2
	s_delay_alu instid0(VALU_DEP_2) | instskip(SKIP_1) | instid1(VALU_DEP_1)
	v_cmp_lt_u64_e32 vcc_lo, 0xffffff, v[86:87]
	v_add_nc_u32_e32 v10, 7, v15
	v_cndmask_b32_e32 v14, v19, v10, vcc_lo
	v_cndmask_b32_e64 v10, 0, 1, vcc_lo
	s_delay_alu instid0(VALU_DEP_1)
	v_lshrrev_b64 v[10:11], v10, v[86:87]
; %bb.5701:                             ;   in Loop: Header=BB6_3974 Depth=2
	s_and_not1_saveexec_b32 s7, s7
; %bb.5702:                             ;   in Loop: Header=BB6_3974 Depth=2
	v_mov_b64_e32 v[10:11], v[86:87]
	v_bfe_u32 v14, v86, 23, 1
; %bb.5703:                             ;   in Loop: Header=BB6_3974 Depth=2
	s_or_b32 exec_lo, exec_lo, s7
	s_delay_alu instid0(VALU_DEP_2) | instskip(NEXT) | instid1(VALU_DEP_2)
	v_lshrrev_b64 v[10:11], 20, v[10:11]
	v_cmp_gt_i32_e32 vcc_lo, 16, v14
	v_min_i32_e32 v15, 15, v14
	v_cmp_eq_u32_e64 s7, 0, v14
	s_delay_alu instid0(VALU_DEP_4) | instskip(NEXT) | instid1(VALU_DEP_3)
	v_cndmask_b32_e32 v11, 0, v11, vcc_lo
	v_dual_cndmask_b32 v10, 7, v10 :: v_dual_lshlrev_b32 v15, 3, v15
	s_delay_alu instid0(VALU_DEP_1) | instskip(NEXT) | instid1(VALU_DEP_2)
	v_and_b32_e32 v15, 0xf8, v15
	v_cmp_eq_u64_e32 vcc_lo, 0, v[10:11]
	s_delay_alu instid0(VALU_DEP_2)
	v_and_or_b32 v10, v10, 7, v15
	s_and_b32 s7, s7, vcc_lo
	s_delay_alu instid0(VALU_DEP_1) | instid1(SALU_CYCLE_1)
	v_cndmask_b32_e64 v10, v10, 0, s7
	s_delay_alu instid0(VALU_DEP_1)
	v_or_b32_e32 v19, v10, v20
.LBB6_5704:                             ;   in Loop: Header=BB6_3974 Depth=2
	s_or_b32 exec_lo, exec_lo, s28
                                        ; implicit-def: $vgpr20
.LBB6_5705:                             ;   in Loop: Header=BB6_3974 Depth=2
	s_and_not1_saveexec_b32 s7, s27
; %bb.5706:                             ;   in Loop: Header=BB6_3974 Depth=2
	v_or_b32_e32 v19, 0x7e, v20
; %bb.5707:                             ;   in Loop: Header=BB6_3974 Depth=2
	s_or_b32 exec_lo, exec_lo, s7
                                        ; implicit-def: $vgpr11
.LBB6_5708:                             ;   in Loop: Header=BB6_3974 Depth=2
	s_and_not1_saveexec_b32 s7, s26
; %bb.5709:                             ;   in Loop: Header=BB6_3974 Depth=2
	v_or_b32_e32 v19, 0x7f, v11
; %bb.5710:                             ;   in Loop: Header=BB6_3974 Depth=2
	s_or_b32 exec_lo, exec_lo, s7
	v_and_b32_e32 v14, 0xff, v16
	v_dual_mov_b32 v10, 0 :: v_dual_mov_b32 v11, 0
	s_mov_b32 s7, exec_lo
	s_delay_alu instid0(VALU_DEP_2)
	v_cmpx_ne_u16_e32 0, v14
	s_cbranch_execz .LBB6_5716
; %bb.5711:                             ;   in Loop: Header=BB6_3974 Depth=2
	v_bfrev_b32_e32 v11, 1
	s_mov_b32 s26, exec_lo
	v_cmpx_ne_u16_e32 0x80, v14
	s_cbranch_execz .LBB6_5715
; %bb.5712:                             ;   in Loop: Header=BB6_3974 Depth=2
	v_and_b32_e32 v14, 0x7f, v16
	v_mov_b32_e32 v11, 0x7f800001
	s_mov_b32 s27, exec_lo
	s_delay_alu instid0(VALU_DEP_2)
	v_cmpx_ne_u32_e32 0x7f, v14
	s_cbranch_execz .LBB6_5714
; %bb.5713:                             ;   in Loop: Header=BB6_3974 Depth=2
	v_dual_lshrrev_b32 v15, 3, v14 :: v_dual_bitop2_b32 v11, 7, v16 bitop3:0x40
	v_cmp_gt_u32_e32 vcc_lo, 8, v14
	s_delay_alu instid0(VALU_DEP_2) | instskip(NEXT) | instid1(VALU_DEP_1)
	v_clz_i32_u32_e32 v11, v11
	v_min_u32_e32 v11, 32, v11
	s_delay_alu instid0(VALU_DEP_1) | instskip(NEXT) | instid1(VALU_DEP_1)
	v_subrev_nc_u32_e32 v20, 28, v11
	v_dual_cndmask_b32 v14, 0, v20 :: v_dual_sub_nc_u32 v11, 29, v11
	s_delay_alu instid0(VALU_DEP_1) | instskip(NEXT) | instid1(VALU_DEP_2)
	v_cndmask_b32_e32 v11, v15, v11, vcc_lo
	v_lshlrev_b64_e32 v[14:15], v14, v[16:17]
	v_lshlrev_b32_e32 v15, 24, v16
	s_delay_alu instid0(VALU_DEP_3) | instskip(NEXT) | instid1(VALU_DEP_2)
	v_lshl_add_u32 v11, v11, 23, 0x3c000000
	v_and_b32_e32 v15, 0x80000000, v15
	s_delay_alu instid0(VALU_DEP_4) | instskip(NEXT) | instid1(VALU_DEP_1)
	v_lshlrev_b32_e32 v14, 20, v14
	v_and_b32_e32 v14, 0x700000, v14
	s_delay_alu instid0(VALU_DEP_1)
	v_or3_b32 v11, v14, v15, v11
.LBB6_5714:                             ;   in Loop: Header=BB6_3974 Depth=2
	s_or_b32 exec_lo, exec_lo, s27
.LBB6_5715:                             ;   in Loop: Header=BB6_3974 Depth=2
	s_delay_alu instid0(SALU_CYCLE_1)
	s_or_b32 exec_lo, exec_lo, s26
.LBB6_5716:                             ;   in Loop: Header=BB6_3974 Depth=2
	s_delay_alu instid0(SALU_CYCLE_1) | instskip(SKIP_2) | instid1(VALU_DEP_1)
	s_or_b32 exec_lo, exec_lo, s7
	v_and_b32_e32 v14, 0xff, v12
	s_mov_b32 s7, exec_lo
	v_cmpx_ne_u16_e32 0, v14
	s_cbranch_execz .LBB6_5722
; %bb.5717:                             ;   in Loop: Header=BB6_3974 Depth=2
	v_bfrev_b32_e32 v10, 1
	s_mov_b32 s26, exec_lo
	v_cmpx_ne_u16_e32 0x80, v14
	s_cbranch_execz .LBB6_5721
; %bb.5718:                             ;   in Loop: Header=BB6_3974 Depth=2
	v_and_b32_e32 v14, 0x7f, v12
	v_mov_b32_e32 v10, 0x7f800001
	s_mov_b32 s27, exec_lo
	s_delay_alu instid0(VALU_DEP_2)
	v_cmpx_ne_u32_e32 0x7f, v14
	s_cbranch_execz .LBB6_5720
; %bb.5719:                             ;   in Loop: Header=BB6_3974 Depth=2
	v_dual_lshrrev_b32 v15, 3, v14 :: v_dual_bitop2_b32 v10, 7, v12 bitop3:0x40
	v_cmp_gt_u32_e32 vcc_lo, 8, v14
	s_delay_alu instid0(VALU_DEP_2) | instskip(NEXT) | instid1(VALU_DEP_1)
	v_clz_i32_u32_e32 v10, v10
	v_min_u32_e32 v10, 32, v10
	s_delay_alu instid0(VALU_DEP_1) | instskip(NEXT) | instid1(VALU_DEP_1)
	v_subrev_nc_u32_e32 v20, 28, v10
	v_dual_sub_nc_u32 v10, 29, v10 :: v_dual_cndmask_b32 v14, 0, v20, vcc_lo
	s_delay_alu instid0(VALU_DEP_1) | instskip(NEXT) | instid1(VALU_DEP_2)
	v_cndmask_b32_e32 v10, v15, v10, vcc_lo
	v_lshlrev_b64_e32 v[14:15], v14, v[12:13]
	v_lshlrev_b32_e32 v15, 24, v12
	s_delay_alu instid0(VALU_DEP_3) | instskip(NEXT) | instid1(VALU_DEP_2)
	v_lshl_add_u32 v10, v10, 23, 0x3c000000
	v_and_b32_e32 v15, 0x80000000, v15
	s_delay_alu instid0(VALU_DEP_4) | instskip(NEXT) | instid1(VALU_DEP_1)
	v_lshlrev_b32_e32 v14, 20, v14
	v_and_b32_e32 v14, 0x700000, v14
	s_delay_alu instid0(VALU_DEP_1)
	v_or3_b32 v10, v14, v15, v10
.LBB6_5720:                             ;   in Loop: Header=BB6_3974 Depth=2
	s_or_b32 exec_lo, exec_lo, s27
.LBB6_5721:                             ;   in Loop: Header=BB6_3974 Depth=2
	s_delay_alu instid0(SALU_CYCLE_1)
	s_or_b32 exec_lo, exec_lo, s26
.LBB6_5722:                             ;   in Loop: Header=BB6_3974 Depth=2
	s_delay_alu instid0(SALU_CYCLE_1) | instskip(NEXT) | instid1(VALU_DEP_1)
	s_or_b32 exec_lo, exec_lo, s7
	v_mul_f32_e32 v10, v11, v10
                                        ; implicit-def: $vgpr20
	s_mov_b32 s7, exec_lo
	s_delay_alu instid0(VALU_DEP_1) | instskip(SKIP_1) | instid1(VALU_DEP_2)
	v_and_b32_e32 v86, 0x7f800000, v10
	v_lshrrev_b32_e32 v11, 24, v10
	v_cmpx_ne_u64_e32 0x7f800000, v[86:87]
	s_xor_b32 s26, exec_lo, s7
	s_cbranch_execz .LBB6_5736
; %bb.5723:                             ;   in Loop: Header=BB6_3974 Depth=2
	v_and_b32_e32 v86, 0x7fffffff, v10
	v_and_b32_e32 v21, 0x80, v11
                                        ; implicit-def: $vgpr20
	s_mov_b32 s7, exec_lo
	s_delay_alu instid0(VALU_DEP_2)
	v_cmpx_gt_u64_e32 0x43e00001, v[86:87]
	s_xor_b32 s27, exec_lo, s7
	s_cbranch_execz .LBB6_5733
; %bb.5724:                             ;   in Loop: Header=BB6_3974 Depth=2
	v_mov_b32_e32 v20, 0
	s_mov_b32 s28, exec_lo
	v_cmpx_ne_u32_e32 0, v10
	s_cbranch_execz .LBB6_5732
; %bb.5725:                             ;   in Loop: Header=BB6_3974 Depth=2
	v_bfe_u32 v20, v10, 23, 8
	v_and_b32_e32 v11, 0x7fffff, v10
	s_delay_alu instid0(VALU_DEP_2) | instskip(SKIP_2) | instid1(VALU_DEP_4)
	v_cmp_gt_u32_e64 s7, 0x7a, v20
	v_sub_nc_u32_e32 v10, 0x79, v20
	v_cmp_eq_u32_e32 vcc_lo, 0, v20
	v_or_b32_e32 v14, 0x800000, v11
	s_delay_alu instid0(VALU_DEP_1) | instskip(NEXT) | instid1(VALU_DEP_1)
	v_dual_cndmask_b32 v10, 0, v10, s7 :: v_dual_cndmask_b32 v86, v14, v11, vcc_lo
	v_cndmask_b32_e64 v31, v10, 0x78, vcc_lo
	s_delay_alu instid0(VALU_DEP_1) | instskip(NEXT) | instid1(VALU_DEP_1)
	v_dual_add_nc_u32 v10, 20, v31 :: v_dual_add_nc_u32 v14, 19, v31
	v_lshlrev_b64_e64 v[10:11], v10, -1
	s_delay_alu instid0(VALU_DEP_2) | instskip(NEXT) | instid1(VALU_DEP_2)
	v_lshlrev_b64_e64 v[14:15], v14, 1
	v_bfi_b32 v11, v11, 0, 0
	s_delay_alu instid0(VALU_DEP_3) | instskip(NEXT) | instid1(VALU_DEP_1)
	v_bfi_b32 v10, v10, 0, v86
	v_cmp_eq_u64_e64 s7, v[10:11], v[14:15]
	v_lshrrev_b64 v[10:11], v31, v[86:87]
	s_delay_alu instid0(VALU_DEP_1)
	v_mov_b64_e32 v[14:15], v[10:11]
	s_and_saveexec_b32 s29, s7
; %bb.5726:                             ;   in Loop: Header=BB6_3974 Depth=2
	v_bfe_u32 v86, v10, 20, 1
	s_delay_alu instid0(VALU_DEP_1) | instskip(NEXT) | instid1(VALU_DEP_1)
	v_add_nc_u64_e32 v[14:15], v[10:11], v[86:87]
	v_add_nc_u64_e32 v[14:15], -1, v[14:15]
; %bb.5727:                             ;   in Loop: Header=BB6_3974 Depth=2
	s_or_b32 exec_lo, exec_lo, s29
	v_add_nc_u32_e32 v11, 0xffffff81, v20
	v_lshrrev_b32_e32 v15, 23, v10
	s_mov_b32 s7, exec_lo
	s_delay_alu instid0(VALU_DEP_2) | instskip(NEXT) | instid1(VALU_DEP_1)
	v_cndmask_b32_e64 v11, v11, 0xffffff82, vcc_lo
	v_add3_u32 v15, v31, v11, v15
	v_and_b32_e32 v11, 0xfffff, v14
                                        ; implicit-def: $vgpr14
	s_delay_alu instid0(VALU_DEP_1) | instskip(NEXT) | instid1(VALU_DEP_1)
	v_dual_add_nc_u32 v20, 6, v15 :: v_dual_add_nc_u32 v86, v11, v10
                                        ; implicit-def: $vgpr10_vgpr11
	v_cmpx_ne_u32_e32 0, v20
	s_xor_b32 s7, exec_lo, s7
; %bb.5728:                             ;   in Loop: Header=BB6_3974 Depth=2
	s_delay_alu instid0(VALU_DEP_2) | instskip(SKIP_1) | instid1(VALU_DEP_1)
	v_cmp_lt_u64_e32 vcc_lo, 0xffffff, v[86:87]
	v_add_nc_u32_e32 v10, 7, v15
	v_cndmask_b32_e32 v14, v20, v10, vcc_lo
	v_cndmask_b32_e64 v10, 0, 1, vcc_lo
	s_delay_alu instid0(VALU_DEP_1)
	v_lshrrev_b64 v[10:11], v10, v[86:87]
; %bb.5729:                             ;   in Loop: Header=BB6_3974 Depth=2
	s_and_not1_saveexec_b32 s7, s7
; %bb.5730:                             ;   in Loop: Header=BB6_3974 Depth=2
	v_mov_b64_e32 v[10:11], v[86:87]
	v_bfe_u32 v14, v86, 23, 1
; %bb.5731:                             ;   in Loop: Header=BB6_3974 Depth=2
	s_or_b32 exec_lo, exec_lo, s7
	s_delay_alu instid0(VALU_DEP_2) | instskip(NEXT) | instid1(VALU_DEP_2)
	v_lshrrev_b64 v[10:11], 20, v[10:11]
	v_cmp_gt_i32_e32 vcc_lo, 16, v14
	v_min_i32_e32 v15, 15, v14
	v_cmp_eq_u32_e64 s7, 0, v14
	s_delay_alu instid0(VALU_DEP_4) | instskip(NEXT) | instid1(VALU_DEP_3)
	v_cndmask_b32_e32 v11, 0, v11, vcc_lo
	v_dual_cndmask_b32 v10, 7, v10 :: v_dual_lshlrev_b32 v15, 3, v15
	s_delay_alu instid0(VALU_DEP_1) | instskip(NEXT) | instid1(VALU_DEP_2)
	v_and_b32_e32 v15, 0xf8, v15
	v_cmp_eq_u64_e32 vcc_lo, 0, v[10:11]
	s_delay_alu instid0(VALU_DEP_2)
	v_and_or_b32 v10, v10, 7, v15
	s_and_b32 s7, s7, vcc_lo
	s_delay_alu instid0(VALU_DEP_1) | instid1(SALU_CYCLE_1)
	v_cndmask_b32_e64 v10, v10, 0, s7
	s_delay_alu instid0(VALU_DEP_1)
	v_or_b32_e32 v20, v10, v21
.LBB6_5732:                             ;   in Loop: Header=BB6_3974 Depth=2
	s_or_b32 exec_lo, exec_lo, s28
                                        ; implicit-def: $vgpr21
.LBB6_5733:                             ;   in Loop: Header=BB6_3974 Depth=2
	s_and_not1_saveexec_b32 s7, s27
; %bb.5734:                             ;   in Loop: Header=BB6_3974 Depth=2
	v_or_b32_e32 v20, 0x7e, v21
; %bb.5735:                             ;   in Loop: Header=BB6_3974 Depth=2
	s_or_b32 exec_lo, exec_lo, s7
                                        ; implicit-def: $vgpr11
.LBB6_5736:                             ;   in Loop: Header=BB6_3974 Depth=2
	s_and_not1_saveexec_b32 s7, s26
; %bb.5737:                             ;   in Loop: Header=BB6_3974 Depth=2
	v_or_b32_e32 v20, 0x7f, v11
; %bb.5738:                             ;   in Loop: Header=BB6_3974 Depth=2
	s_or_b32 exec_lo, exec_lo, s7
	v_lshrrev_b16 v14, 8, v16
	v_dual_mov_b32 v10, 0 :: v_dual_mov_b32 v11, 0
	s_mov_b32 s7, exec_lo
	s_delay_alu instid0(VALU_DEP_2)
	v_cmpx_ne_u16_e32 0, v14
	s_cbranch_execz .LBB6_5746
; %bb.5739:                             ;   in Loop: Header=BB6_3974 Depth=2
	v_bfrev_b32_e32 v11, 1
	s_mov_b32 s26, exec_lo
	v_cmpx_ne_u16_e32 0x80, v14
	s_cbranch_execz .LBB6_5745
; %bb.5740:                             ;   in Loop: Header=BB6_3974 Depth=2
	v_and_b32_e32 v15, 0xffff, v14
	v_mov_b32_e32 v11, 0x7f800001
	s_mov_b32 s27, exec_lo
	s_delay_alu instid0(VALU_DEP_2) | instskip(NEXT) | instid1(VALU_DEP_1)
	v_and_b32_e32 v14, 0x7f, v15
	v_cmpx_ne_u32_e32 0x7f, v14
	s_cbranch_execz .LBB6_5744
; %bb.5741:                             ;   in Loop: Header=BB6_3974 Depth=2
	v_dual_lshrrev_b32 v11, 3, v14 :: v_dual_bitop2_b32 v86, 7, v15 bitop3:0x40
	s_mov_b32 s28, exec_lo
	v_cmpx_gt_u32_e32 8, v14
; %bb.5742:                             ;   in Loop: Header=BB6_3974 Depth=2
	s_delay_alu instid0(VALU_DEP_2) | instskip(NEXT) | instid1(VALU_DEP_1)
	v_clz_i32_u32_e32 v11, v86
	v_min_u32_e32 v11, 32, v11
	s_delay_alu instid0(VALU_DEP_1) | instskip(NEXT) | instid1(VALU_DEP_1)
	v_subrev_nc_u32_e32 v14, 28, v11
	v_lshlrev_b64_e32 v[14:15], v14, v[86:87]
	s_delay_alu instid0(VALU_DEP_1)
	v_dual_sub_nc_u32 v11, 29, v11 :: v_dual_bitop2_b32 v86, 7, v14 bitop3:0x40
; %bb.5743:                             ;   in Loop: Header=BB6_3974 Depth=2
	s_or_b32 exec_lo, exec_lo, s28
	s_delay_alu instid0(VALU_DEP_1) | instskip(NEXT) | instid1(VALU_DEP_2)
	v_dual_lshlrev_b32 v14, 16, v16 :: v_dual_lshlrev_b32 v15, 20, v86
	v_lshl_add_u32 v11, v11, 23, 0x3c000000
	s_delay_alu instid0(VALU_DEP_2) | instskip(NEXT) | instid1(VALU_DEP_1)
	v_and_b32_e32 v14, 0x80000000, v14
	v_or3_b32 v11, v15, v14, v11
.LBB6_5744:                             ;   in Loop: Header=BB6_3974 Depth=2
	s_or_b32 exec_lo, exec_lo, s27
.LBB6_5745:                             ;   in Loop: Header=BB6_3974 Depth=2
	s_delay_alu instid0(SALU_CYCLE_1)
	s_or_b32 exec_lo, exec_lo, s26
.LBB6_5746:                             ;   in Loop: Header=BB6_3974 Depth=2
	s_delay_alu instid0(SALU_CYCLE_1) | instskip(SKIP_2) | instid1(VALU_DEP_1)
	s_or_b32 exec_lo, exec_lo, s7
	v_lshrrev_b16 v14, 8, v12
	s_mov_b32 s7, exec_lo
	v_cmpx_ne_u16_e32 0, v14
	s_cbranch_execz .LBB6_5754
; %bb.5747:                             ;   in Loop: Header=BB6_3974 Depth=2
	v_bfrev_b32_e32 v10, 1
	s_mov_b32 s26, exec_lo
	v_cmpx_ne_u16_e32 0x80, v14
	s_cbranch_execz .LBB6_5753
; %bb.5748:                             ;   in Loop: Header=BB6_3974 Depth=2
	v_and_b32_e32 v15, 0xffff, v14
	v_mov_b32_e32 v10, 0x7f800001
	s_mov_b32 s27, exec_lo
	s_delay_alu instid0(VALU_DEP_2) | instskip(NEXT) | instid1(VALU_DEP_1)
	v_and_b32_e32 v14, 0x7f, v15
	v_cmpx_ne_u32_e32 0x7f, v14
	s_cbranch_execz .LBB6_5752
; %bb.5749:                             ;   in Loop: Header=BB6_3974 Depth=2
	v_dual_lshrrev_b32 v10, 3, v14 :: v_dual_bitop2_b32 v86, 7, v15 bitop3:0x40
	s_mov_b32 s28, exec_lo
	v_cmpx_gt_u32_e32 8, v14
; %bb.5750:                             ;   in Loop: Header=BB6_3974 Depth=2
	s_delay_alu instid0(VALU_DEP_2) | instskip(NEXT) | instid1(VALU_DEP_1)
	v_clz_i32_u32_e32 v10, v86
	v_min_u32_e32 v10, 32, v10
	s_delay_alu instid0(VALU_DEP_1) | instskip(SKIP_1) | instid1(VALU_DEP_2)
	v_subrev_nc_u32_e32 v14, 28, v10
	v_sub_nc_u32_e32 v10, 29, v10
	v_lshlrev_b64_e32 v[14:15], v14, v[86:87]
	s_delay_alu instid0(VALU_DEP_1)
	v_and_b32_e32 v86, 7, v14
; %bb.5751:                             ;   in Loop: Header=BB6_3974 Depth=2
	s_or_b32 exec_lo, exec_lo, s28
	s_delay_alu instid0(VALU_DEP_1) | instskip(SKIP_1) | instid1(VALU_DEP_2)
	v_dual_lshlrev_b32 v14, 16, v12 :: v_dual_lshlrev_b32 v15, 20, v86
	v_lshl_add_u32 v10, v10, 23, 0x3c000000
	v_and_b32_e32 v14, 0x80000000, v14
	s_delay_alu instid0(VALU_DEP_1)
	v_or3_b32 v10, v15, v14, v10
.LBB6_5752:                             ;   in Loop: Header=BB6_3974 Depth=2
	s_or_b32 exec_lo, exec_lo, s27
.LBB6_5753:                             ;   in Loop: Header=BB6_3974 Depth=2
	s_delay_alu instid0(SALU_CYCLE_1)
	s_or_b32 exec_lo, exec_lo, s26
.LBB6_5754:                             ;   in Loop: Header=BB6_3974 Depth=2
	s_delay_alu instid0(SALU_CYCLE_1) | instskip(NEXT) | instid1(VALU_DEP_1)
	s_or_b32 exec_lo, exec_lo, s7
	v_mul_f32_e32 v10, v11, v10
                                        ; implicit-def: $vgpr21
	s_mov_b32 s7, exec_lo
	s_delay_alu instid0(VALU_DEP_1) | instskip(SKIP_1) | instid1(VALU_DEP_2)
	v_and_b32_e32 v86, 0x7f800000, v10
	v_lshrrev_b32_e32 v11, 24, v10
	v_cmpx_ne_u64_e32 0x7f800000, v[86:87]
	s_xor_b32 s26, exec_lo, s7
	s_cbranch_execz .LBB6_5768
; %bb.5755:                             ;   in Loop: Header=BB6_3974 Depth=2
	v_and_b32_e32 v86, 0x7fffffff, v10
	v_and_b32_e32 v31, 0x80, v11
                                        ; implicit-def: $vgpr21
	s_mov_b32 s7, exec_lo
	s_delay_alu instid0(VALU_DEP_2)
	v_cmpx_gt_u64_e32 0x43e00001, v[86:87]
	s_xor_b32 s27, exec_lo, s7
	s_cbranch_execz .LBB6_5765
; %bb.5756:                             ;   in Loop: Header=BB6_3974 Depth=2
	v_mov_b32_e32 v21, 0
	s_mov_b32 s28, exec_lo
	v_cmpx_ne_u32_e32 0, v10
	s_cbranch_execz .LBB6_5764
; %bb.5757:                             ;   in Loop: Header=BB6_3974 Depth=2
	v_bfe_u32 v21, v10, 23, 8
	v_and_b32_e32 v11, 0x7fffff, v10
	s_delay_alu instid0(VALU_DEP_2) | instskip(SKIP_2) | instid1(VALU_DEP_4)
	v_cmp_gt_u32_e64 s7, 0x7a, v21
	v_sub_nc_u32_e32 v10, 0x79, v21
	v_cmp_eq_u32_e32 vcc_lo, 0, v21
	v_or_b32_e32 v14, 0x800000, v11
	s_delay_alu instid0(VALU_DEP_1) | instskip(NEXT) | instid1(VALU_DEP_1)
	v_dual_cndmask_b32 v10, 0, v10, s7 :: v_dual_cndmask_b32 v86, v14, v11, vcc_lo
	v_cndmask_b32_e64 v54, v10, 0x78, vcc_lo
	s_delay_alu instid0(VALU_DEP_1) | instskip(NEXT) | instid1(VALU_DEP_1)
	v_dual_add_nc_u32 v10, 20, v54 :: v_dual_add_nc_u32 v14, 19, v54
	v_lshlrev_b64_e64 v[10:11], v10, -1
	s_delay_alu instid0(VALU_DEP_2) | instskip(NEXT) | instid1(VALU_DEP_2)
	v_lshlrev_b64_e64 v[14:15], v14, 1
	v_bfi_b32 v11, v11, 0, 0
	s_delay_alu instid0(VALU_DEP_3) | instskip(NEXT) | instid1(VALU_DEP_1)
	v_bfi_b32 v10, v10, 0, v86
	v_cmp_eq_u64_e64 s7, v[10:11], v[14:15]
	v_lshrrev_b64 v[10:11], v54, v[86:87]
	s_delay_alu instid0(VALU_DEP_1)
	v_mov_b64_e32 v[14:15], v[10:11]
	s_and_saveexec_b32 s29, s7
; %bb.5758:                             ;   in Loop: Header=BB6_3974 Depth=2
	v_bfe_u32 v86, v10, 20, 1
	s_delay_alu instid0(VALU_DEP_1) | instskip(NEXT) | instid1(VALU_DEP_1)
	v_add_nc_u64_e32 v[14:15], v[10:11], v[86:87]
	v_add_nc_u64_e32 v[14:15], -1, v[14:15]
; %bb.5759:                             ;   in Loop: Header=BB6_3974 Depth=2
	s_or_b32 exec_lo, exec_lo, s29
	v_add_nc_u32_e32 v11, 0xffffff81, v21
	v_lshrrev_b32_e32 v15, 23, v10
	s_mov_b32 s7, exec_lo
	s_delay_alu instid0(VALU_DEP_2) | instskip(NEXT) | instid1(VALU_DEP_1)
	v_cndmask_b32_e64 v11, v11, 0xffffff82, vcc_lo
	v_add3_u32 v21, v54, v11, v15
	v_and_b32_e32 v11, 0xfffff, v14
                                        ; implicit-def: $vgpr14
	s_delay_alu instid0(VALU_DEP_1) | instskip(NEXT) | instid1(VALU_DEP_1)
	v_dual_add_nc_u32 v15, 6, v21 :: v_dual_add_nc_u32 v86, v11, v10
                                        ; implicit-def: $vgpr10_vgpr11
	v_cmpx_ne_u32_e32 0, v15
	s_xor_b32 s7, exec_lo, s7
; %bb.5760:                             ;   in Loop: Header=BB6_3974 Depth=2
	s_delay_alu instid0(VALU_DEP_2) | instskip(SKIP_1) | instid1(VALU_DEP_1)
	v_cmp_lt_u64_e32 vcc_lo, 0xffffff, v[86:87]
	v_add_nc_u32_e32 v10, 7, v21
	v_cndmask_b32_e32 v14, v15, v10, vcc_lo
	v_cndmask_b32_e64 v10, 0, 1, vcc_lo
	s_delay_alu instid0(VALU_DEP_1)
	v_lshrrev_b64 v[10:11], v10, v[86:87]
; %bb.5761:                             ;   in Loop: Header=BB6_3974 Depth=2
	s_and_not1_saveexec_b32 s7, s7
; %bb.5762:                             ;   in Loop: Header=BB6_3974 Depth=2
	v_mov_b64_e32 v[10:11], v[86:87]
	v_bfe_u32 v14, v86, 23, 1
; %bb.5763:                             ;   in Loop: Header=BB6_3974 Depth=2
	s_or_b32 exec_lo, exec_lo, s7
	s_delay_alu instid0(VALU_DEP_2) | instskip(NEXT) | instid1(VALU_DEP_2)
	v_lshrrev_b64 v[10:11], 20, v[10:11]
	v_cmp_gt_i32_e32 vcc_lo, 16, v14
	v_min_i32_e32 v15, 15, v14
	v_cmp_eq_u32_e64 s7, 0, v14
	s_delay_alu instid0(VALU_DEP_4) | instskip(NEXT) | instid1(VALU_DEP_3)
	v_cndmask_b32_e32 v11, 0, v11, vcc_lo
	v_dual_cndmask_b32 v10, 7, v10 :: v_dual_lshlrev_b32 v15, 3, v15
	s_delay_alu instid0(VALU_DEP_1) | instskip(NEXT) | instid1(VALU_DEP_2)
	v_and_b32_e32 v15, 0xf8, v15
	v_cmp_eq_u64_e32 vcc_lo, 0, v[10:11]
	s_delay_alu instid0(VALU_DEP_2)
	v_and_or_b32 v10, v10, 7, v15
	s_and_b32 s7, s7, vcc_lo
	s_delay_alu instid0(VALU_DEP_1) | instid1(SALU_CYCLE_1)
	v_cndmask_b32_e64 v10, v10, 0, s7
	s_delay_alu instid0(VALU_DEP_1)
	v_or_b32_e32 v21, v10, v31
.LBB6_5764:                             ;   in Loop: Header=BB6_3974 Depth=2
	s_or_b32 exec_lo, exec_lo, s28
                                        ; implicit-def: $vgpr31
.LBB6_5765:                             ;   in Loop: Header=BB6_3974 Depth=2
	s_and_not1_saveexec_b32 s7, s27
; %bb.5766:                             ;   in Loop: Header=BB6_3974 Depth=2
	v_or_b32_e32 v21, 0x7e, v31
; %bb.5767:                             ;   in Loop: Header=BB6_3974 Depth=2
	s_or_b32 exec_lo, exec_lo, s7
                                        ; implicit-def: $vgpr11
.LBB6_5768:                             ;   in Loop: Header=BB6_3974 Depth=2
	s_and_not1_saveexec_b32 s7, s26
; %bb.5769:                             ;   in Loop: Header=BB6_3974 Depth=2
	v_or_b32_e32 v21, 0x7f, v11
; %bb.5770:                             ;   in Loop: Header=BB6_3974 Depth=2
	s_or_b32 exec_lo, exec_lo, s7
	v_dual_lshrrev_b32 v14, 16, v16 :: v_dual_mov_b32 v10, 0
	v_mov_b32_e32 v11, 0
	s_mov_b32 s7, exec_lo
	s_delay_alu instid0(VALU_DEP_2) | instskip(NEXT) | instid1(VALU_DEP_1)
	v_and_b32_e32 v15, 0xff, v14
	v_cmpx_ne_u16_e32 0, v15
	s_cbranch_execz .LBB6_5778
; %bb.5771:                             ;   in Loop: Header=BB6_3974 Depth=2
	v_bfrev_b32_e32 v11, 1
	s_mov_b32 s26, exec_lo
	v_cmpx_ne_u16_e32 0x80, v15
	s_cbranch_execz .LBB6_5777
; %bb.5772:                             ;   in Loop: Header=BB6_3974 Depth=2
	v_bfe_u32 v15, v16, 16, 7
	v_mov_b32_e32 v11, 0x7f800001
	s_mov_b32 s27, exec_lo
	s_delay_alu instid0(VALU_DEP_2)
	v_cmpx_ne_u32_e32 0x7f, v15
	s_cbranch_execz .LBB6_5776
; %bb.5773:                             ;   in Loop: Header=BB6_3974 Depth=2
	v_dual_lshrrev_b32 v11, 3, v15 :: v_dual_bitop2_b32 v86, 7, v14 bitop3:0x40
	s_mov_b32 s28, exec_lo
	v_cmpx_gt_u32_e32 8, v15
; %bb.5774:                             ;   in Loop: Header=BB6_3974 Depth=2
	s_delay_alu instid0(VALU_DEP_2) | instskip(NEXT) | instid1(VALU_DEP_1)
	v_clz_i32_u32_e32 v11, v86
	v_min_u32_e32 v11, 32, v11
	s_delay_alu instid0(VALU_DEP_1) | instskip(NEXT) | instid1(VALU_DEP_1)
	v_subrev_nc_u32_e32 v15, 28, v11
	v_lshlrev_b64_e32 v[54:55], v15, v[86:87]
	s_delay_alu instid0(VALU_DEP_1)
	v_dual_sub_nc_u32 v11, 29, v11 :: v_dual_bitop2_b32 v86, 7, v54 bitop3:0x40
; %bb.5775:                             ;   in Loop: Header=BB6_3974 Depth=2
	s_or_b32 exec_lo, exec_lo, s28
	v_lshlrev_b32_e32 v14, 24, v14
	s_delay_alu instid0(VALU_DEP_2) | instskip(NEXT) | instid1(VALU_DEP_3)
	v_lshlrev_b32_e32 v15, 20, v86
	v_lshl_add_u32 v11, v11, 23, 0x3c000000
	s_delay_alu instid0(VALU_DEP_3) | instskip(NEXT) | instid1(VALU_DEP_1)
	v_and_b32_e32 v14, 0x80000000, v14
	v_or3_b32 v11, v15, v14, v11
.LBB6_5776:                             ;   in Loop: Header=BB6_3974 Depth=2
	s_or_b32 exec_lo, exec_lo, s27
.LBB6_5777:                             ;   in Loop: Header=BB6_3974 Depth=2
	s_delay_alu instid0(SALU_CYCLE_1)
	s_or_b32 exec_lo, exec_lo, s26
.LBB6_5778:                             ;   in Loop: Header=BB6_3974 Depth=2
	s_delay_alu instid0(SALU_CYCLE_1) | instskip(SKIP_2) | instid1(VALU_DEP_1)
	s_or_b32 exec_lo, exec_lo, s7
	v_lshrrev_b32_e32 v14, 16, v12
	s_mov_b32 s7, exec_lo
	v_and_b32_e32 v15, 0xff, v14
	s_delay_alu instid0(VALU_DEP_1)
	v_cmpx_ne_u16_e32 0, v15
	s_cbranch_execz .LBB6_5786
; %bb.5779:                             ;   in Loop: Header=BB6_3974 Depth=2
	v_bfrev_b32_e32 v10, 1
	s_mov_b32 s26, exec_lo
	v_cmpx_ne_u16_e32 0x80, v15
	s_cbranch_execz .LBB6_5785
; %bb.5780:                             ;   in Loop: Header=BB6_3974 Depth=2
	v_bfe_u32 v15, v12, 16, 7
	v_mov_b32_e32 v10, 0x7f800001
	s_mov_b32 s27, exec_lo
	s_delay_alu instid0(VALU_DEP_2)
	v_cmpx_ne_u32_e32 0x7f, v15
	s_cbranch_execz .LBB6_5784
; %bb.5781:                             ;   in Loop: Header=BB6_3974 Depth=2
	v_dual_lshrrev_b32 v10, 3, v15 :: v_dual_bitop2_b32 v86, 7, v14 bitop3:0x40
	s_mov_b32 s28, exec_lo
	v_cmpx_gt_u32_e32 8, v15
; %bb.5782:                             ;   in Loop: Header=BB6_3974 Depth=2
	s_delay_alu instid0(VALU_DEP_2) | instskip(NEXT) | instid1(VALU_DEP_1)
	v_clz_i32_u32_e32 v10, v86
	v_min_u32_e32 v10, 32, v10
	s_delay_alu instid0(VALU_DEP_1) | instskip(SKIP_1) | instid1(VALU_DEP_2)
	v_subrev_nc_u32_e32 v14, 28, v10
	v_sub_nc_u32_e32 v10, 29, v10
	v_lshlrev_b64_e32 v[14:15], v14, v[86:87]
	s_delay_alu instid0(VALU_DEP_1)
	v_and_b32_e32 v86, 7, v14
; %bb.5783:                             ;   in Loop: Header=BB6_3974 Depth=2
	s_or_b32 exec_lo, exec_lo, s28
	s_delay_alu instid0(VALU_DEP_1) | instskip(SKIP_1) | instid1(VALU_DEP_2)
	v_dual_lshlrev_b32 v14, 8, v12 :: v_dual_lshlrev_b32 v15, 20, v86
	v_lshl_add_u32 v10, v10, 23, 0x3c000000
	v_and_b32_e32 v14, 0x80000000, v14
	s_delay_alu instid0(VALU_DEP_1)
	v_or3_b32 v10, v15, v14, v10
.LBB6_5784:                             ;   in Loop: Header=BB6_3974 Depth=2
	s_or_b32 exec_lo, exec_lo, s27
.LBB6_5785:                             ;   in Loop: Header=BB6_3974 Depth=2
	s_delay_alu instid0(SALU_CYCLE_1)
	s_or_b32 exec_lo, exec_lo, s26
.LBB6_5786:                             ;   in Loop: Header=BB6_3974 Depth=2
	s_delay_alu instid0(SALU_CYCLE_1) | instskip(NEXT) | instid1(VALU_DEP_1)
	s_or_b32 exec_lo, exec_lo, s7
	v_mul_f32_e32 v10, v11, v10
                                        ; implicit-def: $vgpr72
	s_mov_b32 s7, exec_lo
	s_delay_alu instid0(VALU_DEP_1) | instskip(SKIP_1) | instid1(VALU_DEP_2)
	v_and_b32_e32 v86, 0x7f800000, v10
	v_lshrrev_b32_e32 v11, 24, v10
	v_cmpx_ne_u64_e32 0x7f800000, v[86:87]
	s_xor_b32 s26, exec_lo, s7
	s_cbranch_execz .LBB6_5800
; %bb.5787:                             ;   in Loop: Header=BB6_3974 Depth=2
	v_and_b32_e32 v86, 0x7fffffff, v10
	v_and_b32_e32 v31, 0x80, v11
                                        ; implicit-def: $vgpr72
	s_mov_b32 s7, exec_lo
	s_delay_alu instid0(VALU_DEP_2)
	v_cmpx_gt_u64_e32 0x43e00001, v[86:87]
	s_xor_b32 s27, exec_lo, s7
	s_cbranch_execz .LBB6_5797
; %bb.5788:                             ;   in Loop: Header=BB6_3974 Depth=2
	v_mov_b32_e32 v72, 0
	s_mov_b32 s28, exec_lo
	v_cmpx_ne_u32_e32 0, v10
	s_cbranch_execz .LBB6_5796
; %bb.5789:                             ;   in Loop: Header=BB6_3974 Depth=2
	v_bfe_u32 v54, v10, 23, 8
	v_and_b32_e32 v11, 0x7fffff, v10
	s_delay_alu instid0(VALU_DEP_2) | instskip(SKIP_2) | instid1(VALU_DEP_4)
	v_cmp_gt_u32_e64 s7, 0x7a, v54
	v_sub_nc_u32_e32 v10, 0x79, v54
	v_cmp_eq_u32_e32 vcc_lo, 0, v54
	v_or_b32_e32 v14, 0x800000, v11
	s_delay_alu instid0(VALU_DEP_1) | instskip(NEXT) | instid1(VALU_DEP_1)
	v_dual_cndmask_b32 v10, 0, v10, s7 :: v_dual_cndmask_b32 v86, v14, v11, vcc_lo
	v_cndmask_b32_e64 v55, v10, 0x78, vcc_lo
	s_delay_alu instid0(VALU_DEP_1) | instskip(NEXT) | instid1(VALU_DEP_1)
	v_dual_add_nc_u32 v10, 20, v55 :: v_dual_add_nc_u32 v14, 19, v55
	v_lshlrev_b64_e64 v[10:11], v10, -1
	s_delay_alu instid0(VALU_DEP_2) | instskip(NEXT) | instid1(VALU_DEP_2)
	v_lshlrev_b64_e64 v[14:15], v14, 1
	v_bfi_b32 v11, v11, 0, 0
	s_delay_alu instid0(VALU_DEP_3) | instskip(NEXT) | instid1(VALU_DEP_1)
	v_bfi_b32 v10, v10, 0, v86
	v_cmp_eq_u64_e64 s7, v[10:11], v[14:15]
	v_lshrrev_b64 v[10:11], v55, v[86:87]
	s_delay_alu instid0(VALU_DEP_1)
	v_mov_b64_e32 v[14:15], v[10:11]
	s_and_saveexec_b32 s29, s7
; %bb.5790:                             ;   in Loop: Header=BB6_3974 Depth=2
	v_bfe_u32 v86, v10, 20, 1
	s_delay_alu instid0(VALU_DEP_1) | instskip(NEXT) | instid1(VALU_DEP_1)
	v_add_nc_u64_e32 v[14:15], v[10:11], v[86:87]
	v_add_nc_u64_e32 v[14:15], -1, v[14:15]
; %bb.5791:                             ;   in Loop: Header=BB6_3974 Depth=2
	s_or_b32 exec_lo, exec_lo, s29
	v_add_nc_u32_e32 v11, 0xffffff81, v54
	v_lshrrev_b32_e32 v15, 23, v10
	s_mov_b32 s7, exec_lo
	s_delay_alu instid0(VALU_DEP_2) | instskip(NEXT) | instid1(VALU_DEP_1)
	v_cndmask_b32_e64 v11, v11, 0xffffff82, vcc_lo
	v_add3_u32 v54, v55, v11, v15
	v_and_b32_e32 v11, 0xfffff, v14
                                        ; implicit-def: $vgpr14
	s_delay_alu instid0(VALU_DEP_2) | instskip(NEXT) | instid1(VALU_DEP_2)
	v_add_nc_u32_e32 v15, 6, v54
	v_add_nc_u32_e32 v86, v11, v10
                                        ; implicit-def: $vgpr10_vgpr11
	s_delay_alu instid0(VALU_DEP_2)
	v_cmpx_ne_u32_e32 0, v15
	s_xor_b32 s7, exec_lo, s7
; %bb.5792:                             ;   in Loop: Header=BB6_3974 Depth=2
	s_delay_alu instid0(VALU_DEP_2) | instskip(SKIP_1) | instid1(VALU_DEP_1)
	v_cmp_lt_u64_e32 vcc_lo, 0xffffff, v[86:87]
	v_add_nc_u32_e32 v10, 7, v54
	v_cndmask_b32_e32 v14, v15, v10, vcc_lo
	v_cndmask_b32_e64 v10, 0, 1, vcc_lo
	s_delay_alu instid0(VALU_DEP_1)
	v_lshrrev_b64 v[10:11], v10, v[86:87]
; %bb.5793:                             ;   in Loop: Header=BB6_3974 Depth=2
	s_and_not1_saveexec_b32 s7, s7
; %bb.5794:                             ;   in Loop: Header=BB6_3974 Depth=2
	v_mov_b64_e32 v[10:11], v[86:87]
	v_bfe_u32 v14, v86, 23, 1
; %bb.5795:                             ;   in Loop: Header=BB6_3974 Depth=2
	s_or_b32 exec_lo, exec_lo, s7
	s_delay_alu instid0(VALU_DEP_2) | instskip(NEXT) | instid1(VALU_DEP_2)
	v_lshrrev_b64 v[10:11], 20, v[10:11]
	v_cmp_gt_i32_e32 vcc_lo, 16, v14
	v_min_i32_e32 v15, 15, v14
	v_cmp_eq_u32_e64 s7, 0, v14
	s_delay_alu instid0(VALU_DEP_4) | instskip(NEXT) | instid1(VALU_DEP_3)
	v_cndmask_b32_e32 v11, 0, v11, vcc_lo
	v_dual_cndmask_b32 v10, 7, v10 :: v_dual_lshlrev_b32 v15, 3, v15
	s_delay_alu instid0(VALU_DEP_1) | instskip(NEXT) | instid1(VALU_DEP_2)
	v_and_b32_e32 v15, 0xf8, v15
	v_cmp_eq_u64_e32 vcc_lo, 0, v[10:11]
	s_delay_alu instid0(VALU_DEP_2)
	v_and_or_b32 v10, v10, 7, v15
	s_and_b32 s7, s7, vcc_lo
	s_delay_alu instid0(VALU_DEP_1) | instid1(SALU_CYCLE_1)
	v_cndmask_b32_e64 v10, v10, 0, s7
	s_delay_alu instid0(VALU_DEP_1)
	v_or_b32_e32 v72, v10, v31
.LBB6_5796:                             ;   in Loop: Header=BB6_3974 Depth=2
	s_or_b32 exec_lo, exec_lo, s28
                                        ; implicit-def: $vgpr31
.LBB6_5797:                             ;   in Loop: Header=BB6_3974 Depth=2
	s_and_not1_saveexec_b32 s7, s27
; %bb.5798:                             ;   in Loop: Header=BB6_3974 Depth=2
	v_or_b32_e32 v72, 0x7e, v31
; %bb.5799:                             ;   in Loop: Header=BB6_3974 Depth=2
	s_or_b32 exec_lo, exec_lo, s7
                                        ; implicit-def: $vgpr11
.LBB6_5800:                             ;   in Loop: Header=BB6_3974 Depth=2
	s_and_not1_saveexec_b32 s7, s26
; %bb.5801:                             ;   in Loop: Header=BB6_3974 Depth=2
	v_or_b32_e32 v72, 0x7f, v11
; %bb.5802:                             ;   in Loop: Header=BB6_3974 Depth=2
	s_or_b32 exec_lo, exec_lo, s7
	v_dual_mov_b32 v10, 0 :: v_dual_mov_b32 v11, 0
	s_mov_b32 s7, exec_lo
	v_cmpx_lt_u32_e32 0xffffff, v16
	s_cbranch_execz .LBB6_5810
; %bb.5803:                             ;   in Loop: Header=BB6_3974 Depth=2
	v_lshrrev_b32_e32 v14, 24, v16
	v_bfrev_b32_e32 v11, 1
	s_mov_b32 s26, exec_lo
	s_delay_alu instid0(VALU_DEP_2)
	v_cmpx_ne_u32_e32 0x80, v14
	s_cbranch_execz .LBB6_5809
; %bb.5804:                             ;   in Loop: Header=BB6_3974 Depth=2
	v_bfe_u32 v15, v16, 24, 7
	v_mov_b32_e32 v11, 0x7f800001
	s_mov_b32 s27, exec_lo
	s_delay_alu instid0(VALU_DEP_2)
	v_cmpx_ne_u32_e32 0x7f, v15
	s_cbranch_execz .LBB6_5808
; %bb.5805:                             ;   in Loop: Header=BB6_3974 Depth=2
	v_dual_lshrrev_b32 v11, 3, v15 :: v_dual_bitop2_b32 v86, 7, v14 bitop3:0x40
	s_mov_b32 s28, exec_lo
	v_cmpx_gt_u32_e32 8, v15
; %bb.5806:                             ;   in Loop: Header=BB6_3974 Depth=2
	s_delay_alu instid0(VALU_DEP_2) | instskip(NEXT) | instid1(VALU_DEP_1)
	v_clz_i32_u32_e32 v11, v86
	v_min_u32_e32 v11, 32, v11
	s_delay_alu instid0(VALU_DEP_1) | instskip(NEXT) | instid1(VALU_DEP_1)
	v_subrev_nc_u32_e32 v15, 28, v11
	v_lshlrev_b64_e32 v[54:55], v15, v[86:87]
	s_delay_alu instid0(VALU_DEP_1)
	v_dual_sub_nc_u32 v11, 29, v11 :: v_dual_bitop2_b32 v86, 7, v54 bitop3:0x40
; %bb.5807:                             ;   in Loop: Header=BB6_3974 Depth=2
	s_or_b32 exec_lo, exec_lo, s28
	v_lshlrev_b32_e32 v14, 24, v14
	s_delay_alu instid0(VALU_DEP_2) | instskip(NEXT) | instid1(VALU_DEP_3)
	v_lshlrev_b32_e32 v15, 20, v86
	v_lshl_add_u32 v11, v11, 23, 0x3c000000
	s_delay_alu instid0(VALU_DEP_3) | instskip(NEXT) | instid1(VALU_DEP_1)
	v_and_b32_e32 v14, 0x80000000, v14
	v_or3_b32 v11, v15, v14, v11
.LBB6_5808:                             ;   in Loop: Header=BB6_3974 Depth=2
	s_or_b32 exec_lo, exec_lo, s27
.LBB6_5809:                             ;   in Loop: Header=BB6_3974 Depth=2
	s_delay_alu instid0(SALU_CYCLE_1)
	s_or_b32 exec_lo, exec_lo, s26
.LBB6_5810:                             ;   in Loop: Header=BB6_3974 Depth=2
	s_delay_alu instid0(SALU_CYCLE_1) | instskip(NEXT) | instid1(SALU_CYCLE_1)
	s_or_b32 exec_lo, exec_lo, s7
	s_mov_b32 s7, exec_lo
	v_cmpx_lt_u32_e32 0xffffff, v12
	s_cbranch_execz .LBB6_5818
; %bb.5811:                             ;   in Loop: Header=BB6_3974 Depth=2
	v_lshrrev_b32_e32 v14, 24, v12
	v_bfrev_b32_e32 v10, 1
	s_mov_b32 s26, exec_lo
	s_delay_alu instid0(VALU_DEP_2)
	v_cmpx_ne_u32_e32 0x80, v14
	s_cbranch_execz .LBB6_5817
; %bb.5812:                             ;   in Loop: Header=BB6_3974 Depth=2
	v_bfe_u32 v15, v12, 24, 7
	v_mov_b32_e32 v10, 0x7f800001
	s_mov_b32 s27, exec_lo
	s_delay_alu instid0(VALU_DEP_2)
	v_cmpx_ne_u32_e32 0x7f, v15
	s_cbranch_execz .LBB6_5816
; %bb.5813:                             ;   in Loop: Header=BB6_3974 Depth=2
	v_dual_lshrrev_b32 v10, 3, v15 :: v_dual_bitop2_b32 v86, 7, v14 bitop3:0x40
	s_mov_b32 s28, exec_lo
	v_cmpx_gt_u32_e32 8, v15
; %bb.5814:                             ;   in Loop: Header=BB6_3974 Depth=2
	s_delay_alu instid0(VALU_DEP_2) | instskip(NEXT) | instid1(VALU_DEP_1)
	v_clz_i32_u32_e32 v10, v86
	v_min_u32_e32 v10, 32, v10
	s_delay_alu instid0(VALU_DEP_1) | instskip(SKIP_1) | instid1(VALU_DEP_2)
	v_subrev_nc_u32_e32 v15, 28, v10
	v_sub_nc_u32_e32 v10, 29, v10
	v_lshlrev_b64_e32 v[54:55], v15, v[86:87]
	s_delay_alu instid0(VALU_DEP_1)
	v_and_b32_e32 v86, 7, v54
; %bb.5815:                             ;   in Loop: Header=BB6_3974 Depth=2
	s_or_b32 exec_lo, exec_lo, s28
	v_lshlrev_b32_e32 v14, 24, v14
	s_delay_alu instid0(VALU_DEP_2) | instskip(SKIP_1) | instid1(VALU_DEP_3)
	v_lshlrev_b32_e32 v15, 20, v86
	v_lshl_add_u32 v10, v10, 23, 0x3c000000
	v_and_b32_e32 v14, 0x80000000, v14
	s_delay_alu instid0(VALU_DEP_1)
	v_or3_b32 v10, v15, v14, v10
.LBB6_5816:                             ;   in Loop: Header=BB6_3974 Depth=2
	s_or_b32 exec_lo, exec_lo, s27
.LBB6_5817:                             ;   in Loop: Header=BB6_3974 Depth=2
	s_delay_alu instid0(SALU_CYCLE_1)
	s_or_b32 exec_lo, exec_lo, s26
.LBB6_5818:                             ;   in Loop: Header=BB6_3974 Depth=2
	s_delay_alu instid0(SALU_CYCLE_1) | instskip(NEXT) | instid1(VALU_DEP_1)
	s_or_b32 exec_lo, exec_lo, s7
	v_mul_f32_e32 v10, v11, v10
                                        ; implicit-def: $vgpr62
	s_mov_b32 s7, exec_lo
	s_delay_alu instid0(VALU_DEP_1) | instskip(SKIP_1) | instid1(VALU_DEP_2)
	v_and_b32_e32 v86, 0x7f800000, v10
	v_lshrrev_b32_e32 v11, 24, v10
	v_cmpx_ne_u64_e32 0x7f800000, v[86:87]
	s_xor_b32 s26, exec_lo, s7
	s_cbranch_execz .LBB6_5832
; %bb.5819:                             ;   in Loop: Header=BB6_3974 Depth=2
	v_and_b32_e32 v86, 0x7fffffff, v10
	v_and_b32_e32 v31, 0x80, v11
                                        ; implicit-def: $vgpr62
	s_mov_b32 s7, exec_lo
	s_delay_alu instid0(VALU_DEP_2)
	v_cmpx_gt_u64_e32 0x43e00001, v[86:87]
	s_xor_b32 s27, exec_lo, s7
	s_cbranch_execz .LBB6_5829
; %bb.5820:                             ;   in Loop: Header=BB6_3974 Depth=2
	v_mov_b32_e32 v62, 0
	s_mov_b32 s28, exec_lo
	v_cmpx_ne_u32_e32 0, v10
	s_cbranch_execz .LBB6_5828
; %bb.5821:                             ;   in Loop: Header=BB6_3974 Depth=2
	v_bfe_u32 v54, v10, 23, 8
	v_and_b32_e32 v11, 0x7fffff, v10
	s_delay_alu instid0(VALU_DEP_2) | instskip(SKIP_2) | instid1(VALU_DEP_4)
	v_cmp_gt_u32_e64 s7, 0x7a, v54
	v_sub_nc_u32_e32 v10, 0x79, v54
	v_cmp_eq_u32_e32 vcc_lo, 0, v54
	v_or_b32_e32 v14, 0x800000, v11
	s_delay_alu instid0(VALU_DEP_1) | instskip(NEXT) | instid1(VALU_DEP_1)
	v_dual_cndmask_b32 v10, 0, v10, s7 :: v_dual_cndmask_b32 v86, v14, v11, vcc_lo
	v_cndmask_b32_e64 v55, v10, 0x78, vcc_lo
	s_delay_alu instid0(VALU_DEP_1) | instskip(NEXT) | instid1(VALU_DEP_1)
	v_dual_add_nc_u32 v10, 20, v55 :: v_dual_add_nc_u32 v14, 19, v55
	v_lshlrev_b64_e64 v[10:11], v10, -1
	s_delay_alu instid0(VALU_DEP_2) | instskip(NEXT) | instid1(VALU_DEP_2)
	v_lshlrev_b64_e64 v[14:15], v14, 1
	v_bfi_b32 v11, v11, 0, 0
	s_delay_alu instid0(VALU_DEP_3) | instskip(NEXT) | instid1(VALU_DEP_1)
	v_bfi_b32 v10, v10, 0, v86
	v_cmp_eq_u64_e64 s7, v[10:11], v[14:15]
	v_lshrrev_b64 v[10:11], v55, v[86:87]
	s_delay_alu instid0(VALU_DEP_1)
	v_mov_b64_e32 v[14:15], v[10:11]
	s_and_saveexec_b32 s29, s7
; %bb.5822:                             ;   in Loop: Header=BB6_3974 Depth=2
	v_bfe_u32 v86, v10, 20, 1
	s_delay_alu instid0(VALU_DEP_1) | instskip(NEXT) | instid1(VALU_DEP_1)
	v_add_nc_u64_e32 v[14:15], v[10:11], v[86:87]
	v_add_nc_u64_e32 v[14:15], -1, v[14:15]
; %bb.5823:                             ;   in Loop: Header=BB6_3974 Depth=2
	s_or_b32 exec_lo, exec_lo, s29
	v_add_nc_u32_e32 v11, 0xffffff81, v54
	v_lshrrev_b32_e32 v15, 23, v10
	s_mov_b32 s7, exec_lo
	s_delay_alu instid0(VALU_DEP_2) | instskip(NEXT) | instid1(VALU_DEP_1)
	v_cndmask_b32_e64 v11, v11, 0xffffff82, vcc_lo
	v_add3_u32 v54, v55, v11, v15
	v_and_b32_e32 v11, 0xfffff, v14
                                        ; implicit-def: $vgpr14
	s_delay_alu instid0(VALU_DEP_2) | instskip(NEXT) | instid1(VALU_DEP_2)
	v_add_nc_u32_e32 v15, 6, v54
	v_add_nc_u32_e32 v86, v11, v10
                                        ; implicit-def: $vgpr10_vgpr11
	s_delay_alu instid0(VALU_DEP_2)
	v_cmpx_ne_u32_e32 0, v15
	s_xor_b32 s7, exec_lo, s7
; %bb.5824:                             ;   in Loop: Header=BB6_3974 Depth=2
	s_delay_alu instid0(VALU_DEP_2) | instskip(SKIP_1) | instid1(VALU_DEP_1)
	v_cmp_lt_u64_e32 vcc_lo, 0xffffff, v[86:87]
	v_add_nc_u32_e32 v10, 7, v54
	v_cndmask_b32_e32 v14, v15, v10, vcc_lo
	v_cndmask_b32_e64 v10, 0, 1, vcc_lo
	s_delay_alu instid0(VALU_DEP_1)
	v_lshrrev_b64 v[10:11], v10, v[86:87]
; %bb.5825:                             ;   in Loop: Header=BB6_3974 Depth=2
	s_and_not1_saveexec_b32 s7, s7
; %bb.5826:                             ;   in Loop: Header=BB6_3974 Depth=2
	v_mov_b64_e32 v[10:11], v[86:87]
	v_bfe_u32 v14, v86, 23, 1
; %bb.5827:                             ;   in Loop: Header=BB6_3974 Depth=2
	s_or_b32 exec_lo, exec_lo, s7
	s_delay_alu instid0(VALU_DEP_2) | instskip(NEXT) | instid1(VALU_DEP_2)
	v_lshrrev_b64 v[10:11], 20, v[10:11]
	v_cmp_gt_i32_e32 vcc_lo, 16, v14
	v_min_i32_e32 v15, 15, v14
	v_cmp_eq_u32_e64 s7, 0, v14
	s_delay_alu instid0(VALU_DEP_4) | instskip(NEXT) | instid1(VALU_DEP_3)
	v_cndmask_b32_e32 v11, 0, v11, vcc_lo
	v_dual_cndmask_b32 v10, 7, v10 :: v_dual_lshlrev_b32 v15, 3, v15
	s_delay_alu instid0(VALU_DEP_1) | instskip(NEXT) | instid1(VALU_DEP_2)
	v_and_b32_e32 v15, 0xf8, v15
	v_cmp_eq_u64_e32 vcc_lo, 0, v[10:11]
	s_delay_alu instid0(VALU_DEP_2)
	v_and_or_b32 v10, v10, 7, v15
	s_and_b32 s7, s7, vcc_lo
	s_delay_alu instid0(VALU_DEP_1) | instid1(SALU_CYCLE_1)
	v_cndmask_b32_e64 v10, v10, 0, s7
	s_delay_alu instid0(VALU_DEP_1)
	v_or_b32_e32 v62, v10, v31
.LBB6_5828:                             ;   in Loop: Header=BB6_3974 Depth=2
	s_or_b32 exec_lo, exec_lo, s28
                                        ; implicit-def: $vgpr31
.LBB6_5829:                             ;   in Loop: Header=BB6_3974 Depth=2
	s_and_not1_saveexec_b32 s7, s27
; %bb.5830:                             ;   in Loop: Header=BB6_3974 Depth=2
	v_or_b32_e32 v62, 0x7e, v31
; %bb.5831:                             ;   in Loop: Header=BB6_3974 Depth=2
	s_or_b32 exec_lo, exec_lo, s7
                                        ; implicit-def: $vgpr11
.LBB6_5832:                             ;   in Loop: Header=BB6_3974 Depth=2
	s_and_not1_saveexec_b32 s7, s26
; %bb.5833:                             ;   in Loop: Header=BB6_3974 Depth=2
	v_or_b32_e32 v62, 0x7f, v11
; %bb.5834:                             ;   in Loop: Header=BB6_3974 Depth=2
	s_or_b32 exec_lo, exec_lo, s7
	v_and_b32_e32 v14, 0xff, v17
	v_dual_mov_b32 v86, v17 :: v_dual_mov_b32 v10, 0
	v_mov_b32_e32 v11, 0
	s_mov_b32 s7, exec_lo
	s_delay_alu instid0(VALU_DEP_3)
	v_cmpx_ne_u16_e32 0, v14
	s_cbranch_execz .LBB6_5840
; %bb.5835:                             ;   in Loop: Header=BB6_3974 Depth=2
	v_bfrev_b32_e32 v11, 1
	s_mov_b32 s26, exec_lo
	v_cmpx_ne_u16_e32 0x80, v14
	s_cbranch_execz .LBB6_5839
; %bb.5836:                             ;   in Loop: Header=BB6_3974 Depth=2
	v_and_b32_e32 v14, 0x7f, v17
	v_mov_b32_e32 v11, 0x7f800001
	s_mov_b32 s27, exec_lo
	s_delay_alu instid0(VALU_DEP_2)
	v_cmpx_ne_u32_e32 0x7f, v14
	s_cbranch_execz .LBB6_5838
; %bb.5837:                             ;   in Loop: Header=BB6_3974 Depth=2
	v_dual_lshrrev_b32 v15, 3, v14 :: v_dual_bitop2_b32 v11, 7, v17 bitop3:0x40
	v_cmp_gt_u32_e32 vcc_lo, 8, v14
	s_delay_alu instid0(VALU_DEP_2) | instskip(NEXT) | instid1(VALU_DEP_1)
	v_clz_i32_u32_e32 v11, v11
	v_min_u32_e32 v11, 32, v11
	s_delay_alu instid0(VALU_DEP_1) | instskip(NEXT) | instid1(VALU_DEP_1)
	v_subrev_nc_u32_e32 v14, 28, v11
	v_dual_cndmask_b32 v14, 0, v14 :: v_dual_sub_nc_u32 v11, 29, v11
	s_delay_alu instid0(VALU_DEP_1) | instskip(NEXT) | instid1(VALU_DEP_2)
	v_cndmask_b32_e32 v11, v15, v11, vcc_lo
	v_lshlrev_b64_e32 v[14:15], v14, v[86:87]
	v_lshlrev_b32_e32 v15, 24, v86
	s_delay_alu instid0(VALU_DEP_1) | instskip(NEXT) | instid1(VALU_DEP_3)
	v_and_b32_e32 v15, 0x80000000, v15
	v_lshlrev_b32_e32 v14, 20, v14
	v_lshl_add_u32 v11, v11, 23, 0x3c000000
	s_delay_alu instid0(VALU_DEP_2) | instskip(NEXT) | instid1(VALU_DEP_1)
	v_and_b32_e32 v14, 0x700000, v14
	v_or3_b32 v11, v14, v15, v11
.LBB6_5838:                             ;   in Loop: Header=BB6_3974 Depth=2
	s_or_b32 exec_lo, exec_lo, s27
.LBB6_5839:                             ;   in Loop: Header=BB6_3974 Depth=2
	s_delay_alu instid0(SALU_CYCLE_1)
	s_or_b32 exec_lo, exec_lo, s26
.LBB6_5840:                             ;   in Loop: Header=BB6_3974 Depth=2
	s_delay_alu instid0(SALU_CYCLE_1) | instskip(SKIP_2) | instid1(VALU_DEP_1)
	s_or_b32 exec_lo, exec_lo, s7
	v_and_b32_e32 v14, 0xff, v13
	s_mov_b32 s7, exec_lo
	v_cmpx_ne_u16_e32 0, v14
	s_cbranch_execz .LBB6_5846
; %bb.5841:                             ;   in Loop: Header=BB6_3974 Depth=2
	v_bfrev_b32_e32 v10, 1
	s_mov_b32 s26, exec_lo
	v_cmpx_ne_u16_e32 0x80, v14
	s_cbranch_execz .LBB6_5845
; %bb.5842:                             ;   in Loop: Header=BB6_3974 Depth=2
	v_and_b32_e32 v14, 0x7f, v13
	v_mov_b32_e32 v10, 0x7f800001
	s_mov_b32 s27, exec_lo
	s_delay_alu instid0(VALU_DEP_2)
	v_cmpx_ne_u32_e32 0x7f, v14
	s_cbranch_execz .LBB6_5844
; %bb.5843:                             ;   in Loop: Header=BB6_3974 Depth=2
	v_dual_lshrrev_b32 v31, 3, v14 :: v_dual_bitop2_b32 v10, 7, v13 bitop3:0x40
	v_cmp_gt_u32_e32 vcc_lo, 8, v14
	v_mov_b32_e32 v14, v13
	s_delay_alu instid0(VALU_DEP_3) | instskip(NEXT) | instid1(VALU_DEP_1)
	v_clz_i32_u32_e32 v10, v10
	v_min_u32_e32 v10, 32, v10
	s_delay_alu instid0(VALU_DEP_1) | instskip(SKIP_2) | instid1(VALU_DEP_3)
	v_sub_nc_u32_e32 v54, 29, v10
	v_subrev_nc_u32_e32 v10, 28, v10
	v_mov_b32_e32 v15, v87
	v_cndmask_b32_e32 v31, v31, v54, vcc_lo
	s_delay_alu instid0(VALU_DEP_3) | instskip(NEXT) | instid1(VALU_DEP_1)
	v_cndmask_b32_e32 v10, 0, v10, vcc_lo
	v_lshlrev_b64_e32 v[54:55], v10, v[14:15]
	v_lshlrev_b32_e32 v10, 24, v14
	s_delay_alu instid0(VALU_DEP_1) | instskip(NEXT) | instid1(VALU_DEP_3)
	v_and_b32_e32 v10, 0x80000000, v10
	v_lshlrev_b32_e32 v14, 20, v54
	v_lshl_add_u32 v15, v31, 23, 0x3c000000
	s_delay_alu instid0(VALU_DEP_2) | instskip(NEXT) | instid1(VALU_DEP_1)
	v_and_b32_e32 v14, 0x700000, v14
	v_or3_b32 v10, v14, v10, v15
.LBB6_5844:                             ;   in Loop: Header=BB6_3974 Depth=2
	s_or_b32 exec_lo, exec_lo, s27
.LBB6_5845:                             ;   in Loop: Header=BB6_3974 Depth=2
	s_delay_alu instid0(SALU_CYCLE_1)
	s_or_b32 exec_lo, exec_lo, s26
.LBB6_5846:                             ;   in Loop: Header=BB6_3974 Depth=2
	s_delay_alu instid0(SALU_CYCLE_1) | instskip(NEXT) | instid1(VALU_DEP_1)
	s_or_b32 exec_lo, exec_lo, s7
	v_mul_f32_e32 v10, v11, v10
	v_mov_b32_e32 v15, v87
                                        ; implicit-def: $vgpr61
	s_mov_b32 s7, exec_lo
	s_delay_alu instid0(VALU_DEP_2) | instskip(SKIP_1) | instid1(VALU_DEP_2)
	v_and_b32_e32 v14, 0x7f800000, v10
	v_lshrrev_b32_e32 v11, 24, v10
	v_cmpx_ne_u64_e32 0x7f800000, v[14:15]
	s_xor_b32 s26, exec_lo, s7
	s_cbranch_execz .LBB6_5860
; %bb.5847:                             ;   in Loop: Header=BB6_3974 Depth=2
	v_and_b32_e32 v14, 0x7fffffff, v10
	v_mov_b32_e32 v15, v87
	v_and_b32_e32 v31, 0x80, v11
                                        ; implicit-def: $vgpr61
	s_mov_b32 s7, exec_lo
	s_delay_alu instid0(VALU_DEP_2)
	v_cmpx_gt_u64_e32 0x43e00001, v[14:15]
	s_xor_b32 s27, exec_lo, s7
	s_cbranch_execz .LBB6_5857
; %bb.5848:                             ;   in Loop: Header=BB6_3974 Depth=2
	v_mov_b32_e32 v61, 0
	s_mov_b32 s28, exec_lo
	v_cmpx_ne_u32_e32 0, v10
	s_cbranch_execz .LBB6_5856
; %bb.5849:                             ;   in Loop: Header=BB6_3974 Depth=2
	v_bfe_u32 v54, v10, 23, 8
	v_and_b32_e32 v11, 0x7fffff, v10
	s_delay_alu instid0(VALU_DEP_2) | instskip(SKIP_2) | instid1(VALU_DEP_4)
	v_cmp_gt_u32_e64 s7, 0x7a, v54
	v_sub_nc_u32_e32 v10, 0x79, v54
	v_cmp_eq_u32_e32 vcc_lo, 0, v54
	v_or_b32_e32 v14, 0x800000, v11
	s_delay_alu instid0(VALU_DEP_3) | instskip(NEXT) | instid1(VALU_DEP_1)
	v_cndmask_b32_e64 v10, 0, v10, s7
	v_cndmask_b32_e64 v55, v10, 0x78, vcc_lo
	s_delay_alu instid0(VALU_DEP_3) | instskip(NEXT) | instid1(VALU_DEP_2)
	v_dual_cndmask_b32 v10, v14, v11 :: v_dual_mov_b32 v11, v87
	v_dual_add_nc_u32 v14, 20, v55 :: v_dual_add_nc_u32 v66, 19, v55
	s_delay_alu instid0(VALU_DEP_1) | instskip(NEXT) | instid1(VALU_DEP_2)
	v_lshlrev_b64_e64 v[14:15], v14, -1
	v_lshlrev_b64_e64 v[102:103], v66, 1
	s_delay_alu instid0(VALU_DEP_2) | instskip(SKIP_1) | instid1(VALU_DEP_4)
	v_bfi_b32 v14, v14, 0, v10
	v_lshrrev_b64 v[10:11], v55, v[10:11]
	v_bfi_b32 v15, v15, 0, 0
	s_delay_alu instid0(VALU_DEP_1) | instskip(NEXT) | instid1(VALU_DEP_3)
	v_cmp_eq_u64_e64 s7, v[14:15], v[102:103]
	v_mov_b64_e32 v[14:15], v[10:11]
	s_and_saveexec_b32 s29, s7
; %bb.5850:                             ;   in Loop: Header=BB6_3974 Depth=2
	v_bfe_u32 v14, v10, 20, 1
	v_mov_b32_e32 v15, v87
	s_delay_alu instid0(VALU_DEP_1) | instskip(NEXT) | instid1(VALU_DEP_1)
	v_add_nc_u64_e32 v[14:15], v[10:11], v[14:15]
	v_add_nc_u64_e32 v[14:15], -1, v[14:15]
; %bb.5851:                             ;   in Loop: Header=BB6_3974 Depth=2
	s_or_b32 exec_lo, exec_lo, s29
	v_add_nc_u32_e32 v11, 0xffffff81, v54
	v_lshrrev_b32_e32 v15, 23, v10
	s_mov_b32 s7, exec_lo
	s_delay_alu instid0(VALU_DEP_2) | instskip(NEXT) | instid1(VALU_DEP_1)
	v_cndmask_b32_e64 v11, v11, 0xffffff82, vcc_lo
	v_add3_u32 v54, v55, v11, v15
	v_and_b32_e32 v11, 0xfffff, v14
                                        ; implicit-def: $vgpr14
	s_delay_alu instid0(VALU_DEP_2) | instskip(NEXT) | instid1(VALU_DEP_2)
	v_add_nc_u32_e32 v15, 6, v54
	v_add_nc_u32_e32 v10, v11, v10
	v_mov_b32_e32 v11, v87
	s_delay_alu instid0(VALU_DEP_3)
	v_cmpx_ne_u32_e32 0, v15
	s_xor_b32 s7, exec_lo, s7
; %bb.5852:                             ;   in Loop: Header=BB6_3974 Depth=2
	s_delay_alu instid0(VALU_DEP_2) | instskip(SKIP_1) | instid1(VALU_DEP_1)
	v_cmp_lt_u64_e32 vcc_lo, 0xffffff, v[10:11]
	v_add_nc_u32_e32 v14, 7, v54
	v_cndmask_b32_e32 v14, v15, v14, vcc_lo
	v_cndmask_b32_e64 v15, 0, 1, vcc_lo
	s_delay_alu instid0(VALU_DEP_1)
	v_lshrrev_b64 v[10:11], v15, v[10:11]
; %bb.5853:                             ;   in Loop: Header=BB6_3974 Depth=2
	s_and_not1_saveexec_b32 s7, s7
; %bb.5854:                             ;   in Loop: Header=BB6_3974 Depth=2
	s_delay_alu instid0(VALU_DEP_1)
	v_bfe_u32 v14, v10, 23, 1
; %bb.5855:                             ;   in Loop: Header=BB6_3974 Depth=2
	s_or_b32 exec_lo, exec_lo, s7
	s_delay_alu instid0(VALU_DEP_2) | instskip(NEXT) | instid1(VALU_DEP_2)
	v_lshrrev_b64 v[10:11], 20, v[10:11]
	v_cmp_gt_i32_e32 vcc_lo, 16, v14
	v_min_i32_e32 v15, 15, v14
	v_cmp_eq_u32_e64 s7, 0, v14
	s_delay_alu instid0(VALU_DEP_4) | instskip(NEXT) | instid1(VALU_DEP_3)
	v_cndmask_b32_e32 v11, 0, v11, vcc_lo
	v_dual_cndmask_b32 v10, 7, v10 :: v_dual_lshlrev_b32 v15, 3, v15
	s_delay_alu instid0(VALU_DEP_1) | instskip(NEXT) | instid1(VALU_DEP_2)
	v_and_b32_e32 v15, 0xf8, v15
	v_cmp_eq_u64_e32 vcc_lo, 0, v[10:11]
	s_delay_alu instid0(VALU_DEP_2)
	v_and_or_b32 v10, v10, 7, v15
	s_and_b32 s7, s7, vcc_lo
	s_delay_alu instid0(VALU_DEP_1) | instid1(SALU_CYCLE_1)
	v_cndmask_b32_e64 v10, v10, 0, s7
	s_delay_alu instid0(VALU_DEP_1)
	v_or_b32_e32 v61, v10, v31
.LBB6_5856:                             ;   in Loop: Header=BB6_3974 Depth=2
	s_or_b32 exec_lo, exec_lo, s28
                                        ; implicit-def: $vgpr31
.LBB6_5857:                             ;   in Loop: Header=BB6_3974 Depth=2
	s_and_not1_saveexec_b32 s7, s27
; %bb.5858:                             ;   in Loop: Header=BB6_3974 Depth=2
	v_or_b32_e32 v61, 0x7e, v31
; %bb.5859:                             ;   in Loop: Header=BB6_3974 Depth=2
	s_or_b32 exec_lo, exec_lo, s7
                                        ; implicit-def: $vgpr11
.LBB6_5860:                             ;   in Loop: Header=BB6_3974 Depth=2
	s_and_not1_saveexec_b32 s7, s26
; %bb.5861:                             ;   in Loop: Header=BB6_3974 Depth=2
	v_or_b32_e32 v61, 0x7f, v11
; %bb.5862:                             ;   in Loop: Header=BB6_3974 Depth=2
	s_or_b32 exec_lo, exec_lo, s7
	v_lshrrev_b16 v11, 8, v86
	v_dual_mov_b32 v14, 0 :: v_dual_mov_b32 v10, 0
	s_mov_b32 s7, exec_lo
	s_delay_alu instid0(VALU_DEP_2)
	v_cmpx_ne_u16_e32 0, v11
	s_cbranch_execz .LBB6_5870
; %bb.5863:                             ;   in Loop: Header=BB6_3974 Depth=2
	v_bfrev_b32_e32 v10, 1
	s_mov_b32 s26, exec_lo
	v_cmpx_ne_u16_e32 0x80, v11
	s_cbranch_execz .LBB6_5869
; %bb.5864:                             ;   in Loop: Header=BB6_3974 Depth=2
	v_and_b32_e32 v11, 0xffff, v11
	v_mov_b32_e32 v10, 0x7f800001
	s_mov_b32 s27, exec_lo
	s_delay_alu instid0(VALU_DEP_2) | instskip(NEXT) | instid1(VALU_DEP_1)
	v_and_b32_e32 v31, 0x7f, v11
	v_cmpx_ne_u32_e32 0x7f, v31
	s_cbranch_execz .LBB6_5868
; %bb.5865:                             ;   in Loop: Header=BB6_3974 Depth=2
	v_dual_mov_b32 v11, v87 :: v_dual_bitop2_b32 v10, 7, v11 bitop3:0x40
	v_lshrrev_b32_e32 v15, 3, v31
	s_mov_b32 s28, exec_lo
	v_cmpx_gt_u32_e32 8, v31
; %bb.5866:                             ;   in Loop: Header=BB6_3974 Depth=2
	s_delay_alu instid0(VALU_DEP_3) | instskip(NEXT) | instid1(VALU_DEP_1)
	v_clz_i32_u32_e32 v15, v10
	v_min_u32_e32 v15, 32, v15
	s_delay_alu instid0(VALU_DEP_1) | instskip(NEXT) | instid1(VALU_DEP_1)
	v_subrev_nc_u32_e32 v31, 28, v15
	v_lshlrev_b64_e32 v[10:11], v31, v[10:11]
	s_delay_alu instid0(VALU_DEP_1)
	v_dual_sub_nc_u32 v15, 29, v15 :: v_dual_bitop2_b32 v10, 7, v10 bitop3:0x40
; %bb.5867:                             ;   in Loop: Header=BB6_3974 Depth=2
	s_or_b32 exec_lo, exec_lo, s28
	v_lshlrev_b32_e32 v11, 16, v86
	s_delay_alu instid0(VALU_DEP_2) | instskip(NEXT) | instid1(VALU_DEP_3)
	v_lshlrev_b32_e32 v10, 20, v10
	v_lshl_add_u32 v15, v15, 23, 0x3c000000
	s_delay_alu instid0(VALU_DEP_3) | instskip(NEXT) | instid1(VALU_DEP_1)
	v_and_b32_e32 v11, 0x80000000, v11
	v_or3_b32 v10, v10, v11, v15
.LBB6_5868:                             ;   in Loop: Header=BB6_3974 Depth=2
	s_or_b32 exec_lo, exec_lo, s27
.LBB6_5869:                             ;   in Loop: Header=BB6_3974 Depth=2
	s_delay_alu instid0(SALU_CYCLE_1)
	s_or_b32 exec_lo, exec_lo, s26
.LBB6_5870:                             ;   in Loop: Header=BB6_3974 Depth=2
	s_delay_alu instid0(SALU_CYCLE_1) | instskip(SKIP_2) | instid1(VALU_DEP_1)
	s_or_b32 exec_lo, exec_lo, s7
	v_lshrrev_b16 v11, 8, v13
	s_mov_b32 s7, exec_lo
	v_cmpx_ne_u16_e32 0, v11
	s_cbranch_execz .LBB6_5878
; %bb.5871:                             ;   in Loop: Header=BB6_3974 Depth=2
	v_bfrev_b32_e32 v14, 1
	s_mov_b32 s26, exec_lo
	v_cmpx_ne_u16_e32 0x80, v11
	s_cbranch_execz .LBB6_5877
; %bb.5872:                             ;   in Loop: Header=BB6_3974 Depth=2
	v_and_b32_e32 v11, 0xffff, v11
	v_mov_b32_e32 v14, 0x7f800001
	s_mov_b32 s27, exec_lo
	s_delay_alu instid0(VALU_DEP_2) | instskip(NEXT) | instid1(VALU_DEP_1)
	v_and_b32_e32 v15, 0x7f, v11
	v_cmpx_ne_u32_e32 0x7f, v15
	s_cbranch_execz .LBB6_5876
; %bb.5873:                             ;   in Loop: Header=BB6_3974 Depth=2
	v_and_b32_e32 v86, 7, v11
	v_lshrrev_b32_e32 v11, 3, v15
	s_mov_b32 s28, exec_lo
	v_cmpx_gt_u32_e32 8, v15
; %bb.5874:                             ;   in Loop: Header=BB6_3974 Depth=2
	s_delay_alu instid0(VALU_DEP_3) | instskip(NEXT) | instid1(VALU_DEP_1)
	v_clz_i32_u32_e32 v11, v86
	v_min_u32_e32 v11, 32, v11
	s_delay_alu instid0(VALU_DEP_1) | instskip(NEXT) | instid1(VALU_DEP_1)
	v_subrev_nc_u32_e32 v14, 28, v11
	v_lshlrev_b64_e32 v[14:15], v14, v[86:87]
	s_delay_alu instid0(VALU_DEP_1)
	v_dual_sub_nc_u32 v11, 29, v11 :: v_dual_bitop2_b32 v86, 7, v14 bitop3:0x40
; %bb.5875:                             ;   in Loop: Header=BB6_3974 Depth=2
	s_or_b32 exec_lo, exec_lo, s28
	s_delay_alu instid0(VALU_DEP_1) | instskip(NEXT) | instid1(VALU_DEP_2)
	v_dual_lshlrev_b32 v14, 16, v13 :: v_dual_lshlrev_b32 v15, 20, v86
	v_lshl_add_u32 v11, v11, 23, 0x3c000000
	s_delay_alu instid0(VALU_DEP_2) | instskip(NEXT) | instid1(VALU_DEP_1)
	v_and_b32_e32 v14, 0x80000000, v14
	v_or3_b32 v14, v15, v14, v11
.LBB6_5876:                             ;   in Loop: Header=BB6_3974 Depth=2
	s_or_b32 exec_lo, exec_lo, s27
.LBB6_5877:                             ;   in Loop: Header=BB6_3974 Depth=2
	s_delay_alu instid0(SALU_CYCLE_1)
	s_or_b32 exec_lo, exec_lo, s26
.LBB6_5878:                             ;   in Loop: Header=BB6_3974 Depth=2
	s_delay_alu instid0(SALU_CYCLE_1) | instskip(NEXT) | instid1(VALU_DEP_1)
	s_or_b32 exec_lo, exec_lo, s7
	v_mul_f32_e32 v10, v10, v14
                                        ; implicit-def: $vgpr31
	s_mov_b32 s7, exec_lo
	s_delay_alu instid0(VALU_DEP_1) | instskip(SKIP_1) | instid1(VALU_DEP_2)
	v_and_b32_e32 v86, 0x7f800000, v10
	v_lshrrev_b32_e32 v11, 24, v10
	v_cmpx_ne_u64_e32 0x7f800000, v[86:87]
	s_xor_b32 s26, exec_lo, s7
	s_cbranch_execz .LBB6_5892
; %bb.5879:                             ;   in Loop: Header=BB6_3974 Depth=2
	v_and_b32_e32 v86, 0x7fffffff, v10
	v_and_b32_e32 v102, 0x80, v11
                                        ; implicit-def: $vgpr31
	s_mov_b32 s7, exec_lo
	s_delay_alu instid0(VALU_DEP_2)
	v_cmpx_gt_u64_e32 0x43e00001, v[86:87]
	s_xor_b32 s27, exec_lo, s7
	s_cbranch_execz .LBB6_5889
; %bb.5880:                             ;   in Loop: Header=BB6_3974 Depth=2
	v_mov_b32_e32 v31, 0
	s_mov_b32 s28, exec_lo
	v_cmpx_ne_u32_e32 0, v10
	s_cbranch_execz .LBB6_5888
; %bb.5881:                             ;   in Loop: Header=BB6_3974 Depth=2
	v_bfe_u32 v31, v10, 23, 8
	v_and_b32_e32 v11, 0x7fffff, v10
	s_delay_alu instid0(VALU_DEP_2) | instskip(SKIP_2) | instid1(VALU_DEP_4)
	v_cmp_gt_u32_e64 s7, 0x7a, v31
	v_sub_nc_u32_e32 v10, 0x79, v31
	v_cmp_eq_u32_e32 vcc_lo, 0, v31
	v_or_b32_e32 v14, 0x800000, v11
	s_delay_alu instid0(VALU_DEP_1) | instskip(NEXT) | instid1(VALU_DEP_1)
	v_dual_cndmask_b32 v10, 0, v10, s7 :: v_dual_cndmask_b32 v86, v14, v11, vcc_lo
	v_cndmask_b32_e64 v54, v10, 0x78, vcc_lo
	s_delay_alu instid0(VALU_DEP_1) | instskip(NEXT) | instid1(VALU_DEP_1)
	v_dual_add_nc_u32 v10, 20, v54 :: v_dual_add_nc_u32 v14, 19, v54
	v_lshlrev_b64_e64 v[10:11], v10, -1
	s_delay_alu instid0(VALU_DEP_2) | instskip(NEXT) | instid1(VALU_DEP_2)
	v_lshlrev_b64_e64 v[14:15], v14, 1
	v_bfi_b32 v11, v11, 0, 0
	s_delay_alu instid0(VALU_DEP_3) | instskip(NEXT) | instid1(VALU_DEP_1)
	v_bfi_b32 v10, v10, 0, v86
	v_cmp_eq_u64_e64 s7, v[10:11], v[14:15]
	v_lshrrev_b64 v[10:11], v54, v[86:87]
	s_delay_alu instid0(VALU_DEP_1)
	v_mov_b64_e32 v[14:15], v[10:11]
	s_and_saveexec_b32 s29, s7
; %bb.5882:                             ;   in Loop: Header=BB6_3974 Depth=2
	v_bfe_u32 v86, v10, 20, 1
	s_delay_alu instid0(VALU_DEP_1) | instskip(NEXT) | instid1(VALU_DEP_1)
	v_add_nc_u64_e32 v[14:15], v[10:11], v[86:87]
	v_add_nc_u64_e32 v[14:15], -1, v[14:15]
; %bb.5883:                             ;   in Loop: Header=BB6_3974 Depth=2
	s_or_b32 exec_lo, exec_lo, s29
	v_add_nc_u32_e32 v11, 0xffffff81, v31
	v_lshrrev_b32_e32 v15, 23, v10
	s_mov_b32 s7, exec_lo
	s_delay_alu instid0(VALU_DEP_2) | instskip(NEXT) | instid1(VALU_DEP_1)
	v_cndmask_b32_e64 v11, v11, 0xffffff82, vcc_lo
	v_add3_u32 v31, v54, v11, v15
	v_and_b32_e32 v11, 0xfffff, v14
                                        ; implicit-def: $vgpr14
	s_delay_alu instid0(VALU_DEP_1) | instskip(NEXT) | instid1(VALU_DEP_1)
	v_dual_add_nc_u32 v15, 6, v31 :: v_dual_add_nc_u32 v86, v11, v10
                                        ; implicit-def: $vgpr10_vgpr11
	v_cmpx_ne_u32_e32 0, v15
	s_xor_b32 s7, exec_lo, s7
; %bb.5884:                             ;   in Loop: Header=BB6_3974 Depth=2
	s_delay_alu instid0(VALU_DEP_2) | instskip(SKIP_1) | instid1(VALU_DEP_1)
	v_cmp_lt_u64_e32 vcc_lo, 0xffffff, v[86:87]
	v_add_nc_u32_e32 v10, 7, v31
	v_cndmask_b32_e32 v14, v15, v10, vcc_lo
	v_cndmask_b32_e64 v10, 0, 1, vcc_lo
	s_delay_alu instid0(VALU_DEP_1)
	v_lshrrev_b64 v[10:11], v10, v[86:87]
; %bb.5885:                             ;   in Loop: Header=BB6_3974 Depth=2
	s_and_not1_saveexec_b32 s7, s7
; %bb.5886:                             ;   in Loop: Header=BB6_3974 Depth=2
	v_mov_b64_e32 v[10:11], v[86:87]
	v_bfe_u32 v14, v86, 23, 1
; %bb.5887:                             ;   in Loop: Header=BB6_3974 Depth=2
	s_or_b32 exec_lo, exec_lo, s7
	s_delay_alu instid0(VALU_DEP_2) | instskip(NEXT) | instid1(VALU_DEP_2)
	v_lshrrev_b64 v[10:11], 20, v[10:11]
	v_cmp_gt_i32_e32 vcc_lo, 16, v14
	v_min_i32_e32 v15, 15, v14
	v_cmp_eq_u32_e64 s7, 0, v14
	s_delay_alu instid0(VALU_DEP_4) | instskip(NEXT) | instid1(VALU_DEP_3)
	v_cndmask_b32_e32 v11, 0, v11, vcc_lo
	v_dual_cndmask_b32 v10, 7, v10 :: v_dual_lshlrev_b32 v15, 3, v15
	s_delay_alu instid0(VALU_DEP_1) | instskip(NEXT) | instid1(VALU_DEP_2)
	v_and_b32_e32 v15, 0xf8, v15
	v_cmp_eq_u64_e32 vcc_lo, 0, v[10:11]
	s_delay_alu instid0(VALU_DEP_2)
	v_and_or_b32 v10, v10, 7, v15
	s_and_b32 s7, s7, vcc_lo
	s_delay_alu instid0(VALU_DEP_1) | instid1(SALU_CYCLE_1)
	v_cndmask_b32_e64 v10, v10, 0, s7
	s_delay_alu instid0(VALU_DEP_1)
	v_or_b32_e32 v31, v10, v102
.LBB6_5888:                             ;   in Loop: Header=BB6_3974 Depth=2
	s_or_b32 exec_lo, exec_lo, s28
                                        ; implicit-def: $vgpr102
.LBB6_5889:                             ;   in Loop: Header=BB6_3974 Depth=2
	s_and_not1_saveexec_b32 s7, s27
; %bb.5890:                             ;   in Loop: Header=BB6_3974 Depth=2
	v_or_b32_e32 v31, 0x7e, v102
; %bb.5891:                             ;   in Loop: Header=BB6_3974 Depth=2
	s_or_b32 exec_lo, exec_lo, s7
                                        ; implicit-def: $vgpr11
.LBB6_5892:                             ;   in Loop: Header=BB6_3974 Depth=2
	s_and_not1_saveexec_b32 s7, s26
; %bb.5893:                             ;   in Loop: Header=BB6_3974 Depth=2
	v_or_b32_e32 v31, 0x7f, v11
; %bb.5894:                             ;   in Loop: Header=BB6_3974 Depth=2
	s_or_b32 exec_lo, exec_lo, s7
	v_dual_lshrrev_b32 v14, 16, v17 :: v_dual_mov_b32 v10, 0
	v_mov_b32_e32 v11, 0
	s_mov_b32 s7, exec_lo
	s_delay_alu instid0(VALU_DEP_2) | instskip(NEXT) | instid1(VALU_DEP_1)
	v_and_b32_e32 v15, 0xff, v14
	v_cmpx_ne_u16_e32 0, v15
	s_cbranch_execz .LBB6_5902
; %bb.5895:                             ;   in Loop: Header=BB6_3974 Depth=2
	v_bfrev_b32_e32 v11, 1
	s_mov_b32 s26, exec_lo
	v_cmpx_ne_u16_e32 0x80, v15
	s_cbranch_execz .LBB6_5901
; %bb.5896:                             ;   in Loop: Header=BB6_3974 Depth=2
	v_bfe_u32 v15, v17, 16, 7
	v_mov_b32_e32 v11, 0x7f800001
	s_mov_b32 s27, exec_lo
	s_delay_alu instid0(VALU_DEP_2)
	v_cmpx_ne_u32_e32 0x7f, v15
	s_cbranch_execz .LBB6_5900
; %bb.5897:                             ;   in Loop: Header=BB6_3974 Depth=2
	v_dual_lshrrev_b32 v11, 3, v15 :: v_dual_bitop2_b32 v86, 7, v14 bitop3:0x40
	s_mov_b32 s28, exec_lo
	v_cmpx_gt_u32_e32 8, v15
; %bb.5898:                             ;   in Loop: Header=BB6_3974 Depth=2
	s_delay_alu instid0(VALU_DEP_2) | instskip(NEXT) | instid1(VALU_DEP_1)
	v_clz_i32_u32_e32 v11, v86
	v_min_u32_e32 v11, 32, v11
	s_delay_alu instid0(VALU_DEP_1) | instskip(NEXT) | instid1(VALU_DEP_1)
	v_subrev_nc_u32_e32 v15, 28, v11
	v_lshlrev_b64_e32 v[54:55], v15, v[86:87]
	s_delay_alu instid0(VALU_DEP_1)
	v_dual_sub_nc_u32 v11, 29, v11 :: v_dual_bitop2_b32 v86, 7, v54 bitop3:0x40
; %bb.5899:                             ;   in Loop: Header=BB6_3974 Depth=2
	s_or_b32 exec_lo, exec_lo, s28
	v_lshlrev_b32_e32 v14, 24, v14
	s_delay_alu instid0(VALU_DEP_2) | instskip(NEXT) | instid1(VALU_DEP_3)
	v_lshlrev_b32_e32 v15, 20, v86
	v_lshl_add_u32 v11, v11, 23, 0x3c000000
	s_delay_alu instid0(VALU_DEP_3) | instskip(NEXT) | instid1(VALU_DEP_1)
	v_and_b32_e32 v14, 0x80000000, v14
	v_or3_b32 v11, v15, v14, v11
.LBB6_5900:                             ;   in Loop: Header=BB6_3974 Depth=2
	s_or_b32 exec_lo, exec_lo, s27
.LBB6_5901:                             ;   in Loop: Header=BB6_3974 Depth=2
	s_delay_alu instid0(SALU_CYCLE_1)
	s_or_b32 exec_lo, exec_lo, s26
.LBB6_5902:                             ;   in Loop: Header=BB6_3974 Depth=2
	s_delay_alu instid0(SALU_CYCLE_1) | instskip(SKIP_2) | instid1(VALU_DEP_1)
	s_or_b32 exec_lo, exec_lo, s7
	v_lshrrev_b32_e32 v14, 16, v13
	s_mov_b32 s7, exec_lo
	v_and_b32_e32 v15, 0xff, v14
	s_delay_alu instid0(VALU_DEP_1)
	v_cmpx_ne_u16_e32 0, v15
	s_cbranch_execz .LBB6_5910
; %bb.5903:                             ;   in Loop: Header=BB6_3974 Depth=2
	v_bfrev_b32_e32 v10, 1
	s_mov_b32 s26, exec_lo
	v_cmpx_ne_u16_e32 0x80, v15
	s_cbranch_execz .LBB6_5909
; %bb.5904:                             ;   in Loop: Header=BB6_3974 Depth=2
	v_bfe_u32 v15, v13, 16, 7
	v_mov_b32_e32 v10, 0x7f800001
	s_mov_b32 s27, exec_lo
	s_delay_alu instid0(VALU_DEP_2)
	v_cmpx_ne_u32_e32 0x7f, v15
	s_cbranch_execz .LBB6_5908
; %bb.5905:                             ;   in Loop: Header=BB6_3974 Depth=2
	v_dual_lshrrev_b32 v10, 3, v15 :: v_dual_bitop2_b32 v86, 7, v14 bitop3:0x40
	s_mov_b32 s28, exec_lo
	v_cmpx_gt_u32_e32 8, v15
; %bb.5906:                             ;   in Loop: Header=BB6_3974 Depth=2
	s_delay_alu instid0(VALU_DEP_2) | instskip(NEXT) | instid1(VALU_DEP_1)
	v_clz_i32_u32_e32 v10, v86
	v_min_u32_e32 v10, 32, v10
	s_delay_alu instid0(VALU_DEP_1) | instskip(SKIP_1) | instid1(VALU_DEP_2)
	v_subrev_nc_u32_e32 v14, 28, v10
	v_sub_nc_u32_e32 v10, 29, v10
	v_lshlrev_b64_e32 v[14:15], v14, v[86:87]
	s_delay_alu instid0(VALU_DEP_1)
	v_and_b32_e32 v86, 7, v14
; %bb.5907:                             ;   in Loop: Header=BB6_3974 Depth=2
	s_or_b32 exec_lo, exec_lo, s28
	s_delay_alu instid0(VALU_DEP_1) | instskip(SKIP_1) | instid1(VALU_DEP_2)
	v_dual_lshlrev_b32 v14, 8, v13 :: v_dual_lshlrev_b32 v15, 20, v86
	v_lshl_add_u32 v10, v10, 23, 0x3c000000
	v_and_b32_e32 v14, 0x80000000, v14
	s_delay_alu instid0(VALU_DEP_1)
	v_or3_b32 v10, v15, v14, v10
.LBB6_5908:                             ;   in Loop: Header=BB6_3974 Depth=2
	s_or_b32 exec_lo, exec_lo, s27
.LBB6_5909:                             ;   in Loop: Header=BB6_3974 Depth=2
	s_delay_alu instid0(SALU_CYCLE_1)
	s_or_b32 exec_lo, exec_lo, s26
.LBB6_5910:                             ;   in Loop: Header=BB6_3974 Depth=2
	s_delay_alu instid0(SALU_CYCLE_1) | instskip(NEXT) | instid1(VALU_DEP_1)
	s_or_b32 exec_lo, exec_lo, s7
	v_mul_f32_e32 v10, v11, v10
                                        ; implicit-def: $vgpr14
	s_mov_b32 s7, exec_lo
	s_delay_alu instid0(VALU_DEP_1) | instskip(SKIP_1) | instid1(VALU_DEP_2)
	v_and_b32_e32 v86, 0x7f800000, v10
	v_lshrrev_b32_e32 v11, 24, v10
	v_cmpx_ne_u64_e32 0x7f800000, v[86:87]
	s_xor_b32 s26, exec_lo, s7
	s_cbranch_execz .LBB6_5924
; %bb.5911:                             ;   in Loop: Header=BB6_3974 Depth=2
	v_and_b32_e32 v86, 0x7fffffff, v10
	v_and_b32_e32 v102, 0x80, v11
                                        ; implicit-def: $vgpr14
	s_mov_b32 s7, exec_lo
	s_delay_alu instid0(VALU_DEP_2)
	v_cmpx_gt_u64_e32 0x43e00001, v[86:87]
	s_xor_b32 s27, exec_lo, s7
	s_cbranch_execz .LBB6_5921
; %bb.5912:                             ;   in Loop: Header=BB6_3974 Depth=2
	v_mov_b32_e32 v14, 0
	s_mov_b32 s28, exec_lo
	v_cmpx_ne_u32_e32 0, v10
	s_cbranch_execz .LBB6_5920
; %bb.5913:                             ;   in Loop: Header=BB6_3974 Depth=2
	v_bfe_u32 v54, v10, 23, 8
	v_and_b32_e32 v11, 0x7fffff, v10
	s_delay_alu instid0(VALU_DEP_2) | instskip(SKIP_2) | instid1(VALU_DEP_4)
	v_cmp_gt_u32_e64 s7, 0x7a, v54
	v_sub_nc_u32_e32 v10, 0x79, v54
	v_cmp_eq_u32_e32 vcc_lo, 0, v54
	v_or_b32_e32 v14, 0x800000, v11
	s_delay_alu instid0(VALU_DEP_1) | instskip(NEXT) | instid1(VALU_DEP_1)
	v_dual_cndmask_b32 v10, 0, v10, s7 :: v_dual_cndmask_b32 v86, v14, v11, vcc_lo
	v_cndmask_b32_e64 v55, v10, 0x78, vcc_lo
	s_delay_alu instid0(VALU_DEP_1) | instskip(NEXT) | instid1(VALU_DEP_1)
	v_dual_add_nc_u32 v10, 20, v55 :: v_dual_add_nc_u32 v14, 19, v55
	v_lshlrev_b64_e64 v[10:11], v10, -1
	s_delay_alu instid0(VALU_DEP_2) | instskip(NEXT) | instid1(VALU_DEP_2)
	v_lshlrev_b64_e64 v[14:15], v14, 1
	v_bfi_b32 v11, v11, 0, 0
	s_delay_alu instid0(VALU_DEP_3) | instskip(NEXT) | instid1(VALU_DEP_1)
	v_bfi_b32 v10, v10, 0, v86
	v_cmp_eq_u64_e64 s7, v[10:11], v[14:15]
	v_lshrrev_b64 v[10:11], v55, v[86:87]
	s_delay_alu instid0(VALU_DEP_1)
	v_mov_b64_e32 v[14:15], v[10:11]
	s_and_saveexec_b32 s29, s7
; %bb.5914:                             ;   in Loop: Header=BB6_3974 Depth=2
	v_bfe_u32 v86, v10, 20, 1
	s_delay_alu instid0(VALU_DEP_1) | instskip(NEXT) | instid1(VALU_DEP_1)
	v_add_nc_u64_e32 v[14:15], v[10:11], v[86:87]
	v_add_nc_u64_e32 v[14:15], -1, v[14:15]
; %bb.5915:                             ;   in Loop: Header=BB6_3974 Depth=2
	s_or_b32 exec_lo, exec_lo, s29
	v_add_nc_u32_e32 v11, 0xffffff81, v54
	v_lshrrev_b32_e32 v15, 23, v10
	s_mov_b32 s7, exec_lo
	s_delay_alu instid0(VALU_DEP_2) | instskip(NEXT) | instid1(VALU_DEP_1)
	v_cndmask_b32_e64 v11, v11, 0xffffff82, vcc_lo
	v_add3_u32 v54, v55, v11, v15
	v_and_b32_e32 v11, 0xfffff, v14
                                        ; implicit-def: $vgpr14
	s_delay_alu instid0(VALU_DEP_2) | instskip(NEXT) | instid1(VALU_DEP_2)
	v_add_nc_u32_e32 v15, 6, v54
	v_add_nc_u32_e32 v86, v11, v10
                                        ; implicit-def: $vgpr10_vgpr11
	s_delay_alu instid0(VALU_DEP_2)
	v_cmpx_ne_u32_e32 0, v15
	s_xor_b32 s7, exec_lo, s7
; %bb.5916:                             ;   in Loop: Header=BB6_3974 Depth=2
	s_delay_alu instid0(VALU_DEP_2) | instskip(SKIP_1) | instid1(VALU_DEP_1)
	v_cmp_lt_u64_e32 vcc_lo, 0xffffff, v[86:87]
	v_add_nc_u32_e32 v10, 7, v54
	v_cndmask_b32_e32 v14, v15, v10, vcc_lo
	v_cndmask_b32_e64 v10, 0, 1, vcc_lo
	s_delay_alu instid0(VALU_DEP_1)
	v_lshrrev_b64 v[10:11], v10, v[86:87]
; %bb.5917:                             ;   in Loop: Header=BB6_3974 Depth=2
	s_and_not1_saveexec_b32 s7, s7
; %bb.5918:                             ;   in Loop: Header=BB6_3974 Depth=2
	v_mov_b64_e32 v[10:11], v[86:87]
	v_bfe_u32 v14, v86, 23, 1
; %bb.5919:                             ;   in Loop: Header=BB6_3974 Depth=2
	s_or_b32 exec_lo, exec_lo, s7
	s_delay_alu instid0(VALU_DEP_2) | instskip(NEXT) | instid1(VALU_DEP_2)
	v_lshrrev_b64 v[10:11], 20, v[10:11]
	v_cmp_gt_i32_e32 vcc_lo, 16, v14
	v_min_i32_e32 v15, 15, v14
	v_cmp_eq_u32_e64 s7, 0, v14
	s_delay_alu instid0(VALU_DEP_4) | instskip(NEXT) | instid1(VALU_DEP_3)
	v_cndmask_b32_e32 v11, 0, v11, vcc_lo
	v_dual_cndmask_b32 v10, 7, v10 :: v_dual_lshlrev_b32 v15, 3, v15
	s_delay_alu instid0(VALU_DEP_1) | instskip(NEXT) | instid1(VALU_DEP_2)
	v_and_b32_e32 v15, 0xf8, v15
	v_cmp_eq_u64_e32 vcc_lo, 0, v[10:11]
	s_delay_alu instid0(VALU_DEP_2)
	v_and_or_b32 v10, v10, 7, v15
	s_and_b32 s7, s7, vcc_lo
	s_delay_alu instid0(VALU_DEP_1) | instid1(SALU_CYCLE_1)
	v_cndmask_b32_e64 v10, v10, 0, s7
	s_delay_alu instid0(VALU_DEP_1)
	v_or_b32_e32 v14, v10, v102
.LBB6_5920:                             ;   in Loop: Header=BB6_3974 Depth=2
	s_or_b32 exec_lo, exec_lo, s28
                                        ; implicit-def: $vgpr102
.LBB6_5921:                             ;   in Loop: Header=BB6_3974 Depth=2
	s_and_not1_saveexec_b32 s7, s27
; %bb.5922:                             ;   in Loop: Header=BB6_3974 Depth=2
	v_or_b32_e32 v14, 0x7e, v102
; %bb.5923:                             ;   in Loop: Header=BB6_3974 Depth=2
	s_or_b32 exec_lo, exec_lo, s7
                                        ; implicit-def: $vgpr11
.LBB6_5924:                             ;   in Loop: Header=BB6_3974 Depth=2
	s_and_not1_saveexec_b32 s7, s26
; %bb.5925:                             ;   in Loop: Header=BB6_3974 Depth=2
	v_or_b32_e32 v14, 0x7f, v11
; %bb.5926:                             ;   in Loop: Header=BB6_3974 Depth=2
	s_or_b32 exec_lo, exec_lo, s7
	v_dual_mov_b32 v10, 0 :: v_dual_mov_b32 v11, 0
	s_mov_b32 s7, exec_lo
	v_cmpx_lt_u64_e64 s[12:13], v[16:17]
	s_cbranch_execz .LBB6_5934
; %bb.5927:                             ;   in Loop: Header=BB6_3974 Depth=2
	v_lshrrev_b32_e32 v15, 24, v17
	v_bfrev_b32_e32 v11, 1
	s_mov_b32 s26, exec_lo
	s_delay_alu instid0(VALU_DEP_2)
	v_cmpx_ne_u32_e32 0x80, v15
	s_cbranch_execz .LBB6_5933
; %bb.5928:                             ;   in Loop: Header=BB6_3974 Depth=2
	v_bfe_u32 v16, v17, 24, 7
	v_mov_b32_e32 v11, 0x7f800001
	s_mov_b32 s27, exec_lo
	s_delay_alu instid0(VALU_DEP_2)
	v_cmpx_ne_u32_e32 0x7f, v16
	s_cbranch_execz .LBB6_5932
; %bb.5929:                             ;   in Loop: Header=BB6_3974 Depth=2
	v_dual_lshrrev_b32 v11, 3, v16 :: v_dual_bitop2_b32 v86, 7, v15 bitop3:0x40
	s_mov_b32 s28, exec_lo
	v_cmpx_gt_u32_e32 8, v16
; %bb.5930:                             ;   in Loop: Header=BB6_3974 Depth=2
	s_delay_alu instid0(VALU_DEP_2) | instskip(NEXT) | instid1(VALU_DEP_1)
	v_clz_i32_u32_e32 v11, v86
	v_min_u32_e32 v11, 32, v11
	s_delay_alu instid0(VALU_DEP_1) | instskip(NEXT) | instid1(VALU_DEP_1)
	v_subrev_nc_u32_e32 v16, 28, v11
	v_lshlrev_b64_e32 v[16:17], v16, v[86:87]
	s_delay_alu instid0(VALU_DEP_1)
	v_dual_sub_nc_u32 v11, 29, v11 :: v_dual_bitop2_b32 v86, 7, v16 bitop3:0x40
; %bb.5931:                             ;   in Loop: Header=BB6_3974 Depth=2
	s_or_b32 exec_lo, exec_lo, s28
	s_delay_alu instid0(VALU_DEP_1) | instskip(NEXT) | instid1(VALU_DEP_2)
	v_dual_lshlrev_b32 v15, 24, v15 :: v_dual_lshlrev_b32 v16, 20, v86
	v_lshl_add_u32 v11, v11, 23, 0x3c000000
	s_delay_alu instid0(VALU_DEP_2) | instskip(NEXT) | instid1(VALU_DEP_1)
	v_and_b32_e32 v15, 0x80000000, v15
	v_or3_b32 v11, v16, v15, v11
.LBB6_5932:                             ;   in Loop: Header=BB6_3974 Depth=2
	s_or_b32 exec_lo, exec_lo, s27
.LBB6_5933:                             ;   in Loop: Header=BB6_3974 Depth=2
	s_delay_alu instid0(SALU_CYCLE_1)
	s_or_b32 exec_lo, exec_lo, s26
.LBB6_5934:                             ;   in Loop: Header=BB6_3974 Depth=2
	s_delay_alu instid0(SALU_CYCLE_1) | instskip(NEXT) | instid1(SALU_CYCLE_1)
	s_or_b32 exec_lo, exec_lo, s7
	s_mov_b32 s7, exec_lo
	v_cmpx_lt_u64_e64 s[12:13], v[12:13]
	s_cbranch_execz .LBB6_5942
; %bb.5935:                             ;   in Loop: Header=BB6_3974 Depth=2
	v_lshrrev_b32_e32 v12, 24, v13
	v_bfrev_b32_e32 v10, 1
	s_mov_b32 s26, exec_lo
	s_delay_alu instid0(VALU_DEP_2)
	v_cmpx_ne_u32_e32 0x80, v12
	s_cbranch_execz .LBB6_5941
; %bb.5936:                             ;   in Loop: Header=BB6_3974 Depth=2
	v_bfe_u32 v13, v13, 24, 7
	v_mov_b32_e32 v10, 0x7f800001
	s_mov_b32 s27, exec_lo
	s_delay_alu instid0(VALU_DEP_2)
	v_cmpx_ne_u32_e32 0x7f, v13
	s_cbranch_execz .LBB6_5940
; %bb.5937:                             ;   in Loop: Header=BB6_3974 Depth=2
	v_dual_lshrrev_b32 v10, 3, v13 :: v_dual_bitop2_b32 v86, 7, v12 bitop3:0x40
	s_mov_b32 s28, exec_lo
	v_cmpx_gt_u32_e32 8, v13
; %bb.5938:                             ;   in Loop: Header=BB6_3974 Depth=2
	s_delay_alu instid0(VALU_DEP_2) | instskip(NEXT) | instid1(VALU_DEP_1)
	v_clz_i32_u32_e32 v10, v86
	v_min_u32_e32 v10, 32, v10
	s_delay_alu instid0(VALU_DEP_1) | instskip(NEXT) | instid1(VALU_DEP_1)
	v_subrev_nc_u32_e32 v13, 28, v10
	v_lshlrev_b64_e32 v[16:17], v13, v[86:87]
	s_delay_alu instid0(VALU_DEP_1)
	v_dual_sub_nc_u32 v10, 29, v10 :: v_dual_bitop2_b32 v86, 7, v16 bitop3:0x40
; %bb.5939:                             ;   in Loop: Header=BB6_3974 Depth=2
	s_or_b32 exec_lo, exec_lo, s28
	s_delay_alu instid0(VALU_DEP_1) | instskip(NEXT) | instid1(VALU_DEP_2)
	v_dual_lshlrev_b32 v12, 24, v12 :: v_dual_lshlrev_b32 v13, 20, v86
	v_lshl_add_u32 v10, v10, 23, 0x3c000000
	s_delay_alu instid0(VALU_DEP_2) | instskip(NEXT) | instid1(VALU_DEP_1)
	v_and_b32_e32 v12, 0x80000000, v12
	v_or3_b32 v10, v13, v12, v10
.LBB6_5940:                             ;   in Loop: Header=BB6_3974 Depth=2
	s_or_b32 exec_lo, exec_lo, s27
.LBB6_5941:                             ;   in Loop: Header=BB6_3974 Depth=2
	s_delay_alu instid0(SALU_CYCLE_1)
	s_or_b32 exec_lo, exec_lo, s26
.LBB6_5942:                             ;   in Loop: Header=BB6_3974 Depth=2
	s_delay_alu instid0(SALU_CYCLE_1) | instskip(NEXT) | instid1(VALU_DEP_1)
	s_or_b32 exec_lo, exec_lo, s7
	v_mul_f32_e32 v11, v11, v10
                                        ; implicit-def: $vgpr10
	s_mov_b32 s7, exec_lo
	s_delay_alu instid0(VALU_DEP_1) | instskip(SKIP_1) | instid1(VALU_DEP_2)
	v_and_b32_e32 v86, 0x7f800000, v11
	v_lshrrev_b32_e32 v12, 24, v11
	v_cmpx_ne_u64_e32 0x7f800000, v[86:87]
	s_xor_b32 s26, exec_lo, s7
	s_cbranch_execz .LBB6_5956
; %bb.5943:                             ;   in Loop: Header=BB6_3974 Depth=2
	v_and_b32_e32 v86, 0x7fffffff, v11
	v_and_b32_e32 v15, 0x80, v12
                                        ; implicit-def: $vgpr10
	s_mov_b32 s7, exec_lo
	s_delay_alu instid0(VALU_DEP_2)
	v_cmpx_gt_u64_e32 0x43e00001, v[86:87]
	s_xor_b32 s27, exec_lo, s7
	s_cbranch_execz .LBB6_5953
; %bb.5944:                             ;   in Loop: Header=BB6_3974 Depth=2
	v_mov_b32_e32 v10, 0
	s_mov_b32 s28, exec_lo
	v_cmpx_ne_u32_e32 0, v11
	s_cbranch_execz .LBB6_5952
; %bb.5945:                             ;   in Loop: Header=BB6_3974 Depth=2
	v_and_b32_e32 v10, 0x7fffff, v11
	v_bfe_u32 v16, v11, 23, 8
	s_delay_alu instid0(VALU_DEP_2) | instskip(NEXT) | instid1(VALU_DEP_2)
	v_or_b32_e32 v12, 0x800000, v10
	v_cmp_eq_u32_e32 vcc_lo, 0, v16
	v_cmp_gt_u32_e64 s7, 0x7a, v16
	s_delay_alu instid0(VALU_DEP_3) | instskip(NEXT) | instid1(VALU_DEP_1)
	v_dual_cndmask_b32 v86, v12, v10 :: v_dual_sub_nc_u32 v11, 0x79, v16
	v_cndmask_b32_e64 v11, 0, v11, s7
	s_delay_alu instid0(VALU_DEP_1) | instskip(NEXT) | instid1(VALU_DEP_1)
	v_cndmask_b32_e64 v17, v11, 0x78, vcc_lo
	v_dual_add_nc_u32 v10, 20, v17 :: v_dual_add_nc_u32 v12, 19, v17
	s_delay_alu instid0(VALU_DEP_1) | instskip(NEXT) | instid1(VALU_DEP_2)
	v_lshlrev_b64_e64 v[10:11], v10, -1
	v_lshlrev_b64_e64 v[12:13], v12, 1
	s_delay_alu instid0(VALU_DEP_2) | instskip(NEXT) | instid1(VALU_DEP_3)
	v_bfi_b32 v11, v11, 0, 0
	v_bfi_b32 v10, v10, 0, v86
	s_delay_alu instid0(VALU_DEP_1) | instskip(SKIP_1) | instid1(VALU_DEP_1)
	v_cmp_eq_u64_e64 s7, v[10:11], v[12:13]
	v_lshrrev_b64 v[10:11], v17, v[86:87]
	v_mov_b64_e32 v[12:13], v[10:11]
	s_and_saveexec_b32 s29, s7
; %bb.5946:                             ;   in Loop: Header=BB6_3974 Depth=2
	v_bfe_u32 v86, v10, 20, 1
	s_delay_alu instid0(VALU_DEP_1) | instskip(NEXT) | instid1(VALU_DEP_1)
	v_add_nc_u64_e32 v[12:13], v[10:11], v[86:87]
	v_add_nc_u64_e32 v[12:13], -1, v[12:13]
; %bb.5947:                             ;   in Loop: Header=BB6_3974 Depth=2
	s_or_b32 exec_lo, exec_lo, s29
	v_add_nc_u32_e32 v11, 0xffffff81, v16
	v_lshrrev_b32_e32 v13, 23, v10
	s_mov_b32 s7, exec_lo
	s_delay_alu instid0(VALU_DEP_2) | instskip(NEXT) | instid1(VALU_DEP_1)
	v_cndmask_b32_e64 v11, v11, 0xffffff82, vcc_lo
	v_add3_u32 v16, v17, v11, v13
	v_and_b32_e32 v11, 0xfffff, v12
                                        ; implicit-def: $vgpr12
	s_delay_alu instid0(VALU_DEP_1) | instskip(NEXT) | instid1(VALU_DEP_1)
	v_dual_add_nc_u32 v13, 6, v16 :: v_dual_add_nc_u32 v86, v11, v10
                                        ; implicit-def: $vgpr10_vgpr11
	v_cmpx_ne_u32_e32 0, v13
	s_xor_b32 s7, exec_lo, s7
; %bb.5948:                             ;   in Loop: Header=BB6_3974 Depth=2
	s_delay_alu instid0(VALU_DEP_2) | instskip(SKIP_1) | instid1(VALU_DEP_1)
	v_cmp_lt_u64_e32 vcc_lo, 0xffffff, v[86:87]
	v_add_nc_u32_e32 v10, 7, v16
	v_cndmask_b32_e32 v12, v13, v10, vcc_lo
	v_cndmask_b32_e64 v10, 0, 1, vcc_lo
	s_delay_alu instid0(VALU_DEP_1)
	v_lshrrev_b64 v[10:11], v10, v[86:87]
; %bb.5949:                             ;   in Loop: Header=BB6_3974 Depth=2
	s_and_not1_saveexec_b32 s7, s7
; %bb.5950:                             ;   in Loop: Header=BB6_3974 Depth=2
	v_mov_b64_e32 v[10:11], v[86:87]
	v_bfe_u32 v12, v86, 23, 1
; %bb.5951:                             ;   in Loop: Header=BB6_3974 Depth=2
	s_or_b32 exec_lo, exec_lo, s7
	s_delay_alu instid0(VALU_DEP_2) | instskip(NEXT) | instid1(VALU_DEP_2)
	v_lshrrev_b64 v[10:11], 20, v[10:11]
	v_cmp_gt_i32_e32 vcc_lo, 16, v12
	v_min_i32_e32 v13, 15, v12
	v_cmp_eq_u32_e64 s7, 0, v12
	s_delay_alu instid0(VALU_DEP_2) | instskip(SKIP_1) | instid1(VALU_DEP_2)
	v_dual_cndmask_b32 v11, 0, v11, vcc_lo :: v_dual_lshlrev_b32 v13, 3, v13
	v_cndmask_b32_e32 v10, 7, v10, vcc_lo
	v_and_b32_e32 v13, 0xf8, v13
	s_delay_alu instid0(VALU_DEP_2) | instskip(NEXT) | instid1(VALU_DEP_2)
	v_cmp_eq_u64_e32 vcc_lo, 0, v[10:11]
	v_and_or_b32 v10, v10, 7, v13
	s_and_b32 s7, s7, vcc_lo
	s_delay_alu instid0(VALU_DEP_1) | instid1(SALU_CYCLE_1)
	v_cndmask_b32_e64 v10, v10, 0, s7
	s_delay_alu instid0(VALU_DEP_1)
	v_or_b32_e32 v10, v10, v15
.LBB6_5952:                             ;   in Loop: Header=BB6_3974 Depth=2
	s_or_b32 exec_lo, exec_lo, s28
                                        ; implicit-def: $vgpr15
.LBB6_5953:                             ;   in Loop: Header=BB6_3974 Depth=2
	s_and_not1_saveexec_b32 s7, s27
; %bb.5954:                             ;   in Loop: Header=BB6_3974 Depth=2
	v_or_b32_e32 v10, 0x7e, v15
; %bb.5955:                             ;   in Loop: Header=BB6_3974 Depth=2
	s_or_b32 exec_lo, exec_lo, s7
                                        ; implicit-def: $vgpr12
.LBB6_5956:                             ;   in Loop: Header=BB6_3974 Depth=2
	s_and_not1_saveexec_b32 s7, s26
	s_cbranch_execz .LBB6_3973
; %bb.5957:                             ;   in Loop: Header=BB6_3974 Depth=2
	v_or_b32_e32 v10, 0x7f, v12
	s_branch .LBB6_3973
.LBB6_5958:                             ;   in Loop: Header=BB6_3899 Depth=1
	s_or_b32 exec_lo, exec_lo, s11
.LBB6_5959:                             ;   in Loop: Header=BB6_3899 Depth=1
	s_delay_alu instid0(SALU_CYCLE_1) | instskip(SKIP_4) | instid1(VALU_DEP_2)
	s_or_b32 exec_lo, exec_lo, s10
	v_and_b32_e32 v11, 0x3ffff800, v73
	v_mov_b32_e32 v20, 0
	s_mov_b32 s7, 0
	s_mov_b32 s26, exec_lo
                                        ; implicit-def: $vgpr21
                                        ; implicit-def: $vgpr22
                                        ; implicit-def: $vgpr10
	v_cmpx_ne_u32_e64 v73, v11
	s_cbranch_execz .LBB6_6463
; %bb.5960:                             ;   in Loop: Header=BB6_3899 Depth=1
	scratch_load_b32 v3, off, s33 offset:220 ; 4-byte Folded Reload
	v_lshlrev_b32_e32 v2, 5, v74
	v_and_b32_e32 v32, 0x1ff, v73
	v_bfe_u32 v13, v73, 9, 2
	v_and_b32_e32 v12, 0x7ff, v73
	s_mov_b32 s27, exec_lo
	s_delay_alu instid0(VALU_DEP_3) | instskip(NEXT) | instid1(VALU_DEP_3)
	v_cmp_lt_u32_e32 vcc_lo, 15, v32
	v_add_co_ci_u32_e64 v13, null, 0, v13, vcc_lo
	s_wait_loadcnt 0x0
	v_sub_nc_u32_e32 v2, v3, v2
	s_delay_alu instid0(VALU_DEP_1) | instskip(NEXT) | instid1(VALU_DEP_1)
	v_ashrrev_i32_e32 v3, 31, v2
	v_lshrrev_b32_e32 v3, 27, v3
	s_delay_alu instid0(VALU_DEP_1) | instskip(NEXT) | instid1(VALU_DEP_1)
	v_add_nc_u32_e32 v3, v2, v3
	v_and_b32_e32 v10, 0xffffffe0, v3
	s_delay_alu instid0(VALU_DEP_1) | instskip(NEXT) | instid1(VALU_DEP_1)
	v_dual_ashrrev_i32 v3, 5, v3 :: v_dual_sub_nc_u32 v2, v2, v10
	v_lshlrev_b32_e32 v10, 4, v2
	s_delay_alu instid0(VALU_DEP_1) | instskip(NEXT) | instid1(VALU_DEP_1)
	v_lshl_add_u32 v10, v3, 9, v10
	v_dual_sub_nc_u32 v3, v13, v3 :: v_dual_sub_nc_u32 v33, v12, v10
	s_wait_xcnt 0x0
	s_delay_alu instid0(VALU_DEP_1)
	v_cmpx_lt_i32_e32 15, v33
	s_cbranch_execz .LBB6_6460
; %bb.5961:                             ;   in Loop: Header=BB6_3899 Depth=1
	s_trap 2
	ds_load_b64 v[12:13], v0
	v_add_nc_u32_e32 v10, v10, v11
	s_mov_b32 s28, 0
	s_delay_alu instid0(VALU_DEP_1) | instskip(NEXT) | instid1(VALU_DEP_1)
	v_ashrrev_i32_e32 v11, 31, v10
	v_add_nc_u64_e32 v[18:19], v[10:11], v[118:119]
	v_add_nc_u64_e32 v[22:23], v[10:11], v[40:41]
	s_wait_dscnt 0x0
	v_add_nc_u64_e32 v[20:21], v[12:13], v[10:11]
	s_branch .LBB6_5963
.LBB6_5962:                             ;   in Loop: Header=BB6_5963 Depth=2
	s_or_b32 exec_lo, exec_lo, s7
	v_lshl_or_b32 v11, v29, 8, v28
	v_dual_lshlrev_b32 v12, 16, v26 :: v_dual_lshlrev_b32 v13, 24, v27
	v_lshl_or_b32 v15, v35, 8, v34
	v_dual_lshlrev_b32 v16, 16, v36 :: v_dual_lshlrev_b32 v17, 24, v37
	;; [unrolled: 2-line block ×3, first 2 shown]
	v_dual_lshlrev_b32 v29, 24, v10 :: v_dual_sub_nc_u32 v33, v33, v100
	v_dual_lshlrev_b32 v14, 16, v14 :: v_dual_sub_nc_u32 v3, v3, v84
	v_lshl_or_b32 v24, v25, 8, v24
	v_or3_b32 v11, v11, v12, v13
	v_or3_b32 v10, v15, v16, v17
	;; [unrolled: 1-line block ×3, first 2 shown]
	v_add_nc_u64_e32 v[18:19], v[18:19], v[100:101]
	v_or3_b32 v13, v24, v14, v29
	v_add_nc_u64_e32 v[20:21], v[20:21], v[100:101]
	v_cmp_gt_i32_e64 s7, 16, v33
	global_store_b128 v[22:23], v[10:13], off th:TH_STORE_NT
	s_wait_xcnt 0x0
	v_add_nc_u64_e32 v[22:23], v[22:23], v[100:101]
	s_or_b32 s28, s7, s28
	s_delay_alu instid0(SALU_CYCLE_1)
	s_and_not1_b32 exec_lo, exec_lo, s28
	s_cbranch_execz .LBB6_6459
.LBB6_5963:                             ;   Parent Loop BB6_3899 Depth=1
                                        ; =>  This Inner Loop Header: Depth=2
	global_load_b128 v[14:17], v[18:19], off th:TH_LOAD_NT
	global_load_b128 v[10:13], v[20:21], off th:TH_LOAD_NT
	v_mov_b32_e32 v24, 0
	s_mov_b32 s10, exec_lo
	s_wait_loadcnt 0x1
	v_and_b32_e32 v25, 0xff, v14
	s_wait_xcnt 0x0
	s_delay_alu instid0(VALU_DEP_1)
	v_cmpx_ne_u16_e32 0, v25
	s_cbranch_execz .LBB6_5969
; %bb.5964:                             ;   in Loop: Header=BB6_5963 Depth=2
	v_bfrev_b32_e32 v24, 1
	s_mov_b32 s11, exec_lo
	v_cmpx_ne_u16_e32 0x80, v25
	s_cbranch_execz .LBB6_5968
; %bb.5965:                             ;   in Loop: Header=BB6_5963 Depth=2
	v_and_b32_e32 v25, 0x7f, v14
	v_mov_b32_e32 v24, 0x7f800001
	s_mov_b32 s29, exec_lo
	s_delay_alu instid0(VALU_DEP_2)
	v_cmpx_ne_u32_e32 0x7f, v25
	s_cbranch_execz .LBB6_5967
; %bb.5966:                             ;   in Loop: Header=BB6_5963 Depth=2
	v_dual_lshrrev_b32 v26, 3, v25 :: v_dual_bitop2_b32 v24, 7, v14 bitop3:0x40
	v_cmp_gt_u32_e64 s7, 8, v25
	s_delay_alu instid0(VALU_DEP_2) | instskip(NEXT) | instid1(VALU_DEP_1)
	v_clz_i32_u32_e32 v24, v24
	v_min_u32_e32 v24, 32, v24
	s_delay_alu instid0(VALU_DEP_1) | instskip(SKIP_1) | instid1(VALU_DEP_1)
	v_subrev_nc_u32_e32 v27, 28, v24
	v_sub_nc_u32_e32 v24, 29, v24
	v_dual_cndmask_b32 v26, v26, v24, s7 :: v_dual_cndmask_b32 v24, 0, v27, s7
	s_delay_alu instid0(VALU_DEP_1) | instskip(NEXT) | instid1(VALU_DEP_2)
	v_lshl_add_u32 v26, v26, 23, 0x3c000000
	v_lshlrev_b64_e32 v[24:25], v24, v[14:15]
	v_lshlrev_b32_e32 v25, 24, v14
	s_delay_alu instid0(VALU_DEP_1) | instskip(NEXT) | instid1(VALU_DEP_3)
	v_and_b32_e32 v25, 0x80000000, v25
	v_lshlrev_b32_e32 v24, 20, v24
	s_delay_alu instid0(VALU_DEP_1) | instskip(NEXT) | instid1(VALU_DEP_1)
	v_and_b32_e32 v24, 0x700000, v24
	v_or3_b32 v24, v24, v25, v26
.LBB6_5967:                             ;   in Loop: Header=BB6_5963 Depth=2
	s_or_b32 exec_lo, exec_lo, s29
.LBB6_5968:                             ;   in Loop: Header=BB6_5963 Depth=2
	s_delay_alu instid0(SALU_CYCLE_1)
	s_or_b32 exec_lo, exec_lo, s11
.LBB6_5969:                             ;   in Loop: Header=BB6_5963 Depth=2
	s_delay_alu instid0(SALU_CYCLE_1) | instskip(SKIP_4) | instid1(VALU_DEP_1)
	s_or_b32 exec_lo, exec_lo, s10
	s_wait_loadcnt 0x0
	v_and_b32_e32 v26, 0xff, v10
	s_mov_b32 s10, 0
	s_mov_b32 s11, exec_lo
	v_cmpx_lt_i16_e32 0x7f, v26
	s_xor_b32 s11, exec_lo, s11
	s_cbranch_execz .LBB6_6004
; %bb.5970:                             ;   in Loop: Header=BB6_5963 Depth=2
	s_mov_b32 s10, -1
	s_mov_b32 s29, exec_lo
	v_cmpx_eq_u16_e32 0x80, v26
; %bb.5971:                             ;   in Loop: Header=BB6_5963 Depth=2
	s_xor_b32 s10, exec_lo, -1
; %bb.5972:                             ;   in Loop: Header=BB6_5963 Depth=2
	s_or_b32 exec_lo, exec_lo, s29
	s_delay_alu instid0(SALU_CYCLE_1)
	s_and_b32 s10, s10, exec_lo
                                        ; implicit-def: $vgpr26
	s_or_saveexec_b32 s11, s11
	v_bfrev_b32_e32 v25, 1
	s_xor_b32 exec_lo, exec_lo, s11
	s_cbranch_execnz .LBB6_6005
.LBB6_5973:                             ;   in Loop: Header=BB6_5963 Depth=2
	s_or_b32 exec_lo, exec_lo, s11
	s_and_saveexec_b32 s11, s10
	s_cbranch_execz .LBB6_5975
.LBB6_5974:                             ;   in Loop: Header=BB6_5963 Depth=2
	v_and_b32_e32 v28, 0x7f, v10
	v_bfe_u32 v26, v10, 3, 4
	s_delay_alu instid0(VALU_DEP_2) | instskip(SKIP_1) | instid1(VALU_DEP_1)
	v_cmp_gt_u32_e64 s7, 8, v28
	v_and_b32_e32 v25, 7, v10
	v_clz_i32_u32_e32 v25, v25
	s_delay_alu instid0(VALU_DEP_1) | instskip(NEXT) | instid1(VALU_DEP_1)
	v_min_u32_e32 v25, 32, v25
	v_subrev_nc_u32_e32 v27, 28, v25
	v_sub_nc_u32_e32 v25, 29, v25
	s_delay_alu instid0(VALU_DEP_1) | instskip(SKIP_1) | instid1(VALU_DEP_2)
	v_dual_cndmask_b32 v25, v26, v25, s7 :: v_dual_cndmask_b32 v26, 0, v27, s7
	v_cmp_ne_u32_e64 s7, 0x7f, v28
	v_lshlrev_b64_e32 v[26:27], v26, v[10:11]
	v_lshlrev_b32_e32 v27, 24, v10
	s_delay_alu instid0(VALU_DEP_1) | instskip(NEXT) | instid1(VALU_DEP_3)
	v_and_b32_e32 v27, 0x80000000, v27
	v_lshlrev_b32_e32 v26, 20, v26
	v_lshl_add_u32 v25, v25, 23, 0x3c000000
	s_delay_alu instid0(VALU_DEP_2) | instskip(NEXT) | instid1(VALU_DEP_1)
	v_and_b32_e32 v26, 0x700000, v26
	v_or3_b32 v25, v26, v27, v25
	s_delay_alu instid0(VALU_DEP_1)
	v_cndmask_b32_e64 v25, 0x7f800001, v25, s7
.LBB6_5975:                             ;   in Loop: Header=BB6_5963 Depth=2
	s_or_b32 exec_lo, exec_lo, s11
	s_delay_alu instid0(VALU_DEP_1) | instskip(SKIP_1) | instid1(VALU_DEP_1)
	v_mul_f32_e32 v24, v24, v25
                                        ; implicit-def: $vgpr34
	s_mov_b32 s10, exec_lo
	v_and_b32_e32 v86, 0x7f800000, v24
	v_lshrrev_b32_e32 v25, 24, v24
	s_delay_alu instid0(VALU_DEP_2)
	v_cmpx_ne_u64_e32 0x7f800000, v[86:87]
	s_xor_b32 s11, exec_lo, s10
	s_cbranch_execz .LBB6_5989
; %bb.5976:                             ;   in Loop: Header=BB6_5963 Depth=2
	v_and_b32_e32 v86, 0x7fffffff, v24
	v_and_b32_e32 v28, 0x80, v25
                                        ; implicit-def: $vgpr34
	s_mov_b32 s10, exec_lo
	s_delay_alu instid0(VALU_DEP_2)
	v_cmpx_gt_u64_e32 0x43e00001, v[86:87]
	s_xor_b32 s29, exec_lo, s10
	s_cbranch_execz .LBB6_5986
; %bb.5977:                             ;   in Loop: Header=BB6_5963 Depth=2
	v_mov_b32_e32 v34, 0
	s_mov_b32 s40, exec_lo
	v_cmpx_ne_u32_e32 0, v24
	s_cbranch_execz .LBB6_5985
; %bb.5978:                             ;   in Loop: Header=BB6_5963 Depth=2
	v_bfe_u32 v29, v24, 23, 8
	v_and_b32_e32 v26, 0x7fffff, v24
	s_delay_alu instid0(VALU_DEP_2) | instskip(SKIP_1) | instid1(VALU_DEP_3)
	v_sub_nc_u32_e32 v25, 0x79, v29
	v_cmp_gt_u32_e64 s7, 0x7a, v29
	v_or_b32_e32 v27, 0x800000, v26
	s_delay_alu instid0(VALU_DEP_2) | instskip(SKIP_1) | instid1(VALU_DEP_1)
	v_cndmask_b32_e64 v25, 0, v25, s7
	v_cmp_eq_u32_e64 s7, 0, v29
	v_cndmask_b32_e64 v31, v25, 0x78, s7
	s_delay_alu instid0(VALU_DEP_1) | instskip(SKIP_1) | instid1(VALU_DEP_2)
	v_dual_cndmask_b32 v86, v27, v26, s7 :: v_dual_add_nc_u32 v34, 19, v31
	v_add_nc_u32_e32 v24, 20, v31
	v_lshlrev_b64_e64 v[26:27], v34, 1
	s_delay_alu instid0(VALU_DEP_2) | instskip(NEXT) | instid1(VALU_DEP_1)
	v_lshlrev_b64_e64 v[24:25], v24, -1
	v_bfi_b32 v35, v25, 0, 0
	s_delay_alu instid0(VALU_DEP_2) | instskip(SKIP_1) | instid1(VALU_DEP_2)
	v_bfi_b32 v34, v24, 0, v86
	v_lshrrev_b64 v[24:25], v31, v[86:87]
	v_cmp_eq_u64_e64 s10, v[34:35], v[26:27]
	s_delay_alu instid0(VALU_DEP_2)
	v_mov_b64_e32 v[26:27], v[24:25]
	s_and_saveexec_b32 s41, s10
; %bb.5979:                             ;   in Loop: Header=BB6_5963 Depth=2
	v_bfe_u32 v86, v24, 20, 1
	s_delay_alu instid0(VALU_DEP_1) | instskip(NEXT) | instid1(VALU_DEP_1)
	v_add_nc_u64_e32 v[26:27], v[24:25], v[86:87]
	v_add_nc_u64_e32 v[26:27], -1, v[26:27]
; %bb.5980:                             ;   in Loop: Header=BB6_5963 Depth=2
	s_or_b32 exec_lo, exec_lo, s41
	v_add_nc_u32_e32 v25, 0xffffff81, v29
	v_lshrrev_b32_e32 v27, 23, v24
	s_mov_b32 s10, exec_lo
	s_delay_alu instid0(VALU_DEP_2) | instskip(NEXT) | instid1(VALU_DEP_1)
	v_cndmask_b32_e64 v25, v25, 0xffffff82, s7
	v_add3_u32 v27, v31, v25, v27
	v_and_b32_e32 v25, 0xfffff, v26
                                        ; implicit-def: $vgpr26
	s_delay_alu instid0(VALU_DEP_1) | instskip(NEXT) | instid1(VALU_DEP_1)
	v_dual_add_nc_u32 v29, 6, v27 :: v_dual_add_nc_u32 v86, v25, v24
                                        ; implicit-def: $vgpr24_vgpr25
	v_cmpx_ne_u32_e32 0, v29
	s_xor_b32 s10, exec_lo, s10
; %bb.5981:                             ;   in Loop: Header=BB6_5963 Depth=2
	s_delay_alu instid0(VALU_DEP_2) | instskip(SKIP_1) | instid1(VALU_DEP_1)
	v_cmp_lt_u64_e64 s7, 0xffffff, v[86:87]
	v_add_nc_u32_e32 v24, 7, v27
	v_cndmask_b32_e64 v26, v29, v24, s7
	v_cndmask_b32_e64 v24, 0, 1, s7
	s_delay_alu instid0(VALU_DEP_1)
	v_lshrrev_b64 v[24:25], v24, v[86:87]
; %bb.5982:                             ;   in Loop: Header=BB6_5963 Depth=2
	s_and_not1_saveexec_b32 s7, s10
; %bb.5983:                             ;   in Loop: Header=BB6_5963 Depth=2
	v_mov_b64_e32 v[24:25], v[86:87]
	v_bfe_u32 v26, v86, 23, 1
; %bb.5984:                             ;   in Loop: Header=BB6_5963 Depth=2
	s_or_b32 exec_lo, exec_lo, s7
	s_delay_alu instid0(VALU_DEP_2) | instskip(NEXT) | instid1(VALU_DEP_2)
	v_lshrrev_b64 v[24:25], 20, v[24:25]
	v_cmp_gt_i32_e64 s7, 16, v26
	v_min_i32_e32 v27, 15, v26
	v_cmp_eq_u32_e64 s10, 0, v26
	s_delay_alu instid0(VALU_DEP_2) | instskip(SKIP_1) | instid1(VALU_DEP_2)
	v_dual_cndmask_b32 v25, 0, v25, s7 :: v_dual_lshlrev_b32 v27, 3, v27
	v_cndmask_b32_e64 v24, 7, v24, s7
	v_and_b32_e32 v27, 0xf8, v27
	s_delay_alu instid0(VALU_DEP_2) | instskip(NEXT) | instid1(VALU_DEP_2)
	v_cmp_eq_u64_e64 s7, 0, v[24:25]
	v_and_or_b32 v24, v24, 7, v27
	s_and_b32 s7, s10, s7
	s_delay_alu instid0(VALU_DEP_1) | instid1(SALU_CYCLE_1)
	v_cndmask_b32_e64 v24, v24, 0, s7
	s_delay_alu instid0(VALU_DEP_1)
	v_or_b32_e32 v34, v24, v28
.LBB6_5985:                             ;   in Loop: Header=BB6_5963 Depth=2
	s_or_b32 exec_lo, exec_lo, s40
                                        ; implicit-def: $vgpr28
.LBB6_5986:                             ;   in Loop: Header=BB6_5963 Depth=2
	s_and_not1_saveexec_b32 s7, s29
; %bb.5987:                             ;   in Loop: Header=BB6_5963 Depth=2
	v_or_b32_e32 v34, 0x7e, v28
; %bb.5988:                             ;   in Loop: Header=BB6_5963 Depth=2
	s_or_b32 exec_lo, exec_lo, s7
                                        ; implicit-def: $vgpr25
.LBB6_5989:                             ;   in Loop: Header=BB6_5963 Depth=2
	s_and_not1_saveexec_b32 s7, s11
; %bb.5990:                             ;   in Loop: Header=BB6_5963 Depth=2
	v_or_b32_e32 v34, 0x7f, v25
; %bb.5991:                             ;   in Loop: Header=BB6_5963 Depth=2
	s_or_b32 exec_lo, exec_lo, s7
	v_lshrrev_b16 v24, 8, v14
	v_mov_b32_e32 v25, 0
	s_mov_b32 s10, exec_lo
	s_delay_alu instid0(VALU_DEP_2)
	v_cmpx_ne_u16_e32 0, v24
	s_cbranch_execz .LBB6_5999
; %bb.5992:                             ;   in Loop: Header=BB6_5963 Depth=2
	v_bfrev_b32_e32 v25, 1
	s_mov_b32 s11, exec_lo
	v_cmpx_ne_u16_e32 0x80, v24
	s_cbranch_execz .LBB6_5998
; %bb.5993:                             ;   in Loop: Header=BB6_5963 Depth=2
	v_and_b32_e32 v24, 0xffff, v24
	v_mov_b32_e32 v25, 0x7f800001
	s_mov_b32 s29, exec_lo
	s_delay_alu instid0(VALU_DEP_2) | instskip(NEXT) | instid1(VALU_DEP_1)
	v_and_b32_e32 v26, 0x7f, v24
	v_cmpx_ne_u32_e32 0x7f, v26
	s_cbranch_execz .LBB6_5997
; %bb.5994:                             ;   in Loop: Header=BB6_5963 Depth=2
	v_dual_lshrrev_b32 v24, 3, v26 :: v_dual_bitop2_b32 v86, 7, v24 bitop3:0x40
	s_mov_b32 s40, exec_lo
	v_cmpx_gt_u32_e32 8, v26
; %bb.5995:                             ;   in Loop: Header=BB6_5963 Depth=2
	s_delay_alu instid0(VALU_DEP_2) | instskip(NEXT) | instid1(VALU_DEP_1)
	v_clz_i32_u32_e32 v24, v86
	v_min_u32_e32 v24, 32, v24
	s_delay_alu instid0(VALU_DEP_1) | instskip(NEXT) | instid1(VALU_DEP_1)
	v_subrev_nc_u32_e32 v25, 28, v24
	v_lshlrev_b64_e32 v[26:27], v25, v[86:87]
	s_delay_alu instid0(VALU_DEP_1)
	v_dual_sub_nc_u32 v24, 29, v24 :: v_dual_bitop2_b32 v86, 7, v26 bitop3:0x40
; %bb.5996:                             ;   in Loop: Header=BB6_5963 Depth=2
	s_or_b32 exec_lo, exec_lo, s40
	v_lshlrev_b32_e32 v25, 16, v14
	s_delay_alu instid0(VALU_DEP_2) | instskip(NEXT) | instid1(VALU_DEP_3)
	v_lshlrev_b32_e32 v26, 20, v86
	v_lshl_add_u32 v24, v24, 23, 0x3c000000
	s_delay_alu instid0(VALU_DEP_3) | instskip(NEXT) | instid1(VALU_DEP_1)
	v_and_b32_e32 v25, 0x80000000, v25
	v_or3_b32 v25, v26, v25, v24
.LBB6_5997:                             ;   in Loop: Header=BB6_5963 Depth=2
	s_or_b32 exec_lo, exec_lo, s29
.LBB6_5998:                             ;   in Loop: Header=BB6_5963 Depth=2
	s_delay_alu instid0(SALU_CYCLE_1)
	s_or_b32 exec_lo, exec_lo, s11
.LBB6_5999:                             ;   in Loop: Header=BB6_5963 Depth=2
	s_delay_alu instid0(SALU_CYCLE_1) | instskip(SKIP_3) | instid1(VALU_DEP_1)
	s_or_b32 exec_lo, exec_lo, s10
	v_lshrrev_b16 v26, 8, v10
	s_mov_b32 s11, 0
	s_mov_b32 s10, exec_lo
	v_cmpx_lt_i16_e32 0x7f, v26
	s_xor_b32 s10, exec_lo, s10
	s_cbranch_execz .LBB6_6006
; %bb.6000:                             ;   in Loop: Header=BB6_5963 Depth=2
	s_mov_b32 s11, -1
	s_mov_b32 s29, exec_lo
	v_cmpx_eq_u16_e32 0x80, v26
; %bb.6001:                             ;   in Loop: Header=BB6_5963 Depth=2
	s_xor_b32 s11, exec_lo, -1
; %bb.6002:                             ;   in Loop: Header=BB6_5963 Depth=2
	s_or_b32 exec_lo, exec_lo, s29
	s_delay_alu instid0(SALU_CYCLE_1)
	s_and_b32 s11, s11, exec_lo
	s_or_saveexec_b32 s10, s10
	v_bfrev_b32_e32 v27, 1
	s_xor_b32 exec_lo, exec_lo, s10
	s_cbranch_execnz .LBB6_6007
.LBB6_6003:                             ;   in Loop: Header=BB6_5963 Depth=2
	s_or_b32 exec_lo, exec_lo, s10
	s_and_saveexec_b32 s10, s11
	s_cbranch_execnz .LBB6_6008
	s_branch .LBB6_6011
.LBB6_6004:                             ;   in Loop: Header=BB6_5963 Depth=2
	s_or_saveexec_b32 s11, s11
	v_bfrev_b32_e32 v25, 1
	s_xor_b32 exec_lo, exec_lo, s11
	s_cbranch_execz .LBB6_5973
.LBB6_6005:                             ;   in Loop: Header=BB6_5963 Depth=2
	v_cmp_ne_u16_e64 s7, 0, v26
	v_mov_b32_e32 v25, 0
	s_and_not1_b32 s10, s10, exec_lo
	s_and_b32 s7, s7, exec_lo
	s_delay_alu instid0(SALU_CYCLE_1)
	s_or_b32 s10, s10, s7
	s_or_b32 exec_lo, exec_lo, s11
	s_and_saveexec_b32 s11, s10
	s_cbranch_execnz .LBB6_5974
	s_branch .LBB6_5975
.LBB6_6006:                             ;   in Loop: Header=BB6_5963 Depth=2
	s_or_saveexec_b32 s10, s10
	v_bfrev_b32_e32 v27, 1
	s_xor_b32 exec_lo, exec_lo, s10
	s_cbranch_execz .LBB6_6003
.LBB6_6007:                             ;   in Loop: Header=BB6_5963 Depth=2
	v_cmp_ne_u16_e64 s7, 0, v26
	v_mov_b32_e32 v27, 0
	s_and_not1_b32 s11, s11, exec_lo
	s_and_b32 s7, s7, exec_lo
	s_delay_alu instid0(SALU_CYCLE_1)
	s_or_b32 s11, s11, s7
	s_or_b32 exec_lo, exec_lo, s10
	s_and_saveexec_b32 s10, s11
	s_cbranch_execz .LBB6_6011
.LBB6_6008:                             ;   in Loop: Header=BB6_5963 Depth=2
	v_and_b32_e32 v24, 0xffff, v26
	v_mov_b32_e32 v27, 0x7f800001
	s_mov_b32 s11, exec_lo
	s_delay_alu instid0(VALU_DEP_2) | instskip(NEXT) | instid1(VALU_DEP_1)
	v_and_b32_e32 v28, 0x7f, v24
	v_cmpx_ne_u32_e32 0x7f, v28
	s_cbranch_execz .LBB6_6010
; %bb.6009:                             ;   in Loop: Header=BB6_5963 Depth=2
	v_and_b32_e32 v27, 7, v24
	v_cmp_gt_u32_e64 s7, 8, v28
	v_lshlrev_b32_e32 v26, 24, v26
	s_delay_alu instid0(VALU_DEP_3) | instskip(NEXT) | instid1(VALU_DEP_2)
	v_clz_i32_u32_e32 v29, v27
	v_and_b32_e32 v26, 0x80000000, v26
	s_delay_alu instid0(VALU_DEP_2) | instskip(NEXT) | instid1(VALU_DEP_1)
	v_min_u32_e32 v29, 32, v29
	v_subrev_nc_u32_e32 v31, 28, v29
	v_sub_nc_u32_e32 v29, 29, v29
	s_delay_alu instid0(VALU_DEP_2) | instskip(SKIP_1) | instid1(VALU_DEP_1)
	v_lshlrev_b64_e32 v[36:37], v31, v[24:25]
	v_lshrrev_b32_e32 v24, 3, v28
	v_dual_cndmask_b32 v24, v24, v29, s7 :: v_dual_bitop2_b32 v28, 7, v36 bitop3:0x40
	s_delay_alu instid0(VALU_DEP_1) | instskip(NEXT) | instid1(VALU_DEP_2)
	v_lshl_add_u32 v24, v24, 23, 0x3c000000
	v_cndmask_b32_e64 v27, v27, v28, s7
	s_delay_alu instid0(VALU_DEP_1) | instskip(NEXT) | instid1(VALU_DEP_1)
	v_lshlrev_b32_e32 v27, 20, v27
	v_or3_b32 v27, v27, v26, v24
.LBB6_6010:                             ;   in Loop: Header=BB6_5963 Depth=2
	s_or_b32 exec_lo, exec_lo, s11
.LBB6_6011:                             ;   in Loop: Header=BB6_5963 Depth=2
	s_delay_alu instid0(SALU_CYCLE_1) | instskip(NEXT) | instid1(VALU_DEP_1)
	s_or_b32 exec_lo, exec_lo, s10
	v_mul_f32_e32 v24, v25, v27
                                        ; implicit-def: $vgpr35
	s_mov_b32 s10, exec_lo
	s_delay_alu instid0(VALU_DEP_1) | instskip(SKIP_1) | instid1(VALU_DEP_2)
	v_and_b32_e32 v86, 0x7f800000, v24
	v_lshrrev_b32_e32 v25, 24, v24
	v_cmpx_ne_u64_e32 0x7f800000, v[86:87]
	s_xor_b32 s11, exec_lo, s10
	s_cbranch_execz .LBB6_6025
; %bb.6012:                             ;   in Loop: Header=BB6_5963 Depth=2
	v_and_b32_e32 v86, 0x7fffffff, v24
	v_and_b32_e32 v28, 0x80, v25
                                        ; implicit-def: $vgpr35
	s_mov_b32 s10, exec_lo
	s_delay_alu instid0(VALU_DEP_2)
	v_cmpx_gt_u64_e32 0x43e00001, v[86:87]
	s_xor_b32 s29, exec_lo, s10
	s_cbranch_execz .LBB6_6022
; %bb.6013:                             ;   in Loop: Header=BB6_5963 Depth=2
	v_mov_b32_e32 v35, 0
	s_mov_b32 s40, exec_lo
	v_cmpx_ne_u32_e32 0, v24
	s_cbranch_execz .LBB6_6021
; %bb.6014:                             ;   in Loop: Header=BB6_5963 Depth=2
	v_bfe_u32 v29, v24, 23, 8
	v_and_b32_e32 v26, 0x7fffff, v24
	s_delay_alu instid0(VALU_DEP_2) | instskip(SKIP_1) | instid1(VALU_DEP_3)
	v_sub_nc_u32_e32 v25, 0x79, v29
	v_cmp_gt_u32_e64 s7, 0x7a, v29
	v_or_b32_e32 v27, 0x800000, v26
	s_delay_alu instid0(VALU_DEP_2) | instskip(SKIP_1) | instid1(VALU_DEP_1)
	v_cndmask_b32_e64 v25, 0, v25, s7
	v_cmp_eq_u32_e64 s7, 0, v29
	v_cndmask_b32_e64 v31, v25, 0x78, s7
	s_delay_alu instid0(VALU_DEP_1) | instskip(SKIP_1) | instid1(VALU_DEP_2)
	v_dual_cndmask_b32 v86, v27, v26, s7 :: v_dual_add_nc_u32 v35, 19, v31
	v_add_nc_u32_e32 v24, 20, v31
	v_lshlrev_b64_e64 v[26:27], v35, 1
	s_delay_alu instid0(VALU_DEP_2) | instskip(NEXT) | instid1(VALU_DEP_1)
	v_lshlrev_b64_e64 v[24:25], v24, -1
	v_bfi_b32 v37, v25, 0, 0
	s_delay_alu instid0(VALU_DEP_2) | instskip(SKIP_1) | instid1(VALU_DEP_2)
	v_bfi_b32 v36, v24, 0, v86
	v_lshrrev_b64 v[24:25], v31, v[86:87]
	v_cmp_eq_u64_e64 s10, v[36:37], v[26:27]
	s_delay_alu instid0(VALU_DEP_2)
	v_mov_b64_e32 v[26:27], v[24:25]
	s_and_saveexec_b32 s41, s10
; %bb.6015:                             ;   in Loop: Header=BB6_5963 Depth=2
	v_bfe_u32 v86, v24, 20, 1
	s_delay_alu instid0(VALU_DEP_1) | instskip(NEXT) | instid1(VALU_DEP_1)
	v_add_nc_u64_e32 v[26:27], v[24:25], v[86:87]
	v_add_nc_u64_e32 v[26:27], -1, v[26:27]
; %bb.6016:                             ;   in Loop: Header=BB6_5963 Depth=2
	s_or_b32 exec_lo, exec_lo, s41
	v_add_nc_u32_e32 v25, 0xffffff81, v29
	v_lshrrev_b32_e32 v27, 23, v24
	s_mov_b32 s10, exec_lo
	s_delay_alu instid0(VALU_DEP_2) | instskip(NEXT) | instid1(VALU_DEP_1)
	v_cndmask_b32_e64 v25, v25, 0xffffff82, s7
	v_add3_u32 v27, v31, v25, v27
	v_and_b32_e32 v25, 0xfffff, v26
                                        ; implicit-def: $vgpr26
	s_delay_alu instid0(VALU_DEP_1) | instskip(NEXT) | instid1(VALU_DEP_1)
	v_dual_add_nc_u32 v29, 6, v27 :: v_dual_add_nc_u32 v86, v25, v24
                                        ; implicit-def: $vgpr24_vgpr25
	v_cmpx_ne_u32_e32 0, v29
	s_xor_b32 s10, exec_lo, s10
; %bb.6017:                             ;   in Loop: Header=BB6_5963 Depth=2
	s_delay_alu instid0(VALU_DEP_2) | instskip(SKIP_1) | instid1(VALU_DEP_1)
	v_cmp_lt_u64_e64 s7, 0xffffff, v[86:87]
	v_add_nc_u32_e32 v24, 7, v27
	v_cndmask_b32_e64 v26, v29, v24, s7
	v_cndmask_b32_e64 v24, 0, 1, s7
	s_delay_alu instid0(VALU_DEP_1)
	v_lshrrev_b64 v[24:25], v24, v[86:87]
; %bb.6018:                             ;   in Loop: Header=BB6_5963 Depth=2
	s_and_not1_saveexec_b32 s7, s10
; %bb.6019:                             ;   in Loop: Header=BB6_5963 Depth=2
	v_mov_b64_e32 v[24:25], v[86:87]
	v_bfe_u32 v26, v86, 23, 1
; %bb.6020:                             ;   in Loop: Header=BB6_5963 Depth=2
	s_or_b32 exec_lo, exec_lo, s7
	s_delay_alu instid0(VALU_DEP_2) | instskip(NEXT) | instid1(VALU_DEP_2)
	v_lshrrev_b64 v[24:25], 20, v[24:25]
	v_cmp_gt_i32_e64 s7, 16, v26
	v_min_i32_e32 v27, 15, v26
	v_cmp_eq_u32_e64 s10, 0, v26
	s_delay_alu instid0(VALU_DEP_2) | instskip(SKIP_1) | instid1(VALU_DEP_2)
	v_dual_cndmask_b32 v25, 0, v25, s7 :: v_dual_lshlrev_b32 v27, 3, v27
	v_cndmask_b32_e64 v24, 7, v24, s7
	v_and_b32_e32 v27, 0xf8, v27
	s_delay_alu instid0(VALU_DEP_2) | instskip(NEXT) | instid1(VALU_DEP_2)
	v_cmp_eq_u64_e64 s7, 0, v[24:25]
	v_and_or_b32 v24, v24, 7, v27
	s_and_b32 s7, s10, s7
	s_delay_alu instid0(VALU_DEP_1) | instid1(SALU_CYCLE_1)
	v_cndmask_b32_e64 v24, v24, 0, s7
	s_delay_alu instid0(VALU_DEP_1)
	v_or_b32_e32 v35, v24, v28
.LBB6_6021:                             ;   in Loop: Header=BB6_5963 Depth=2
	s_or_b32 exec_lo, exec_lo, s40
                                        ; implicit-def: $vgpr28
.LBB6_6022:                             ;   in Loop: Header=BB6_5963 Depth=2
	s_and_not1_saveexec_b32 s7, s29
; %bb.6023:                             ;   in Loop: Header=BB6_5963 Depth=2
	v_or_b32_e32 v35, 0x7e, v28
; %bb.6024:                             ;   in Loop: Header=BB6_5963 Depth=2
	s_or_b32 exec_lo, exec_lo, s7
                                        ; implicit-def: $vgpr25
.LBB6_6025:                             ;   in Loop: Header=BB6_5963 Depth=2
	s_and_not1_saveexec_b32 s7, s11
; %bb.6026:                             ;   in Loop: Header=BB6_5963 Depth=2
	v_or_b32_e32 v35, 0x7f, v25
; %bb.6027:                             ;   in Loop: Header=BB6_5963 Depth=2
	s_or_b32 exec_lo, exec_lo, s7
	v_dual_mov_b32 v25, 0 :: v_dual_lshrrev_b32 v24, 16, v14
	s_mov_b32 s10, exec_lo
	s_delay_alu instid0(VALU_DEP_1) | instskip(NEXT) | instid1(VALU_DEP_1)
	v_and_b32_e32 v26, 0xff, v24
	v_cmpx_ne_u16_e32 0, v26
	s_cbranch_execz .LBB6_6035
; %bb.6028:                             ;   in Loop: Header=BB6_5963 Depth=2
	v_bfrev_b32_e32 v25, 1
	s_mov_b32 s11, exec_lo
	v_cmpx_ne_u16_e32 0x80, v26
	s_cbranch_execz .LBB6_6034
; %bb.6029:                             ;   in Loop: Header=BB6_5963 Depth=2
	v_bfe_u32 v26, v14, 16, 7
	v_mov_b32_e32 v25, 0x7f800001
	s_mov_b32 s29, exec_lo
	s_delay_alu instid0(VALU_DEP_2)
	v_cmpx_ne_u32_e32 0x7f, v26
	s_cbranch_execz .LBB6_6033
; %bb.6030:                             ;   in Loop: Header=BB6_5963 Depth=2
	v_dual_lshrrev_b32 v25, 3, v26 :: v_dual_bitop2_b32 v86, 7, v24 bitop3:0x40
	s_mov_b32 s40, exec_lo
	v_cmpx_gt_u32_e32 8, v26
; %bb.6031:                             ;   in Loop: Header=BB6_5963 Depth=2
	s_delay_alu instid0(VALU_DEP_2) | instskip(NEXT) | instid1(VALU_DEP_1)
	v_clz_i32_u32_e32 v25, v86
	v_min_u32_e32 v25, 32, v25
	s_delay_alu instid0(VALU_DEP_1) | instskip(NEXT) | instid1(VALU_DEP_1)
	v_subrev_nc_u32_e32 v26, 28, v25
	v_lshlrev_b64_e32 v[26:27], v26, v[86:87]
	s_delay_alu instid0(VALU_DEP_1)
	v_dual_sub_nc_u32 v25, 29, v25 :: v_dual_bitop2_b32 v86, 7, v26 bitop3:0x40
; %bb.6032:                             ;   in Loop: Header=BB6_5963 Depth=2
	s_or_b32 exec_lo, exec_lo, s40
	s_delay_alu instid0(VALU_DEP_1) | instskip(NEXT) | instid1(VALU_DEP_2)
	v_dual_lshlrev_b32 v24, 24, v24 :: v_dual_lshlrev_b32 v26, 20, v86
	v_lshl_add_u32 v25, v25, 23, 0x3c000000
	s_delay_alu instid0(VALU_DEP_2) | instskip(NEXT) | instid1(VALU_DEP_1)
	v_and_b32_e32 v24, 0x80000000, v24
	v_or3_b32 v25, v26, v24, v25
.LBB6_6033:                             ;   in Loop: Header=BB6_5963 Depth=2
	s_or_b32 exec_lo, exec_lo, s29
.LBB6_6034:                             ;   in Loop: Header=BB6_5963 Depth=2
	s_delay_alu instid0(SALU_CYCLE_1)
	s_or_b32 exec_lo, exec_lo, s11
.LBB6_6035:                             ;   in Loop: Header=BB6_5963 Depth=2
	s_delay_alu instid0(SALU_CYCLE_1) | instskip(SKIP_3) | instid1(VALU_DEP_1)
	s_or_b32 exec_lo, exec_lo, s10
	v_lshrrev_b32_e32 v24, 16, v10
	s_mov_b32 s11, 0
	s_mov_b32 s10, exec_lo
	v_and_b32_e32 v27, 0xff, v24
	s_delay_alu instid0(VALU_DEP_1)
	v_cmpx_lt_i16_e32 0x7f, v27
	s_xor_b32 s10, exec_lo, s10
	s_cbranch_execz .LBB6_6040
; %bb.6036:                             ;   in Loop: Header=BB6_5963 Depth=2
	s_mov_b32 s11, -1
	s_mov_b32 s29, exec_lo
	v_cmpx_eq_u16_e32 0x80, v27
; %bb.6037:                             ;   in Loop: Header=BB6_5963 Depth=2
	s_xor_b32 s11, exec_lo, -1
; %bb.6038:                             ;   in Loop: Header=BB6_5963 Depth=2
	s_or_b32 exec_lo, exec_lo, s29
	s_delay_alu instid0(SALU_CYCLE_1)
	s_and_b32 s11, s11, exec_lo
                                        ; implicit-def: $vgpr27
	s_or_saveexec_b32 s10, s10
	v_bfrev_b32_e32 v26, 1
	s_xor_b32 exec_lo, exec_lo, s10
	s_cbranch_execnz .LBB6_6041
.LBB6_6039:                             ;   in Loop: Header=BB6_5963 Depth=2
	s_or_b32 exec_lo, exec_lo, s10
	s_and_saveexec_b32 s10, s11
	s_cbranch_execnz .LBB6_6042
	s_branch .LBB6_6045
.LBB6_6040:                             ;   in Loop: Header=BB6_5963 Depth=2
	s_or_saveexec_b32 s10, s10
	v_bfrev_b32_e32 v26, 1
	s_xor_b32 exec_lo, exec_lo, s10
	s_cbranch_execz .LBB6_6039
.LBB6_6041:                             ;   in Loop: Header=BB6_5963 Depth=2
	v_cmp_ne_u16_e64 s7, 0, v27
	v_mov_b32_e32 v26, 0
	s_and_not1_b32 s11, s11, exec_lo
	s_and_b32 s7, s7, exec_lo
	s_delay_alu instid0(SALU_CYCLE_1)
	s_or_b32 s11, s11, s7
	s_or_b32 exec_lo, exec_lo, s10
	s_and_saveexec_b32 s10, s11
	s_cbranch_execz .LBB6_6045
.LBB6_6042:                             ;   in Loop: Header=BB6_5963 Depth=2
	v_and_b32_e32 v27, 0x7f, v24
	v_mov_b32_e32 v26, 0x7f800001
	s_mov_b32 s11, exec_lo
	s_delay_alu instid0(VALU_DEP_2)
	v_cmpx_ne_u32_e32 0x7f, v27
	s_cbranch_execz .LBB6_6044
; %bb.6043:                             ;   in Loop: Header=BB6_5963 Depth=2
	v_and_b32_e32 v26, 7, v24
	v_cmp_gt_u32_e64 s7, 8, v27
	s_delay_alu instid0(VALU_DEP_2) | instskip(NEXT) | instid1(VALU_DEP_1)
	v_clz_i32_u32_e32 v28, v26
	v_min_u32_e32 v31, 32, v28
	s_delay_alu instid0(VALU_DEP_1) | instskip(NEXT) | instid1(VALU_DEP_1)
	v_subrev_nc_u32_e32 v28, 28, v31
	v_lshlrev_b64_e32 v[28:29], v28, v[24:25]
	v_lshrrev_b32_e32 v29, 3, v27
	v_dual_sub_nc_u32 v31, 29, v31 :: v_dual_lshlrev_b32 v24, 24, v24
	s_delay_alu instid0(VALU_DEP_1) | instskip(NEXT) | instid1(VALU_DEP_2)
	v_dual_cndmask_b32 v28, v29, v31, s7 :: v_dual_bitop2_b32 v27, 7, v28 bitop3:0x40
	v_and_b32_e32 v24, 0x80000000, v24
	s_delay_alu instid0(VALU_DEP_2) | instskip(NEXT) | instid1(VALU_DEP_3)
	v_cndmask_b32_e64 v26, v26, v27, s7
	v_lshl_add_u32 v27, v28, 23, 0x3c000000
	s_delay_alu instid0(VALU_DEP_2) | instskip(NEXT) | instid1(VALU_DEP_1)
	v_lshlrev_b32_e32 v26, 20, v26
	v_or3_b32 v26, v26, v24, v27
.LBB6_6044:                             ;   in Loop: Header=BB6_5963 Depth=2
	s_or_b32 exec_lo, exec_lo, s11
.LBB6_6045:                             ;   in Loop: Header=BB6_5963 Depth=2
	s_delay_alu instid0(SALU_CYCLE_1) | instskip(NEXT) | instid1(VALU_DEP_1)
	s_or_b32 exec_lo, exec_lo, s10
	v_mul_f32_e32 v24, v25, v26
                                        ; implicit-def: $vgpr36
	s_mov_b32 s10, exec_lo
	s_delay_alu instid0(VALU_DEP_1) | instskip(SKIP_1) | instid1(VALU_DEP_2)
	v_and_b32_e32 v86, 0x7f800000, v24
	v_lshrrev_b32_e32 v25, 24, v24
	v_cmpx_ne_u64_e32 0x7f800000, v[86:87]
	s_xor_b32 s11, exec_lo, s10
	s_cbranch_execz .LBB6_6059
; %bb.6046:                             ;   in Loop: Header=BB6_5963 Depth=2
	v_and_b32_e32 v86, 0x7fffffff, v24
	v_and_b32_e32 v28, 0x80, v25
                                        ; implicit-def: $vgpr36
	s_mov_b32 s10, exec_lo
	s_delay_alu instid0(VALU_DEP_2)
	v_cmpx_gt_u64_e32 0x43e00001, v[86:87]
	s_xor_b32 s29, exec_lo, s10
	s_cbranch_execz .LBB6_6056
; %bb.6047:                             ;   in Loop: Header=BB6_5963 Depth=2
	v_mov_b32_e32 v36, 0
	s_mov_b32 s40, exec_lo
	v_cmpx_ne_u32_e32 0, v24
	s_cbranch_execz .LBB6_6055
; %bb.6048:                             ;   in Loop: Header=BB6_5963 Depth=2
	v_bfe_u32 v29, v24, 23, 8
	v_and_b32_e32 v26, 0x7fffff, v24
	s_delay_alu instid0(VALU_DEP_2) | instskip(SKIP_1) | instid1(VALU_DEP_3)
	v_sub_nc_u32_e32 v25, 0x79, v29
	v_cmp_gt_u32_e64 s7, 0x7a, v29
	v_or_b32_e32 v27, 0x800000, v26
	s_delay_alu instid0(VALU_DEP_2) | instskip(SKIP_1) | instid1(VALU_DEP_1)
	v_cndmask_b32_e64 v25, 0, v25, s7
	v_cmp_eq_u32_e64 s7, 0, v29
	v_cndmask_b32_e64 v31, v25, 0x78, s7
	s_delay_alu instid0(VALU_DEP_1) | instskip(SKIP_1) | instid1(VALU_DEP_2)
	v_dual_cndmask_b32 v86, v27, v26, s7 :: v_dual_add_nc_u32 v36, 19, v31
	v_add_nc_u32_e32 v24, 20, v31
	v_lshlrev_b64_e64 v[26:27], v36, 1
	s_delay_alu instid0(VALU_DEP_2) | instskip(NEXT) | instid1(VALU_DEP_1)
	v_lshlrev_b64_e64 v[24:25], v24, -1
	v_bfi_b32 v37, v25, 0, 0
	s_delay_alu instid0(VALU_DEP_2) | instskip(SKIP_1) | instid1(VALU_DEP_2)
	v_bfi_b32 v36, v24, 0, v86
	v_lshrrev_b64 v[24:25], v31, v[86:87]
	v_cmp_eq_u64_e64 s10, v[36:37], v[26:27]
	s_delay_alu instid0(VALU_DEP_2)
	v_mov_b64_e32 v[26:27], v[24:25]
	s_and_saveexec_b32 s41, s10
; %bb.6049:                             ;   in Loop: Header=BB6_5963 Depth=2
	v_bfe_u32 v86, v24, 20, 1
	s_delay_alu instid0(VALU_DEP_1) | instskip(NEXT) | instid1(VALU_DEP_1)
	v_add_nc_u64_e32 v[26:27], v[24:25], v[86:87]
	v_add_nc_u64_e32 v[26:27], -1, v[26:27]
; %bb.6050:                             ;   in Loop: Header=BB6_5963 Depth=2
	s_or_b32 exec_lo, exec_lo, s41
	v_add_nc_u32_e32 v25, 0xffffff81, v29
	v_lshrrev_b32_e32 v27, 23, v24
	s_mov_b32 s10, exec_lo
	s_delay_alu instid0(VALU_DEP_2) | instskip(NEXT) | instid1(VALU_DEP_1)
	v_cndmask_b32_e64 v25, v25, 0xffffff82, s7
	v_add3_u32 v27, v31, v25, v27
	v_and_b32_e32 v25, 0xfffff, v26
                                        ; implicit-def: $vgpr26
	s_delay_alu instid0(VALU_DEP_1) | instskip(NEXT) | instid1(VALU_DEP_1)
	v_dual_add_nc_u32 v29, 6, v27 :: v_dual_add_nc_u32 v86, v25, v24
                                        ; implicit-def: $vgpr24_vgpr25
	v_cmpx_ne_u32_e32 0, v29
	s_xor_b32 s10, exec_lo, s10
; %bb.6051:                             ;   in Loop: Header=BB6_5963 Depth=2
	s_delay_alu instid0(VALU_DEP_2) | instskip(SKIP_1) | instid1(VALU_DEP_1)
	v_cmp_lt_u64_e64 s7, 0xffffff, v[86:87]
	v_add_nc_u32_e32 v24, 7, v27
	v_cndmask_b32_e64 v26, v29, v24, s7
	v_cndmask_b32_e64 v24, 0, 1, s7
	s_delay_alu instid0(VALU_DEP_1)
	v_lshrrev_b64 v[24:25], v24, v[86:87]
; %bb.6052:                             ;   in Loop: Header=BB6_5963 Depth=2
	s_and_not1_saveexec_b32 s7, s10
; %bb.6053:                             ;   in Loop: Header=BB6_5963 Depth=2
	v_mov_b64_e32 v[24:25], v[86:87]
	v_bfe_u32 v26, v86, 23, 1
; %bb.6054:                             ;   in Loop: Header=BB6_5963 Depth=2
	s_or_b32 exec_lo, exec_lo, s7
	s_delay_alu instid0(VALU_DEP_2) | instskip(NEXT) | instid1(VALU_DEP_2)
	v_lshrrev_b64 v[24:25], 20, v[24:25]
	v_cmp_gt_i32_e64 s7, 16, v26
	v_min_i32_e32 v27, 15, v26
	v_cmp_eq_u32_e64 s10, 0, v26
	s_delay_alu instid0(VALU_DEP_2) | instskip(SKIP_1) | instid1(VALU_DEP_2)
	v_dual_cndmask_b32 v25, 0, v25, s7 :: v_dual_lshlrev_b32 v27, 3, v27
	v_cndmask_b32_e64 v24, 7, v24, s7
	v_and_b32_e32 v27, 0xf8, v27
	s_delay_alu instid0(VALU_DEP_2) | instskip(NEXT) | instid1(VALU_DEP_2)
	v_cmp_eq_u64_e64 s7, 0, v[24:25]
	v_and_or_b32 v24, v24, 7, v27
	s_and_b32 s7, s10, s7
	s_delay_alu instid0(VALU_DEP_1) | instid1(SALU_CYCLE_1)
	v_cndmask_b32_e64 v24, v24, 0, s7
	s_delay_alu instid0(VALU_DEP_1)
	v_or_b32_e32 v36, v24, v28
.LBB6_6055:                             ;   in Loop: Header=BB6_5963 Depth=2
	s_or_b32 exec_lo, exec_lo, s40
                                        ; implicit-def: $vgpr28
.LBB6_6056:                             ;   in Loop: Header=BB6_5963 Depth=2
	s_and_not1_saveexec_b32 s7, s29
; %bb.6057:                             ;   in Loop: Header=BB6_5963 Depth=2
	v_or_b32_e32 v36, 0x7e, v28
; %bb.6058:                             ;   in Loop: Header=BB6_5963 Depth=2
	s_or_b32 exec_lo, exec_lo, s7
                                        ; implicit-def: $vgpr25
.LBB6_6059:                             ;   in Loop: Header=BB6_5963 Depth=2
	s_and_not1_saveexec_b32 s7, s11
; %bb.6060:                             ;   in Loop: Header=BB6_5963 Depth=2
	v_or_b32_e32 v36, 0x7f, v25
; %bb.6061:                             ;   in Loop: Header=BB6_5963 Depth=2
	s_or_b32 exec_lo, exec_lo, s7
	v_mov_b32_e32 v25, 0
	s_mov_b32 s10, exec_lo
	v_cmpx_lt_u32_e32 0xffffff, v14
	s_cbranch_execz .LBB6_6069
; %bb.6062:                             ;   in Loop: Header=BB6_5963 Depth=2
	v_lshrrev_b32_e32 v24, 24, v14
	v_bfrev_b32_e32 v25, 1
	s_mov_b32 s11, exec_lo
	s_delay_alu instid0(VALU_DEP_2)
	v_cmpx_ne_u32_e32 0x80, v24
	s_cbranch_execz .LBB6_6068
; %bb.6063:                             ;   in Loop: Header=BB6_5963 Depth=2
	v_bfe_u32 v26, v14, 24, 7
	v_mov_b32_e32 v25, 0x7f800001
	s_mov_b32 s29, exec_lo
	s_delay_alu instid0(VALU_DEP_2)
	v_cmpx_ne_u32_e32 0x7f, v26
	s_cbranch_execz .LBB6_6067
; %bb.6064:                             ;   in Loop: Header=BB6_5963 Depth=2
	v_dual_lshrrev_b32 v25, 3, v26 :: v_dual_bitop2_b32 v86, 7, v24 bitop3:0x40
	s_mov_b32 s40, exec_lo
	v_cmpx_gt_u32_e32 8, v26
; %bb.6065:                             ;   in Loop: Header=BB6_5963 Depth=2
	s_delay_alu instid0(VALU_DEP_2) | instskip(NEXT) | instid1(VALU_DEP_1)
	v_clz_i32_u32_e32 v25, v86
	v_min_u32_e32 v25, 32, v25
	s_delay_alu instid0(VALU_DEP_1) | instskip(NEXT) | instid1(VALU_DEP_1)
	v_subrev_nc_u32_e32 v26, 28, v25
	v_lshlrev_b64_e32 v[26:27], v26, v[86:87]
	s_delay_alu instid0(VALU_DEP_1)
	v_dual_sub_nc_u32 v25, 29, v25 :: v_dual_bitop2_b32 v86, 7, v26 bitop3:0x40
; %bb.6066:                             ;   in Loop: Header=BB6_5963 Depth=2
	s_or_b32 exec_lo, exec_lo, s40
	s_delay_alu instid0(VALU_DEP_1) | instskip(NEXT) | instid1(VALU_DEP_2)
	v_dual_lshlrev_b32 v24, 24, v24 :: v_dual_lshlrev_b32 v26, 20, v86
	v_lshl_add_u32 v25, v25, 23, 0x3c000000
	s_delay_alu instid0(VALU_DEP_2) | instskip(NEXT) | instid1(VALU_DEP_1)
	v_and_b32_e32 v24, 0x80000000, v24
	v_or3_b32 v25, v26, v24, v25
.LBB6_6067:                             ;   in Loop: Header=BB6_5963 Depth=2
	s_or_b32 exec_lo, exec_lo, s29
.LBB6_6068:                             ;   in Loop: Header=BB6_5963 Depth=2
	s_delay_alu instid0(SALU_CYCLE_1)
	s_or_b32 exec_lo, exec_lo, s11
.LBB6_6069:                             ;   in Loop: Header=BB6_5963 Depth=2
	s_delay_alu instid0(SALU_CYCLE_1) | instskip(SKIP_3) | instid1(VALU_DEP_3)
	s_or_b32 exec_lo, exec_lo, s10
	v_lshrrev_b32_e32 v24, 24, v10
	v_bfe_u32 v26, v10, 24, 7
	v_cmp_gt_u32_e64 s11, 0x1000000, v10
	v_cmp_eq_u32_e64 s7, 0x80, v24
	s_delay_alu instid0(VALU_DEP_3) | instskip(NEXT) | instid1(VALU_DEP_2)
	v_cmp_eq_u32_e64 s10, 0x7f, v26
	v_cndmask_b32_e64 v27, 0x7f800001, v63, s7
	s_or_b32 s7, s7, s10
	s_delay_alu instid0(SALU_CYCLE_1) | instskip(NEXT) | instid1(VALU_DEP_1)
	s_nor_b32 s7, s11, s7
	v_cndmask_b32_e64 v27, v27, 0, s11
	s_and_saveexec_b32 s10, s7
	s_cbranch_execz .LBB6_6071
; %bb.6070:                             ;   in Loop: Header=BB6_5963 Depth=2
	v_and_b32_e32 v27, 7, v24
	v_cmp_gt_u32_e64 s7, 8, v26
	s_delay_alu instid0(VALU_DEP_2) | instskip(NEXT) | instid1(VALU_DEP_1)
	v_clz_i32_u32_e32 v28, v27
	v_min_u32_e32 v31, 32, v28
	s_delay_alu instid0(VALU_DEP_1) | instskip(NEXT) | instid1(VALU_DEP_1)
	v_subrev_nc_u32_e32 v28, 28, v31
	v_lshlrev_b64_e32 v[28:29], v28, v[24:25]
	v_dual_lshrrev_b32 v29, 3, v26 :: v_dual_sub_nc_u32 v31, 29, v31
	v_lshlrev_b32_e32 v24, 24, v24
	s_delay_alu instid0(VALU_DEP_2) | instskip(NEXT) | instid1(VALU_DEP_2)
	v_dual_cndmask_b32 v28, v29, v31, s7 :: v_dual_bitop2_b32 v26, 7, v28 bitop3:0x40
	v_and_b32_e32 v24, 0x80000000, v24
	s_delay_alu instid0(VALU_DEP_2) | instskip(NEXT) | instid1(VALU_DEP_3)
	v_cndmask_b32_e64 v26, v27, v26, s7
	v_lshl_add_u32 v27, v28, 23, 0x3c000000
	s_delay_alu instid0(VALU_DEP_2) | instskip(NEXT) | instid1(VALU_DEP_1)
	v_lshlrev_b32_e32 v26, 20, v26
	v_or3_b32 v27, v26, v24, v27
.LBB6_6071:                             ;   in Loop: Header=BB6_5963 Depth=2
	s_or_b32 exec_lo, exec_lo, s10
	s_delay_alu instid0(VALU_DEP_1) | instskip(SKIP_1) | instid1(VALU_DEP_1)
	v_mul_f32_e32 v24, v25, v27
                                        ; implicit-def: $vgpr37
	s_mov_b32 s10, exec_lo
	v_and_b32_e32 v86, 0x7f800000, v24
	v_lshrrev_b32_e32 v25, 24, v24
	s_delay_alu instid0(VALU_DEP_2)
	v_cmpx_ne_u64_e32 0x7f800000, v[86:87]
	s_xor_b32 s11, exec_lo, s10
	s_cbranch_execz .LBB6_6085
; %bb.6072:                             ;   in Loop: Header=BB6_5963 Depth=2
	v_and_b32_e32 v86, 0x7fffffff, v24
	v_and_b32_e32 v28, 0x80, v25
                                        ; implicit-def: $vgpr37
	s_mov_b32 s10, exec_lo
	s_delay_alu instid0(VALU_DEP_2)
	v_cmpx_gt_u64_e32 0x43e00001, v[86:87]
	s_xor_b32 s29, exec_lo, s10
	s_cbranch_execz .LBB6_6082
; %bb.6073:                             ;   in Loop: Header=BB6_5963 Depth=2
	v_mov_b32_e32 v37, 0
	s_mov_b32 s40, exec_lo
	v_cmpx_ne_u32_e32 0, v24
	s_cbranch_execz .LBB6_6081
; %bb.6074:                             ;   in Loop: Header=BB6_5963 Depth=2
	v_bfe_u32 v29, v24, 23, 8
	v_and_b32_e32 v26, 0x7fffff, v24
	s_delay_alu instid0(VALU_DEP_2) | instskip(SKIP_1) | instid1(VALU_DEP_3)
	v_sub_nc_u32_e32 v25, 0x79, v29
	v_cmp_gt_u32_e64 s7, 0x7a, v29
	v_or_b32_e32 v27, 0x800000, v26
	s_delay_alu instid0(VALU_DEP_2) | instskip(SKIP_1) | instid1(VALU_DEP_1)
	v_cndmask_b32_e64 v25, 0, v25, s7
	v_cmp_eq_u32_e64 s7, 0, v29
	v_cndmask_b32_e64 v31, v25, 0x78, s7
	s_delay_alu instid0(VALU_DEP_1) | instskip(SKIP_1) | instid1(VALU_DEP_2)
	v_dual_cndmask_b32 v86, v27, v26, s7 :: v_dual_add_nc_u32 v37, 19, v31
	v_add_nc_u32_e32 v24, 20, v31
	v_lshlrev_b64_e64 v[26:27], v37, 1
	s_delay_alu instid0(VALU_DEP_2) | instskip(NEXT) | instid1(VALU_DEP_1)
	v_lshlrev_b64_e64 v[24:25], v24, -1
	v_bfi_b32 v39, v25, 0, 0
	s_delay_alu instid0(VALU_DEP_2) | instskip(SKIP_1) | instid1(VALU_DEP_2)
	v_bfi_b32 v38, v24, 0, v86
	v_lshrrev_b64 v[24:25], v31, v[86:87]
	v_cmp_eq_u64_e64 s10, v[38:39], v[26:27]
	s_delay_alu instid0(VALU_DEP_2)
	v_mov_b64_e32 v[26:27], v[24:25]
	s_and_saveexec_b32 s41, s10
; %bb.6075:                             ;   in Loop: Header=BB6_5963 Depth=2
	v_bfe_u32 v86, v24, 20, 1
	s_delay_alu instid0(VALU_DEP_1) | instskip(NEXT) | instid1(VALU_DEP_1)
	v_add_nc_u64_e32 v[26:27], v[24:25], v[86:87]
	v_add_nc_u64_e32 v[26:27], -1, v[26:27]
; %bb.6076:                             ;   in Loop: Header=BB6_5963 Depth=2
	s_or_b32 exec_lo, exec_lo, s41
	v_add_nc_u32_e32 v25, 0xffffff81, v29
	v_lshrrev_b32_e32 v27, 23, v24
	s_mov_b32 s10, exec_lo
	s_delay_alu instid0(VALU_DEP_2) | instskip(NEXT) | instid1(VALU_DEP_1)
	v_cndmask_b32_e64 v25, v25, 0xffffff82, s7
	v_add3_u32 v27, v31, v25, v27
	v_and_b32_e32 v25, 0xfffff, v26
                                        ; implicit-def: $vgpr26
	s_delay_alu instid0(VALU_DEP_1) | instskip(NEXT) | instid1(VALU_DEP_1)
	v_dual_add_nc_u32 v29, 6, v27 :: v_dual_add_nc_u32 v86, v25, v24
                                        ; implicit-def: $vgpr24_vgpr25
	v_cmpx_ne_u32_e32 0, v29
	s_xor_b32 s10, exec_lo, s10
; %bb.6077:                             ;   in Loop: Header=BB6_5963 Depth=2
	s_delay_alu instid0(VALU_DEP_2) | instskip(SKIP_1) | instid1(VALU_DEP_1)
	v_cmp_lt_u64_e64 s7, 0xffffff, v[86:87]
	v_add_nc_u32_e32 v24, 7, v27
	v_cndmask_b32_e64 v26, v29, v24, s7
	v_cndmask_b32_e64 v24, 0, 1, s7
	s_delay_alu instid0(VALU_DEP_1)
	v_lshrrev_b64 v[24:25], v24, v[86:87]
; %bb.6078:                             ;   in Loop: Header=BB6_5963 Depth=2
	s_and_not1_saveexec_b32 s7, s10
; %bb.6079:                             ;   in Loop: Header=BB6_5963 Depth=2
	v_mov_b64_e32 v[24:25], v[86:87]
	v_bfe_u32 v26, v86, 23, 1
; %bb.6080:                             ;   in Loop: Header=BB6_5963 Depth=2
	s_or_b32 exec_lo, exec_lo, s7
	s_delay_alu instid0(VALU_DEP_2) | instskip(NEXT) | instid1(VALU_DEP_2)
	v_lshrrev_b64 v[24:25], 20, v[24:25]
	v_cmp_gt_i32_e64 s7, 16, v26
	v_min_i32_e32 v27, 15, v26
	v_cmp_eq_u32_e64 s10, 0, v26
	s_delay_alu instid0(VALU_DEP_2) | instskip(SKIP_1) | instid1(VALU_DEP_2)
	v_dual_cndmask_b32 v25, 0, v25, s7 :: v_dual_lshlrev_b32 v27, 3, v27
	v_cndmask_b32_e64 v24, 7, v24, s7
	v_and_b32_e32 v27, 0xf8, v27
	s_delay_alu instid0(VALU_DEP_2) | instskip(NEXT) | instid1(VALU_DEP_2)
	v_cmp_eq_u64_e64 s7, 0, v[24:25]
	v_and_or_b32 v24, v24, 7, v27
	s_and_b32 s7, s10, s7
	s_delay_alu instid0(VALU_DEP_1) | instid1(SALU_CYCLE_1)
	v_cndmask_b32_e64 v24, v24, 0, s7
	s_delay_alu instid0(VALU_DEP_1)
	v_or_b32_e32 v37, v24, v28
.LBB6_6081:                             ;   in Loop: Header=BB6_5963 Depth=2
	s_or_b32 exec_lo, exec_lo, s40
                                        ; implicit-def: $vgpr28
.LBB6_6082:                             ;   in Loop: Header=BB6_5963 Depth=2
	s_and_not1_saveexec_b32 s7, s29
; %bb.6083:                             ;   in Loop: Header=BB6_5963 Depth=2
	v_or_b32_e32 v37, 0x7e, v28
; %bb.6084:                             ;   in Loop: Header=BB6_5963 Depth=2
	s_or_b32 exec_lo, exec_lo, s7
                                        ; implicit-def: $vgpr25
.LBB6_6085:                             ;   in Loop: Header=BB6_5963 Depth=2
	s_and_not1_saveexec_b32 s7, s11
; %bb.6086:                             ;   in Loop: Header=BB6_5963 Depth=2
	v_or_b32_e32 v37, 0x7f, v25
; %bb.6087:                             ;   in Loop: Header=BB6_5963 Depth=2
	s_or_b32 exec_lo, exec_lo, s7
	v_and_b32_e32 v24, 0xff, v15
	v_dual_mov_b32 v86, v15 :: v_dual_mov_b32 v26, 0
	s_mov_b32 s10, exec_lo
	s_delay_alu instid0(VALU_DEP_2)
	v_cmpx_ne_u16_e32 0, v24
	s_cbranch_execz .LBB6_6093
; %bb.6088:                             ;   in Loop: Header=BB6_5963 Depth=2
	v_bfrev_b32_e32 v26, 1
	s_mov_b32 s11, exec_lo
	v_cmpx_ne_u16_e32 0x80, v24
	s_cbranch_execz .LBB6_6092
; %bb.6089:                             ;   in Loop: Header=BB6_5963 Depth=2
	v_and_b32_e32 v24, 0x7f, v15
	v_mov_b32_e32 v26, 0x7f800001
	s_mov_b32 s29, exec_lo
	s_delay_alu instid0(VALU_DEP_2)
	v_cmpx_ne_u32_e32 0x7f, v24
	s_cbranch_execz .LBB6_6091
; %bb.6090:                             ;   in Loop: Header=BB6_5963 Depth=2
	v_dual_lshrrev_b32 v26, 3, v24 :: v_dual_bitop2_b32 v25, 7, v15 bitop3:0x40
	v_cmp_gt_u32_e64 s7, 8, v24
	s_delay_alu instid0(VALU_DEP_2) | instskip(NEXT) | instid1(VALU_DEP_1)
	v_clz_i32_u32_e32 v25, v25
	v_min_u32_e32 v25, 32, v25
	s_delay_alu instid0(VALU_DEP_1) | instskip(NEXT) | instid1(VALU_DEP_1)
	v_subrev_nc_u32_e32 v27, 28, v25
	v_dual_sub_nc_u32 v25, 29, v25 :: v_dual_cndmask_b32 v24, 0, v27, s7
	s_delay_alu instid0(VALU_DEP_1) | instskip(NEXT) | instid1(VALU_DEP_2)
	v_cndmask_b32_e64 v26, v26, v25, s7
	v_lshlrev_b64_e32 v[24:25], v24, v[86:87]
	v_lshlrev_b32_e32 v25, 24, v86
	s_delay_alu instid0(VALU_DEP_3) | instskip(NEXT) | instid1(VALU_DEP_2)
	v_lshl_add_u32 v26, v26, 23, 0x3c000000
	v_and_b32_e32 v25, 0x80000000, v25
	s_delay_alu instid0(VALU_DEP_4) | instskip(NEXT) | instid1(VALU_DEP_1)
	v_lshlrev_b32_e32 v24, 20, v24
	v_and_b32_e32 v24, 0x700000, v24
	s_delay_alu instid0(VALU_DEP_1)
	v_or3_b32 v26, v24, v25, v26
.LBB6_6091:                             ;   in Loop: Header=BB6_5963 Depth=2
	s_or_b32 exec_lo, exec_lo, s29
.LBB6_6092:                             ;   in Loop: Header=BB6_5963 Depth=2
	s_delay_alu instid0(SALU_CYCLE_1)
	s_or_b32 exec_lo, exec_lo, s11
.LBB6_6093:                             ;   in Loop: Header=BB6_5963 Depth=2
	s_delay_alu instid0(SALU_CYCLE_1) | instskip(SKIP_4) | instid1(VALU_DEP_2)
	s_or_b32 exec_lo, exec_lo, s10
	v_and_b32_e32 v25, 0xff, v11
	v_mov_b32_e32 v24, v11
	s_mov_b32 s10, 0
	s_mov_b32 s11, exec_lo
	v_cmpx_lt_i16_e32 0x7f, v25
	s_xor_b32 s11, exec_lo, s11
	s_cbranch_execz .LBB6_6128
; %bb.6094:                             ;   in Loop: Header=BB6_5963 Depth=2
	s_mov_b32 s10, -1
	s_mov_b32 s29, exec_lo
	v_cmpx_eq_u16_e32 0x80, v25
; %bb.6095:                             ;   in Loop: Header=BB6_5963 Depth=2
	s_xor_b32 s10, exec_lo, -1
; %bb.6096:                             ;   in Loop: Header=BB6_5963 Depth=2
	s_or_b32 exec_lo, exec_lo, s29
	s_delay_alu instid0(SALU_CYCLE_1)
	s_and_b32 s10, s10, exec_lo
                                        ; implicit-def: $vgpr25
	s_or_saveexec_b32 s11, s11
	v_bfrev_b32_e32 v27, 1
	s_xor_b32 exec_lo, exec_lo, s11
	s_cbranch_execnz .LBB6_6129
.LBB6_6097:                             ;   in Loop: Header=BB6_5963 Depth=2
	s_or_b32 exec_lo, exec_lo, s11
	v_mov_b32_e32 v25, v87
	s_and_saveexec_b32 s11, s10
	s_cbranch_execz .LBB6_6099
.LBB6_6098:                             ;   in Loop: Header=BB6_5963 Depth=2
	v_and_b32_e32 v31, 0x7f, v11
	v_bfe_u32 v28, v11, 3, 4
	s_delay_alu instid0(VALU_DEP_2) | instskip(SKIP_1) | instid1(VALU_DEP_1)
	v_cmp_gt_u32_e64 s7, 8, v31
	v_and_b32_e32 v27, 7, v11
	v_clz_i32_u32_e32 v27, v27
	s_delay_alu instid0(VALU_DEP_1) | instskip(NEXT) | instid1(VALU_DEP_1)
	v_min_u32_e32 v27, 32, v27
	v_subrev_nc_u32_e32 v29, 28, v27
	v_sub_nc_u32_e32 v27, 29, v27
	s_delay_alu instid0(VALU_DEP_1) | instskip(SKIP_1) | instid1(VALU_DEP_2)
	v_dual_cndmask_b32 v27, v28, v27, s7 :: v_dual_cndmask_b32 v28, 0, v29, s7
	v_cmp_ne_u32_e64 s7, 0x7f, v31
	v_lshlrev_b64_e32 v[28:29], v28, v[24:25]
	v_lshlrev_b32_e32 v25, 24, v24
	s_delay_alu instid0(VALU_DEP_1) | instskip(NEXT) | instid1(VALU_DEP_3)
	v_and_b32_e32 v25, 0x80000000, v25
	v_lshlrev_b32_e32 v28, 20, v28
	v_lshl_add_u32 v27, v27, 23, 0x3c000000
	s_delay_alu instid0(VALU_DEP_2) | instskip(NEXT) | instid1(VALU_DEP_1)
	v_and_b32_e32 v28, 0x700000, v28
	v_or3_b32 v25, v28, v25, v27
	s_delay_alu instid0(VALU_DEP_1)
	v_cndmask_b32_e64 v27, 0x7f800001, v25, s7
.LBB6_6099:                             ;   in Loop: Header=BB6_5963 Depth=2
	s_or_b32 exec_lo, exec_lo, s11
	s_delay_alu instid0(VALU_DEP_1) | instskip(NEXT) | instid1(VALU_DEP_1)
	v_dual_mul_f32 v26, v26, v27 :: v_dual_mov_b32 v29, v87
	v_and_b32_e32 v28, 0x7f800000, v26
	v_lshrrev_b32_e32 v25, 24, v26
	s_delay_alu instid0(VALU_DEP_2) | instskip(SKIP_1) | instid1(SALU_CYCLE_1)
	v_cmp_ne_u64_e64 s7, 0x7f800000, v[28:29]
                                        ; implicit-def: $vgpr28
	s_and_saveexec_b32 s10, s7
	s_xor_b32 s11, exec_lo, s10
	s_cbranch_execz .LBB6_6113
; %bb.6100:                             ;   in Loop: Header=BB6_5963 Depth=2
	v_and_b32_e32 v28, 0x7fffffff, v26
	v_mov_b32_e32 v29, v87
	v_and_b32_e32 v25, 0x80, v25
	s_delay_alu instid0(VALU_DEP_2) | instskip(SKIP_1) | instid1(SALU_CYCLE_1)
	v_cmp_gt_u64_e64 s7, 0x43e00001, v[28:29]
                                        ; implicit-def: $vgpr28
	s_and_saveexec_b32 s10, s7
	s_xor_b32 s29, exec_lo, s10
	s_cbranch_execz .LBB6_6110
; %bb.6101:                             ;   in Loop: Header=BB6_5963 Depth=2
	v_mov_b32_e32 v28, 0
	s_mov_b32 s40, exec_lo
	v_cmpx_ne_u32_e32 0, v26
	s_cbranch_execz .LBB6_6109
; %bb.6102:                             ;   in Loop: Header=BB6_5963 Depth=2
	v_bfe_u32 v31, v26, 23, 8
	v_and_b32_e32 v28, 0x7fffff, v26
	s_mov_b32 s41, exec_lo
	s_delay_alu instid0(VALU_DEP_2) | instskip(SKIP_1) | instid1(VALU_DEP_3)
	v_sub_nc_u32_e32 v27, 0x79, v31
	v_cmp_gt_u32_e64 s7, 0x7a, v31
	v_or_b32_e32 v29, 0x800000, v28
	s_delay_alu instid0(VALU_DEP_2) | instskip(SKIP_1) | instid1(VALU_DEP_1)
	v_cndmask_b32_e64 v27, 0, v27, s7
	v_cmp_eq_u32_e64 s7, 0, v31
	v_cndmask_b32_e64 v38, v27, 0x78, s7
	s_delay_alu instid0(VALU_DEP_4) | instskip(NEXT) | instid1(VALU_DEP_2)
	v_dual_cndmask_b32 v28, v29, v28, s7 :: v_dual_mov_b32 v29, v87
	v_dual_add_nc_u32 v26, 20, v38 :: v_dual_add_nc_u32 v39, 19, v38
	s_delay_alu instid0(VALU_DEP_1) | instskip(NEXT) | instid1(VALU_DEP_2)
	v_lshlrev_b64_e64 v[26:27], v26, -1
	v_lshlrev_b64_e64 v[48:49], v39, 1
	s_delay_alu instid0(VALU_DEP_2) | instskip(NEXT) | instid1(VALU_DEP_3)
	v_bfi_b32 v51, v27, 0, 0
	v_bfi_b32 v50, v26, 0, v28
	v_lshrrev_b64 v[26:27], v38, v[28:29]
	s_delay_alu instid0(VALU_DEP_1) | instskip(NEXT) | instid1(VALU_DEP_3)
	v_mov_b64_e32 v[28:29], v[26:27]
	v_cmpx_eq_u64_e64 v[50:51], v[48:49]
; %bb.6103:                             ;   in Loop: Header=BB6_5963 Depth=2
	v_bfe_u32 v28, v26, 20, 1
	v_mov_b32_e32 v29, v87
	s_delay_alu instid0(VALU_DEP_1) | instskip(NEXT) | instid1(VALU_DEP_1)
	v_add_nc_u64_e32 v[28:29], v[26:27], v[28:29]
	v_add_nc_u64_e32 v[28:29], -1, v[28:29]
; %bb.6104:                             ;   in Loop: Header=BB6_5963 Depth=2
	s_or_b32 exec_lo, exec_lo, s41
	v_add_nc_u32_e32 v27, 0xffffff81, v31
	v_lshrrev_b32_e32 v29, 23, v26
	s_mov_b32 s10, exec_lo
	s_delay_alu instid0(VALU_DEP_2) | instskip(NEXT) | instid1(VALU_DEP_1)
	v_cndmask_b32_e64 v27, v27, 0xffffff82, s7
	v_add3_u32 v29, v38, v27, v29
	v_and_b32_e32 v27, 0xfffff, v28
                                        ; implicit-def: $vgpr28
	s_delay_alu instid0(VALU_DEP_1) | instskip(SKIP_1) | instid1(VALU_DEP_2)
	v_dual_add_nc_u32 v31, 6, v29 :: v_dual_add_nc_u32 v26, v27, v26
	v_mov_b32_e32 v27, v87
	v_cmpx_ne_u32_e32 0, v31
	s_xor_b32 s10, exec_lo, s10
; %bb.6105:                             ;   in Loop: Header=BB6_5963 Depth=2
	s_delay_alu instid0(VALU_DEP_2) | instskip(SKIP_1) | instid1(VALU_DEP_2)
	v_cmp_lt_u64_e64 s7, 0xffffff, v[26:27]
	v_add_nc_u32_e32 v28, 7, v29
	v_cndmask_b32_e64 v29, 0, 1, s7
	s_delay_alu instid0(VALU_DEP_2) | instskip(NEXT) | instid1(VALU_DEP_2)
	v_cndmask_b32_e64 v28, v31, v28, s7
	v_lshrrev_b64 v[26:27], v29, v[26:27]
; %bb.6106:                             ;   in Loop: Header=BB6_5963 Depth=2
	s_and_not1_saveexec_b32 s7, s10
; %bb.6107:                             ;   in Loop: Header=BB6_5963 Depth=2
	s_delay_alu instid0(VALU_DEP_1)
	v_bfe_u32 v28, v26, 23, 1
; %bb.6108:                             ;   in Loop: Header=BB6_5963 Depth=2
	s_or_b32 exec_lo, exec_lo, s7
	s_delay_alu instid0(VALU_DEP_2) | instskip(NEXT) | instid1(VALU_DEP_2)
	v_lshrrev_b64 v[26:27], 20, v[26:27]
	v_cmp_gt_i32_e64 s7, 16, v28
	v_min_i32_e32 v29, 15, v28
	v_cmp_eq_u32_e64 s10, 0, v28
	s_delay_alu instid0(VALU_DEP_2) | instskip(SKIP_1) | instid1(VALU_DEP_2)
	v_dual_cndmask_b32 v27, 0, v27, s7 :: v_dual_lshlrev_b32 v29, 3, v29
	v_cndmask_b32_e64 v26, 7, v26, s7
	v_and_b32_e32 v29, 0xf8, v29
	s_delay_alu instid0(VALU_DEP_2) | instskip(NEXT) | instid1(VALU_DEP_2)
	v_cmp_eq_u64_e64 s7, 0, v[26:27]
	v_and_or_b32 v26, v26, 7, v29
	s_and_b32 s7, s10, s7
	s_delay_alu instid0(VALU_DEP_1) | instid1(SALU_CYCLE_1)
	v_cndmask_b32_e64 v26, v26, 0, s7
	s_delay_alu instid0(VALU_DEP_1)
	v_or_b32_e32 v28, v26, v25
.LBB6_6109:                             ;   in Loop: Header=BB6_5963 Depth=2
	s_or_b32 exec_lo, exec_lo, s40
                                        ; implicit-def: $vgpr25
.LBB6_6110:                             ;   in Loop: Header=BB6_5963 Depth=2
	s_and_not1_saveexec_b32 s7, s29
; %bb.6111:                             ;   in Loop: Header=BB6_5963 Depth=2
	v_or_b32_e32 v28, 0x7e, v25
; %bb.6112:                             ;   in Loop: Header=BB6_5963 Depth=2
	s_or_b32 exec_lo, exec_lo, s7
                                        ; implicit-def: $vgpr25
.LBB6_6113:                             ;   in Loop: Header=BB6_5963 Depth=2
	s_and_not1_saveexec_b32 s7, s11
; %bb.6114:                             ;   in Loop: Header=BB6_5963 Depth=2
	v_or_b32_e32 v28, 0x7f, v25
; %bb.6115:                             ;   in Loop: Header=BB6_5963 Depth=2
	s_or_b32 exec_lo, exec_lo, s7
	v_lshrrev_b16 v26, 8, v86
	v_mov_b32_e32 v25, 0
	s_mov_b32 s10, exec_lo
	s_delay_alu instid0(VALU_DEP_2)
	v_cmpx_ne_u16_e32 0, v26
	s_cbranch_execz .LBB6_6123
; %bb.6116:                             ;   in Loop: Header=BB6_5963 Depth=2
	v_bfrev_b32_e32 v25, 1
	s_mov_b32 s11, exec_lo
	v_cmpx_ne_u16_e32 0x80, v26
	s_cbranch_execz .LBB6_6122
; %bb.6117:                             ;   in Loop: Header=BB6_5963 Depth=2
	v_and_b32_e32 v26, 0xffff, v26
	v_mov_b32_e32 v25, 0x7f800001
	s_mov_b32 s29, exec_lo
	s_delay_alu instid0(VALU_DEP_2) | instskip(NEXT) | instid1(VALU_DEP_1)
	v_and_b32_e32 v29, 0x7f, v26
	v_cmpx_ne_u32_e32 0x7f, v29
	s_cbranch_execz .LBB6_6121
; %bb.6118:                             ;   in Loop: Header=BB6_5963 Depth=2
	v_dual_mov_b32 v27, v87 :: v_dual_bitop2_b32 v26, 7, v26 bitop3:0x40
	v_lshrrev_b32_e32 v25, 3, v29
	s_mov_b32 s40, exec_lo
	v_cmpx_gt_u32_e32 8, v29
; %bb.6119:                             ;   in Loop: Header=BB6_5963 Depth=2
	s_delay_alu instid0(VALU_DEP_3) | instskip(NEXT) | instid1(VALU_DEP_1)
	v_clz_i32_u32_e32 v25, v26
	v_min_u32_e32 v25, 32, v25
	s_delay_alu instid0(VALU_DEP_1) | instskip(NEXT) | instid1(VALU_DEP_1)
	v_subrev_nc_u32_e32 v29, 28, v25
	v_lshlrev_b64_e32 v[26:27], v29, v[26:27]
	s_delay_alu instid0(VALU_DEP_1)
	v_dual_sub_nc_u32 v25, 29, v25 :: v_dual_bitop2_b32 v26, 7, v26 bitop3:0x40
; %bb.6120:                             ;   in Loop: Header=BB6_5963 Depth=2
	s_or_b32 exec_lo, exec_lo, s40
	v_lshlrev_b32_e32 v27, 16, v86
	s_delay_alu instid0(VALU_DEP_2) | instskip(NEXT) | instid1(VALU_DEP_3)
	v_lshlrev_b32_e32 v26, 20, v26
	v_lshl_add_u32 v25, v25, 23, 0x3c000000
	s_delay_alu instid0(VALU_DEP_3) | instskip(NEXT) | instid1(VALU_DEP_1)
	v_and_b32_e32 v27, 0x80000000, v27
	v_or3_b32 v25, v26, v27, v25
.LBB6_6121:                             ;   in Loop: Header=BB6_5963 Depth=2
	s_or_b32 exec_lo, exec_lo, s29
.LBB6_6122:                             ;   in Loop: Header=BB6_5963 Depth=2
	s_delay_alu instid0(SALU_CYCLE_1)
	s_or_b32 exec_lo, exec_lo, s11
.LBB6_6123:                             ;   in Loop: Header=BB6_5963 Depth=2
	s_delay_alu instid0(SALU_CYCLE_1) | instskip(SKIP_3) | instid1(VALU_DEP_1)
	s_or_b32 exec_lo, exec_lo, s10
	v_lshrrev_b16 v26, 8, v24
	s_mov_b32 s11, 0
	s_mov_b32 s10, exec_lo
	v_cmpx_lt_i16_e32 0x7f, v26
	s_xor_b32 s10, exec_lo, s10
	s_cbranch_execz .LBB6_6130
; %bb.6124:                             ;   in Loop: Header=BB6_5963 Depth=2
	s_mov_b32 s11, -1
	s_mov_b32 s29, exec_lo
	v_cmpx_eq_u16_e32 0x80, v26
; %bb.6125:                             ;   in Loop: Header=BB6_5963 Depth=2
	s_xor_b32 s11, exec_lo, -1
; %bb.6126:                             ;   in Loop: Header=BB6_5963 Depth=2
	s_or_b32 exec_lo, exec_lo, s29
	s_delay_alu instid0(SALU_CYCLE_1)
	s_and_b32 s11, s11, exec_lo
	s_or_saveexec_b32 s10, s10
	v_bfrev_b32_e32 v27, 1
	s_xor_b32 exec_lo, exec_lo, s10
	s_cbranch_execnz .LBB6_6131
.LBB6_6127:                             ;   in Loop: Header=BB6_5963 Depth=2
	s_or_b32 exec_lo, exec_lo, s10
	s_and_saveexec_b32 s10, s11
	s_cbranch_execnz .LBB6_6132
	s_branch .LBB6_6135
.LBB6_6128:                             ;   in Loop: Header=BB6_5963 Depth=2
	s_or_saveexec_b32 s11, s11
	v_bfrev_b32_e32 v27, 1
	s_xor_b32 exec_lo, exec_lo, s11
	s_cbranch_execz .LBB6_6097
.LBB6_6129:                             ;   in Loop: Header=BB6_5963 Depth=2
	v_cmp_ne_u16_e64 s7, 0, v25
	v_mov_b32_e32 v27, 0
	s_and_not1_b32 s10, s10, exec_lo
	s_and_b32 s7, s7, exec_lo
	s_delay_alu instid0(SALU_CYCLE_1)
	s_or_b32 s10, s10, s7
	s_or_b32 exec_lo, exec_lo, s11
	v_mov_b32_e32 v25, v87
	s_and_saveexec_b32 s11, s10
	s_cbranch_execnz .LBB6_6098
	s_branch .LBB6_6099
.LBB6_6130:                             ;   in Loop: Header=BB6_5963 Depth=2
	s_or_saveexec_b32 s10, s10
	v_bfrev_b32_e32 v27, 1
	s_xor_b32 exec_lo, exec_lo, s10
	s_cbranch_execz .LBB6_6127
.LBB6_6131:                             ;   in Loop: Header=BB6_5963 Depth=2
	v_cmp_ne_u16_e64 s7, 0, v26
	v_mov_b32_e32 v27, 0
	s_and_not1_b32 s11, s11, exec_lo
	s_and_b32 s7, s7, exec_lo
	s_delay_alu instid0(SALU_CYCLE_1)
	s_or_b32 s11, s11, s7
	s_or_b32 exec_lo, exec_lo, s10
	s_and_saveexec_b32 s10, s11
	s_cbranch_execz .LBB6_6135
.LBB6_6132:                             ;   in Loop: Header=BB6_5963 Depth=2
	v_and_b32_e32 v24, 0xffff, v26
	v_mov_b32_e32 v27, 0x7f800001
	s_mov_b32 s11, exec_lo
	s_delay_alu instid0(VALU_DEP_2) | instskip(NEXT) | instid1(VALU_DEP_1)
	v_and_b32_e32 v29, 0x7f, v24
	v_cmpx_ne_u32_e32 0x7f, v29
	s_cbranch_execz .LBB6_6134
; %bb.6133:                             ;   in Loop: Header=BB6_5963 Depth=2
	v_and_b32_e32 v27, 7, v24
	v_cmp_gt_u32_e64 s7, 8, v29
	s_delay_alu instid0(VALU_DEP_2) | instskip(NEXT) | instid1(VALU_DEP_1)
	v_clz_i32_u32_e32 v31, v27
	v_min_u32_e32 v31, 32, v31
	s_delay_alu instid0(VALU_DEP_1) | instskip(NEXT) | instid1(VALU_DEP_1)
	v_subrev_nc_u32_e32 v38, 28, v31
	v_lshlrev_b64_e32 v[38:39], v38, v[24:25]
	v_dual_lshrrev_b32 v24, 3, v29 :: v_dual_sub_nc_u32 v31, 29, v31
	s_delay_alu instid0(VALU_DEP_2) | instskip(NEXT) | instid1(VALU_DEP_2)
	v_and_b32_e32 v29, 7, v38
	v_dual_lshlrev_b32 v26, 24, v26 :: v_dual_cndmask_b32 v24, v24, v31, s7
	s_delay_alu instid0(VALU_DEP_2) | instskip(NEXT) | instid1(VALU_DEP_2)
	v_cndmask_b32_e64 v27, v27, v29, s7
	v_and_b32_e32 v26, 0x80000000, v26
	s_delay_alu instid0(VALU_DEP_3) | instskip(NEXT) | instid1(VALU_DEP_3)
	v_lshl_add_u32 v24, v24, 23, 0x3c000000
	v_lshlrev_b32_e32 v27, 20, v27
	s_delay_alu instid0(VALU_DEP_1)
	v_or3_b32 v27, v27, v26, v24
.LBB6_6134:                             ;   in Loop: Header=BB6_5963 Depth=2
	s_or_b32 exec_lo, exec_lo, s11
.LBB6_6135:                             ;   in Loop: Header=BB6_5963 Depth=2
	s_delay_alu instid0(SALU_CYCLE_1) | instskip(NEXT) | instid1(VALU_DEP_1)
	s_or_b32 exec_lo, exec_lo, s10
	v_mul_f32_e32 v24, v25, v27
                                        ; implicit-def: $vgpr29
	s_mov_b32 s10, exec_lo
	s_delay_alu instid0(VALU_DEP_1) | instskip(SKIP_1) | instid1(VALU_DEP_2)
	v_and_b32_e32 v86, 0x7f800000, v24
	v_lshrrev_b32_e32 v25, 24, v24
	v_cmpx_ne_u64_e32 0x7f800000, v[86:87]
	s_xor_b32 s11, exec_lo, s10
	s_cbranch_execz .LBB6_6149
; %bb.6136:                             ;   in Loop: Header=BB6_5963 Depth=2
	v_and_b32_e32 v86, 0x7fffffff, v24
	v_and_b32_e32 v31, 0x80, v25
                                        ; implicit-def: $vgpr29
	s_mov_b32 s10, exec_lo
	s_delay_alu instid0(VALU_DEP_2)
	v_cmpx_gt_u64_e32 0x43e00001, v[86:87]
	s_xor_b32 s29, exec_lo, s10
	s_cbranch_execz .LBB6_6146
; %bb.6137:                             ;   in Loop: Header=BB6_5963 Depth=2
	v_mov_b32_e32 v29, 0
	s_mov_b32 s40, exec_lo
	v_cmpx_ne_u32_e32 0, v24
	s_cbranch_execz .LBB6_6145
; %bb.6138:                             ;   in Loop: Header=BB6_5963 Depth=2
	v_bfe_u32 v29, v24, 23, 8
	v_and_b32_e32 v26, 0x7fffff, v24
	s_delay_alu instid0(VALU_DEP_2) | instskip(SKIP_1) | instid1(VALU_DEP_3)
	v_sub_nc_u32_e32 v25, 0x79, v29
	v_cmp_gt_u32_e64 s7, 0x7a, v29
	v_or_b32_e32 v27, 0x800000, v26
	s_delay_alu instid0(VALU_DEP_2) | instskip(SKIP_1) | instid1(VALU_DEP_1)
	v_cndmask_b32_e64 v25, 0, v25, s7
	v_cmp_eq_u32_e64 s7, 0, v29
	v_cndmask_b32_e64 v38, v25, 0x78, s7
	s_delay_alu instid0(VALU_DEP_4) | instskip(NEXT) | instid1(VALU_DEP_2)
	v_cndmask_b32_e64 v86, v27, v26, s7
	v_dual_add_nc_u32 v24, 20, v38 :: v_dual_add_nc_u32 v39, 19, v38
	s_delay_alu instid0(VALU_DEP_1) | instskip(NEXT) | instid1(VALU_DEP_2)
	v_lshlrev_b64_e64 v[24:25], v24, -1
	v_lshlrev_b64_e64 v[26:27], v39, 1
	s_delay_alu instid0(VALU_DEP_2) | instskip(NEXT) | instid1(VALU_DEP_3)
	v_bfi_b32 v49, v25, 0, 0
	v_bfi_b32 v48, v24, 0, v86
	v_lshrrev_b64 v[24:25], v38, v[86:87]
	s_delay_alu instid0(VALU_DEP_2) | instskip(NEXT) | instid1(VALU_DEP_2)
	v_cmp_eq_u64_e64 s10, v[48:49], v[26:27]
	v_mov_b64_e32 v[26:27], v[24:25]
	s_and_saveexec_b32 s41, s10
; %bb.6139:                             ;   in Loop: Header=BB6_5963 Depth=2
	v_bfe_u32 v86, v24, 20, 1
	s_delay_alu instid0(VALU_DEP_1) | instskip(NEXT) | instid1(VALU_DEP_1)
	v_add_nc_u64_e32 v[26:27], v[24:25], v[86:87]
	v_add_nc_u64_e32 v[26:27], -1, v[26:27]
; %bb.6140:                             ;   in Loop: Header=BB6_5963 Depth=2
	s_or_b32 exec_lo, exec_lo, s41
	v_add_nc_u32_e32 v25, 0xffffff81, v29
	v_lshrrev_b32_e32 v27, 23, v24
	s_mov_b32 s10, exec_lo
	s_delay_alu instid0(VALU_DEP_2) | instskip(NEXT) | instid1(VALU_DEP_1)
	v_cndmask_b32_e64 v25, v25, 0xffffff82, s7
	v_add3_u32 v27, v38, v25, v27
	v_and_b32_e32 v25, 0xfffff, v26
                                        ; implicit-def: $vgpr26
	s_delay_alu instid0(VALU_DEP_1) | instskip(NEXT) | instid1(VALU_DEP_1)
	v_dual_add_nc_u32 v29, 6, v27 :: v_dual_add_nc_u32 v86, v25, v24
                                        ; implicit-def: $vgpr24_vgpr25
	v_cmpx_ne_u32_e32 0, v29
	s_xor_b32 s10, exec_lo, s10
; %bb.6141:                             ;   in Loop: Header=BB6_5963 Depth=2
	s_delay_alu instid0(VALU_DEP_2) | instskip(SKIP_1) | instid1(VALU_DEP_1)
	v_cmp_lt_u64_e64 s7, 0xffffff, v[86:87]
	v_add_nc_u32_e32 v24, 7, v27
	v_cndmask_b32_e64 v26, v29, v24, s7
	v_cndmask_b32_e64 v24, 0, 1, s7
	s_delay_alu instid0(VALU_DEP_1)
	v_lshrrev_b64 v[24:25], v24, v[86:87]
; %bb.6142:                             ;   in Loop: Header=BB6_5963 Depth=2
	s_and_not1_saveexec_b32 s7, s10
; %bb.6143:                             ;   in Loop: Header=BB6_5963 Depth=2
	v_mov_b64_e32 v[24:25], v[86:87]
	v_bfe_u32 v26, v86, 23, 1
; %bb.6144:                             ;   in Loop: Header=BB6_5963 Depth=2
	s_or_b32 exec_lo, exec_lo, s7
	s_delay_alu instid0(VALU_DEP_2) | instskip(NEXT) | instid1(VALU_DEP_2)
	v_lshrrev_b64 v[24:25], 20, v[24:25]
	v_cmp_gt_i32_e64 s7, 16, v26
	v_min_i32_e32 v27, 15, v26
	v_cmp_eq_u32_e64 s10, 0, v26
	s_delay_alu instid0(VALU_DEP_2) | instskip(SKIP_1) | instid1(VALU_DEP_2)
	v_dual_cndmask_b32 v25, 0, v25, s7 :: v_dual_lshlrev_b32 v27, 3, v27
	v_cndmask_b32_e64 v24, 7, v24, s7
	v_and_b32_e32 v27, 0xf8, v27
	s_delay_alu instid0(VALU_DEP_2) | instskip(NEXT) | instid1(VALU_DEP_2)
	v_cmp_eq_u64_e64 s7, 0, v[24:25]
	v_and_or_b32 v24, v24, 7, v27
	s_and_b32 s7, s10, s7
	s_delay_alu instid0(VALU_DEP_1) | instid1(SALU_CYCLE_1)
	v_cndmask_b32_e64 v24, v24, 0, s7
	s_delay_alu instid0(VALU_DEP_1)
	v_or_b32_e32 v29, v24, v31
.LBB6_6145:                             ;   in Loop: Header=BB6_5963 Depth=2
	s_or_b32 exec_lo, exec_lo, s40
                                        ; implicit-def: $vgpr31
.LBB6_6146:                             ;   in Loop: Header=BB6_5963 Depth=2
	s_and_not1_saveexec_b32 s7, s29
; %bb.6147:                             ;   in Loop: Header=BB6_5963 Depth=2
	v_or_b32_e32 v29, 0x7e, v31
; %bb.6148:                             ;   in Loop: Header=BB6_5963 Depth=2
	s_or_b32 exec_lo, exec_lo, s7
                                        ; implicit-def: $vgpr25
.LBB6_6149:                             ;   in Loop: Header=BB6_5963 Depth=2
	s_and_not1_saveexec_b32 s7, s11
; %bb.6150:                             ;   in Loop: Header=BB6_5963 Depth=2
	v_or_b32_e32 v29, 0x7f, v25
; %bb.6151:                             ;   in Loop: Header=BB6_5963 Depth=2
	s_or_b32 exec_lo, exec_lo, s7
	v_dual_mov_b32 v25, 0 :: v_dual_lshrrev_b32 v24, 16, v15
	s_mov_b32 s10, exec_lo
	s_delay_alu instid0(VALU_DEP_1) | instskip(NEXT) | instid1(VALU_DEP_1)
	v_and_b32_e32 v26, 0xff, v24
	v_cmpx_ne_u16_e32 0, v26
	s_cbranch_execz .LBB6_6159
; %bb.6152:                             ;   in Loop: Header=BB6_5963 Depth=2
	v_bfrev_b32_e32 v25, 1
	s_mov_b32 s11, exec_lo
	v_cmpx_ne_u16_e32 0x80, v26
	s_cbranch_execz .LBB6_6158
; %bb.6153:                             ;   in Loop: Header=BB6_5963 Depth=2
	v_bfe_u32 v26, v15, 16, 7
	v_mov_b32_e32 v25, 0x7f800001
	s_mov_b32 s29, exec_lo
	s_delay_alu instid0(VALU_DEP_2)
	v_cmpx_ne_u32_e32 0x7f, v26
	s_cbranch_execz .LBB6_6157
; %bb.6154:                             ;   in Loop: Header=BB6_5963 Depth=2
	v_dual_lshrrev_b32 v25, 3, v26 :: v_dual_bitop2_b32 v86, 7, v24 bitop3:0x40
	s_mov_b32 s40, exec_lo
	v_cmpx_gt_u32_e32 8, v26
; %bb.6155:                             ;   in Loop: Header=BB6_5963 Depth=2
	s_delay_alu instid0(VALU_DEP_2) | instskip(NEXT) | instid1(VALU_DEP_1)
	v_clz_i32_u32_e32 v25, v86
	v_min_u32_e32 v25, 32, v25
	s_delay_alu instid0(VALU_DEP_1) | instskip(NEXT) | instid1(VALU_DEP_1)
	v_subrev_nc_u32_e32 v26, 28, v25
	v_lshlrev_b64_e32 v[26:27], v26, v[86:87]
	s_delay_alu instid0(VALU_DEP_1)
	v_dual_sub_nc_u32 v25, 29, v25 :: v_dual_bitop2_b32 v86, 7, v26 bitop3:0x40
; %bb.6156:                             ;   in Loop: Header=BB6_5963 Depth=2
	s_or_b32 exec_lo, exec_lo, s40
	s_delay_alu instid0(VALU_DEP_1) | instskip(NEXT) | instid1(VALU_DEP_2)
	v_dual_lshlrev_b32 v24, 24, v24 :: v_dual_lshlrev_b32 v26, 20, v86
	v_lshl_add_u32 v25, v25, 23, 0x3c000000
	s_delay_alu instid0(VALU_DEP_2) | instskip(NEXT) | instid1(VALU_DEP_1)
	v_and_b32_e32 v24, 0x80000000, v24
	v_or3_b32 v25, v26, v24, v25
.LBB6_6157:                             ;   in Loop: Header=BB6_5963 Depth=2
	s_or_b32 exec_lo, exec_lo, s29
.LBB6_6158:                             ;   in Loop: Header=BB6_5963 Depth=2
	s_delay_alu instid0(SALU_CYCLE_1)
	s_or_b32 exec_lo, exec_lo, s11
.LBB6_6159:                             ;   in Loop: Header=BB6_5963 Depth=2
	s_delay_alu instid0(SALU_CYCLE_1) | instskip(SKIP_3) | instid1(VALU_DEP_1)
	s_or_b32 exec_lo, exec_lo, s10
	v_lshrrev_b32_e32 v24, 16, v11
	s_mov_b32 s11, 0
	s_mov_b32 s10, exec_lo
	v_and_b32_e32 v27, 0xff, v24
	s_delay_alu instid0(VALU_DEP_1)
	v_cmpx_lt_i16_e32 0x7f, v27
	s_xor_b32 s10, exec_lo, s10
	s_cbranch_execz .LBB6_6164
; %bb.6160:                             ;   in Loop: Header=BB6_5963 Depth=2
	s_mov_b32 s11, -1
	s_mov_b32 s29, exec_lo
	v_cmpx_eq_u16_e32 0x80, v27
; %bb.6161:                             ;   in Loop: Header=BB6_5963 Depth=2
	s_xor_b32 s11, exec_lo, -1
; %bb.6162:                             ;   in Loop: Header=BB6_5963 Depth=2
	s_or_b32 exec_lo, exec_lo, s29
	s_delay_alu instid0(SALU_CYCLE_1)
	s_and_b32 s11, s11, exec_lo
                                        ; implicit-def: $vgpr27
	s_or_saveexec_b32 s10, s10
	v_bfrev_b32_e32 v26, 1
	s_xor_b32 exec_lo, exec_lo, s10
	s_cbranch_execnz .LBB6_6165
.LBB6_6163:                             ;   in Loop: Header=BB6_5963 Depth=2
	s_or_b32 exec_lo, exec_lo, s10
	s_and_saveexec_b32 s10, s11
	s_cbranch_execnz .LBB6_6166
	s_branch .LBB6_6169
.LBB6_6164:                             ;   in Loop: Header=BB6_5963 Depth=2
	s_or_saveexec_b32 s10, s10
	v_bfrev_b32_e32 v26, 1
	s_xor_b32 exec_lo, exec_lo, s10
	s_cbranch_execz .LBB6_6163
.LBB6_6165:                             ;   in Loop: Header=BB6_5963 Depth=2
	v_cmp_ne_u16_e64 s7, 0, v27
	v_mov_b32_e32 v26, 0
	s_and_not1_b32 s11, s11, exec_lo
	s_and_b32 s7, s7, exec_lo
	s_delay_alu instid0(SALU_CYCLE_1)
	s_or_b32 s11, s11, s7
	s_or_b32 exec_lo, exec_lo, s10
	s_and_saveexec_b32 s10, s11
	s_cbranch_execz .LBB6_6169
.LBB6_6166:                             ;   in Loop: Header=BB6_5963 Depth=2
	v_and_b32_e32 v27, 0x7f, v24
	v_mov_b32_e32 v26, 0x7f800001
	s_mov_b32 s11, exec_lo
	s_delay_alu instid0(VALU_DEP_2)
	v_cmpx_ne_u32_e32 0x7f, v27
	s_cbranch_execz .LBB6_6168
; %bb.6167:                             ;   in Loop: Header=BB6_5963 Depth=2
	v_and_b32_e32 v26, 7, v24
	v_cmp_gt_u32_e64 s7, 8, v27
	s_delay_alu instid0(VALU_DEP_2) | instskip(NEXT) | instid1(VALU_DEP_1)
	v_clz_i32_u32_e32 v31, v26
	v_min_u32_e32 v31, 32, v31
	s_delay_alu instid0(VALU_DEP_1) | instskip(NEXT) | instid1(VALU_DEP_1)
	v_subrev_nc_u32_e32 v38, 28, v31
	v_lshlrev_b64_e32 v[38:39], v38, v[24:25]
	v_lshrrev_b32_e32 v39, 3, v27
	s_delay_alu instid0(VALU_DEP_2) | instskip(NEXT) | instid1(VALU_DEP_1)
	v_dual_sub_nc_u32 v31, 29, v31 :: v_dual_bitop2_b32 v27, 7, v38 bitop3:0x40
	v_dual_lshlrev_b32 v24, 24, v24 :: v_dual_cndmask_b32 v31, v39, v31, s7
	s_delay_alu instid0(VALU_DEP_2) | instskip(NEXT) | instid1(VALU_DEP_2)
	v_cndmask_b32_e64 v26, v26, v27, s7
	v_and_b32_e32 v24, 0x80000000, v24
	s_delay_alu instid0(VALU_DEP_3) | instskip(NEXT) | instid1(VALU_DEP_3)
	v_lshl_add_u32 v27, v31, 23, 0x3c000000
	v_lshlrev_b32_e32 v26, 20, v26
	s_delay_alu instid0(VALU_DEP_1)
	v_or3_b32 v26, v26, v24, v27
.LBB6_6168:                             ;   in Loop: Header=BB6_5963 Depth=2
	s_or_b32 exec_lo, exec_lo, s11
.LBB6_6169:                             ;   in Loop: Header=BB6_5963 Depth=2
	s_delay_alu instid0(SALU_CYCLE_1) | instskip(NEXT) | instid1(VALU_DEP_1)
	s_or_b32 exec_lo, exec_lo, s10
	v_mul_f32_e32 v24, v25, v26
                                        ; implicit-def: $vgpr26
	s_mov_b32 s10, exec_lo
	s_delay_alu instid0(VALU_DEP_1) | instskip(SKIP_1) | instid1(VALU_DEP_2)
	v_and_b32_e32 v86, 0x7f800000, v24
	v_lshrrev_b32_e32 v25, 24, v24
	v_cmpx_ne_u64_e32 0x7f800000, v[86:87]
	s_xor_b32 s11, exec_lo, s10
	s_cbranch_execz .LBB6_6183
; %bb.6170:                             ;   in Loop: Header=BB6_5963 Depth=2
	v_and_b32_e32 v86, 0x7fffffff, v24
	v_and_b32_e32 v31, 0x80, v25
                                        ; implicit-def: $vgpr26
	s_mov_b32 s10, exec_lo
	s_delay_alu instid0(VALU_DEP_2)
	v_cmpx_gt_u64_e32 0x43e00001, v[86:87]
	s_xor_b32 s29, exec_lo, s10
	s_cbranch_execz .LBB6_6180
; %bb.6171:                             ;   in Loop: Header=BB6_5963 Depth=2
	v_mov_b32_e32 v26, 0
	s_mov_b32 s40, exec_lo
	v_cmpx_ne_u32_e32 0, v24
	s_cbranch_execz .LBB6_6179
; %bb.6172:                             ;   in Loop: Header=BB6_5963 Depth=2
	v_bfe_u32 v38, v24, 23, 8
	v_and_b32_e32 v26, 0x7fffff, v24
	s_delay_alu instid0(VALU_DEP_2) | instskip(SKIP_1) | instid1(VALU_DEP_3)
	v_sub_nc_u32_e32 v25, 0x79, v38
	v_cmp_gt_u32_e64 s7, 0x7a, v38
	v_or_b32_e32 v27, 0x800000, v26
	s_delay_alu instid0(VALU_DEP_2) | instskip(SKIP_1) | instid1(VALU_DEP_1)
	v_cndmask_b32_e64 v25, 0, v25, s7
	v_cmp_eq_u32_e64 s7, 0, v38
	v_cndmask_b32_e64 v39, v25, 0x78, s7
	s_delay_alu instid0(VALU_DEP_1) | instskip(SKIP_1) | instid1(VALU_DEP_2)
	v_dual_cndmask_b32 v86, v27, v26, s7 :: v_dual_add_nc_u32 v48, 19, v39
	v_add_nc_u32_e32 v24, 20, v39
	v_lshlrev_b64_e64 v[26:27], v48, 1
	s_delay_alu instid0(VALU_DEP_2) | instskip(NEXT) | instid1(VALU_DEP_1)
	v_lshlrev_b64_e64 v[24:25], v24, -1
	v_bfi_b32 v49, v25, 0, 0
	s_delay_alu instid0(VALU_DEP_2) | instskip(SKIP_1) | instid1(VALU_DEP_2)
	v_bfi_b32 v48, v24, 0, v86
	v_lshrrev_b64 v[24:25], v39, v[86:87]
	v_cmp_eq_u64_e64 s10, v[48:49], v[26:27]
	s_delay_alu instid0(VALU_DEP_2)
	v_mov_b64_e32 v[26:27], v[24:25]
	s_and_saveexec_b32 s41, s10
; %bb.6173:                             ;   in Loop: Header=BB6_5963 Depth=2
	v_bfe_u32 v86, v24, 20, 1
	s_delay_alu instid0(VALU_DEP_1) | instskip(NEXT) | instid1(VALU_DEP_1)
	v_add_nc_u64_e32 v[26:27], v[24:25], v[86:87]
	v_add_nc_u64_e32 v[26:27], -1, v[26:27]
; %bb.6174:                             ;   in Loop: Header=BB6_5963 Depth=2
	s_or_b32 exec_lo, exec_lo, s41
	v_add_nc_u32_e32 v25, 0xffffff81, v38
	v_lshrrev_b32_e32 v27, 23, v24
	s_mov_b32 s10, exec_lo
	s_delay_alu instid0(VALU_DEP_2) | instskip(NEXT) | instid1(VALU_DEP_1)
	v_cndmask_b32_e64 v25, v25, 0xffffff82, s7
	v_add3_u32 v27, v39, v25, v27
	v_and_b32_e32 v25, 0xfffff, v26
                                        ; implicit-def: $vgpr26
	s_delay_alu instid0(VALU_DEP_1) | instskip(NEXT) | instid1(VALU_DEP_1)
	v_dual_add_nc_u32 v38, 6, v27 :: v_dual_add_nc_u32 v86, v25, v24
                                        ; implicit-def: $vgpr24_vgpr25
	v_cmpx_ne_u32_e32 0, v38
	s_xor_b32 s10, exec_lo, s10
; %bb.6175:                             ;   in Loop: Header=BB6_5963 Depth=2
	s_delay_alu instid0(VALU_DEP_2) | instskip(SKIP_1) | instid1(VALU_DEP_1)
	v_cmp_lt_u64_e64 s7, 0xffffff, v[86:87]
	v_add_nc_u32_e32 v24, 7, v27
	v_cndmask_b32_e64 v26, v38, v24, s7
	v_cndmask_b32_e64 v24, 0, 1, s7
	s_delay_alu instid0(VALU_DEP_1)
	v_lshrrev_b64 v[24:25], v24, v[86:87]
; %bb.6176:                             ;   in Loop: Header=BB6_5963 Depth=2
	s_and_not1_saveexec_b32 s7, s10
; %bb.6177:                             ;   in Loop: Header=BB6_5963 Depth=2
	v_mov_b64_e32 v[24:25], v[86:87]
	v_bfe_u32 v26, v86, 23, 1
; %bb.6178:                             ;   in Loop: Header=BB6_5963 Depth=2
	s_or_b32 exec_lo, exec_lo, s7
	s_delay_alu instid0(VALU_DEP_2) | instskip(NEXT) | instid1(VALU_DEP_2)
	v_lshrrev_b64 v[24:25], 20, v[24:25]
	v_cmp_gt_i32_e64 s7, 16, v26
	v_min_i32_e32 v27, 15, v26
	v_cmp_eq_u32_e64 s10, 0, v26
	s_delay_alu instid0(VALU_DEP_2) | instskip(SKIP_1) | instid1(VALU_DEP_2)
	v_dual_cndmask_b32 v25, 0, v25, s7 :: v_dual_lshlrev_b32 v27, 3, v27
	v_cndmask_b32_e64 v24, 7, v24, s7
	v_and_b32_e32 v27, 0xf8, v27
	s_delay_alu instid0(VALU_DEP_2) | instskip(NEXT) | instid1(VALU_DEP_2)
	v_cmp_eq_u64_e64 s7, 0, v[24:25]
	v_and_or_b32 v24, v24, 7, v27
	s_and_b32 s7, s10, s7
	s_delay_alu instid0(VALU_DEP_1) | instid1(SALU_CYCLE_1)
	v_cndmask_b32_e64 v24, v24, 0, s7
	s_delay_alu instid0(VALU_DEP_1)
	v_or_b32_e32 v26, v24, v31
.LBB6_6179:                             ;   in Loop: Header=BB6_5963 Depth=2
	s_or_b32 exec_lo, exec_lo, s40
                                        ; implicit-def: $vgpr31
.LBB6_6180:                             ;   in Loop: Header=BB6_5963 Depth=2
	s_and_not1_saveexec_b32 s7, s29
; %bb.6181:                             ;   in Loop: Header=BB6_5963 Depth=2
	v_or_b32_e32 v26, 0x7e, v31
; %bb.6182:                             ;   in Loop: Header=BB6_5963 Depth=2
	s_or_b32 exec_lo, exec_lo, s7
                                        ; implicit-def: $vgpr25
.LBB6_6183:                             ;   in Loop: Header=BB6_5963 Depth=2
	s_and_not1_saveexec_b32 s7, s11
; %bb.6184:                             ;   in Loop: Header=BB6_5963 Depth=2
	v_or_b32_e32 v26, 0x7f, v25
; %bb.6185:                             ;   in Loop: Header=BB6_5963 Depth=2
	s_or_b32 exec_lo, exec_lo, s7
	v_mov_b32_e32 v24, 0
	s_mov_b32 s10, exec_lo
	v_cmpx_lt_u64_e64 s[12:13], v[14:15]
	s_cbranch_execz .LBB6_6193
; %bb.6186:                             ;   in Loop: Header=BB6_5963 Depth=2
	v_lshrrev_b32_e32 v14, 24, v15
	v_bfrev_b32_e32 v24, 1
	s_mov_b32 s11, exec_lo
	s_delay_alu instid0(VALU_DEP_2)
	v_cmpx_ne_u32_e32 0x80, v14
	s_cbranch_execz .LBB6_6192
; %bb.6187:                             ;   in Loop: Header=BB6_5963 Depth=2
	v_bfe_u32 v25, v15, 24, 7
	v_mov_b32_e32 v24, 0x7f800001
	s_mov_b32 s29, exec_lo
	s_delay_alu instid0(VALU_DEP_2)
	v_cmpx_ne_u32_e32 0x7f, v25
	s_cbranch_execz .LBB6_6191
; %bb.6188:                             ;   in Loop: Header=BB6_5963 Depth=2
	v_dual_lshrrev_b32 v15, 3, v25 :: v_dual_bitop2_b32 v86, 7, v14 bitop3:0x40
	s_mov_b32 s40, exec_lo
	v_cmpx_gt_u32_e32 8, v25
; %bb.6189:                             ;   in Loop: Header=BB6_5963 Depth=2
	s_delay_alu instid0(VALU_DEP_2) | instskip(NEXT) | instid1(VALU_DEP_1)
	v_clz_i32_u32_e32 v15, v86
	v_min_u32_e32 v15, 32, v15
	s_delay_alu instid0(VALU_DEP_1) | instskip(NEXT) | instid1(VALU_DEP_1)
	v_subrev_nc_u32_e32 v24, 28, v15
	v_lshlrev_b64_e32 v[24:25], v24, v[86:87]
	s_delay_alu instid0(VALU_DEP_1)
	v_dual_sub_nc_u32 v15, 29, v15 :: v_dual_bitop2_b32 v86, 7, v24 bitop3:0x40
; %bb.6190:                             ;   in Loop: Header=BB6_5963 Depth=2
	s_or_b32 exec_lo, exec_lo, s40
	v_lshlrev_b32_e32 v14, 24, v14
	s_delay_alu instid0(VALU_DEP_2) | instskip(NEXT) | instid1(VALU_DEP_3)
	v_lshlrev_b32_e32 v24, 20, v86
	v_lshl_add_u32 v15, v15, 23, 0x3c000000
	s_delay_alu instid0(VALU_DEP_3) | instskip(NEXT) | instid1(VALU_DEP_1)
	v_and_b32_e32 v14, 0x80000000, v14
	v_or3_b32 v24, v24, v14, v15
.LBB6_6191:                             ;   in Loop: Header=BB6_5963 Depth=2
	s_or_b32 exec_lo, exec_lo, s29
.LBB6_6192:                             ;   in Loop: Header=BB6_5963 Depth=2
	s_delay_alu instid0(SALU_CYCLE_1)
	s_or_b32 exec_lo, exec_lo, s11
.LBB6_6193:                             ;   in Loop: Header=BB6_5963 Depth=2
	s_delay_alu instid0(SALU_CYCLE_1) | instskip(SKIP_3) | instid1(VALU_DEP_3)
	s_or_b32 exec_lo, exec_lo, s10
	v_lshrrev_b32_e32 v14, 24, v11
	v_bfe_u32 v15, v11, 24, 7
	v_cmp_gt_u64_e64 s11, s[14:15], v[10:11]
	v_cmp_eq_u32_e64 s10, 0x80, v14
	s_delay_alu instid0(VALU_DEP_3) | instskip(NEXT) | instid1(VALU_DEP_2)
	v_cmp_eq_u32_e64 s7, 0x7f, v15
	v_cndmask_b32_e64 v25, 0x7f800001, v63, s10
	s_or_b32 s7, s10, s7
	s_delay_alu instid0(SALU_CYCLE_1) | instskip(NEXT) | instid1(VALU_DEP_1)
	s_nor_b32 s7, s11, s7
	v_cndmask_b32_e64 v10, v25, 0, s11
	s_and_saveexec_b32 s10, s7
	s_cbranch_execz .LBB6_6195
; %bb.6194:                             ;   in Loop: Header=BB6_5963 Depth=2
	v_and_b32_e32 v25, 7, v14
	v_cmp_gt_u32_e64 s7, 8, v15
	s_delay_alu instid0(VALU_DEP_2) | instskip(NEXT) | instid1(VALU_DEP_1)
	v_clz_i32_u32_e32 v10, v25
	v_min_u32_e32 v27, 32, v10
	s_delay_alu instid0(VALU_DEP_1) | instskip(NEXT) | instid1(VALU_DEP_1)
	v_subrev_nc_u32_e32 v10, 28, v27
	v_lshlrev_b64_e32 v[10:11], v10, v[14:15]
	v_lshrrev_b32_e32 v11, 3, v15
	s_delay_alu instid0(VALU_DEP_2) | instskip(NEXT) | instid1(VALU_DEP_1)
	v_dual_sub_nc_u32 v27, 29, v27 :: v_dual_bitop2_b32 v10, 7, v10 bitop3:0x40
	v_dual_lshlrev_b32 v14, 24, v14 :: v_dual_cndmask_b32 v11, v11, v27, s7
	s_delay_alu instid0(VALU_DEP_2) | instskip(NEXT) | instid1(VALU_DEP_2)
	v_cndmask_b32_e64 v10, v25, v10, s7
	v_and_b32_e32 v14, 0x80000000, v14
	s_delay_alu instid0(VALU_DEP_3) | instskip(NEXT) | instid1(VALU_DEP_3)
	v_lshl_add_u32 v11, v11, 23, 0x3c000000
	v_lshlrev_b32_e32 v10, 20, v10
	s_delay_alu instid0(VALU_DEP_1)
	v_or3_b32 v10, v10, v14, v11
.LBB6_6195:                             ;   in Loop: Header=BB6_5963 Depth=2
	s_or_b32 exec_lo, exec_lo, s10
	s_delay_alu instid0(VALU_DEP_1) | instskip(SKIP_1) | instid1(VALU_DEP_1)
	v_mul_f32_e32 v10, v24, v10
                                        ; implicit-def: $vgpr27
	s_mov_b32 s10, exec_lo
	v_and_b32_e32 v86, 0x7f800000, v10
	v_lshrrev_b32_e32 v11, 24, v10
	s_delay_alu instid0(VALU_DEP_2)
	v_cmpx_ne_u64_e32 0x7f800000, v[86:87]
	s_xor_b32 s11, exec_lo, s10
	s_cbranch_execz .LBB6_6209
; %bb.6196:                             ;   in Loop: Header=BB6_5963 Depth=2
	v_and_b32_e32 v86, 0x7fffffff, v10
	v_and_b32_e32 v24, 0x80, v11
                                        ; implicit-def: $vgpr27
	s_mov_b32 s10, exec_lo
	s_delay_alu instid0(VALU_DEP_2)
	v_cmpx_gt_u64_e32 0x43e00001, v[86:87]
	s_xor_b32 s29, exec_lo, s10
	s_cbranch_execz .LBB6_6206
; %bb.6197:                             ;   in Loop: Header=BB6_5963 Depth=2
	v_mov_b32_e32 v27, 0
	s_mov_b32 s40, exec_lo
	v_cmpx_ne_u32_e32 0, v10
	s_cbranch_execz .LBB6_6205
; %bb.6198:                             ;   in Loop: Header=BB6_5963 Depth=2
	v_bfe_u32 v25, v10, 23, 8
	v_and_b32_e32 v14, 0x7fffff, v10
	s_delay_alu instid0(VALU_DEP_2) | instskip(SKIP_1) | instid1(VALU_DEP_3)
	v_sub_nc_u32_e32 v11, 0x79, v25
	v_cmp_gt_u32_e64 s7, 0x7a, v25
	v_or_b32_e32 v15, 0x800000, v14
	s_delay_alu instid0(VALU_DEP_2) | instskip(SKIP_1) | instid1(VALU_DEP_1)
	v_cndmask_b32_e64 v11, 0, v11, s7
	v_cmp_eq_u32_e64 s7, 0, v25
	v_cndmask_b32_e64 v86, v15, v14, s7
	s_delay_alu instid0(VALU_DEP_3) | instskip(NEXT) | instid1(VALU_DEP_1)
	v_cndmask_b32_e64 v27, v11, 0x78, s7
	v_dual_add_nc_u32 v10, 20, v27 :: v_dual_add_nc_u32 v31, 19, v27
	s_delay_alu instid0(VALU_DEP_1) | instskip(NEXT) | instid1(VALU_DEP_2)
	v_lshlrev_b64_e64 v[10:11], v10, -1
	v_lshlrev_b64_e64 v[14:15], v31, 1
	s_delay_alu instid0(VALU_DEP_2) | instskip(NEXT) | instid1(VALU_DEP_3)
	v_bfi_b32 v39, v11, 0, 0
	v_bfi_b32 v38, v10, 0, v86
	v_lshrrev_b64 v[10:11], v27, v[86:87]
	s_delay_alu instid0(VALU_DEP_2) | instskip(NEXT) | instid1(VALU_DEP_2)
	v_cmp_eq_u64_e64 s10, v[38:39], v[14:15]
	v_mov_b64_e32 v[14:15], v[10:11]
	s_and_saveexec_b32 s41, s10
; %bb.6199:                             ;   in Loop: Header=BB6_5963 Depth=2
	v_bfe_u32 v86, v10, 20, 1
	s_delay_alu instid0(VALU_DEP_1) | instskip(NEXT) | instid1(VALU_DEP_1)
	v_add_nc_u64_e32 v[14:15], v[10:11], v[86:87]
	v_add_nc_u64_e32 v[14:15], -1, v[14:15]
; %bb.6200:                             ;   in Loop: Header=BB6_5963 Depth=2
	s_or_b32 exec_lo, exec_lo, s41
	v_add_nc_u32_e32 v11, 0xffffff81, v25
	v_lshrrev_b32_e32 v15, 23, v10
	s_mov_b32 s10, exec_lo
	s_delay_alu instid0(VALU_DEP_2) | instskip(NEXT) | instid1(VALU_DEP_1)
	v_cndmask_b32_e64 v11, v11, 0xffffff82, s7
	v_add3_u32 v15, v27, v11, v15
	v_and_b32_e32 v11, 0xfffff, v14
                                        ; implicit-def: $vgpr14
	s_delay_alu instid0(VALU_DEP_1) | instskip(NEXT) | instid1(VALU_DEP_1)
	v_dual_add_nc_u32 v25, 6, v15 :: v_dual_add_nc_u32 v86, v11, v10
                                        ; implicit-def: $vgpr10_vgpr11
	v_cmpx_ne_u32_e32 0, v25
	s_xor_b32 s10, exec_lo, s10
; %bb.6201:                             ;   in Loop: Header=BB6_5963 Depth=2
	s_delay_alu instid0(VALU_DEP_2) | instskip(SKIP_1) | instid1(VALU_DEP_1)
	v_cmp_lt_u64_e64 s7, 0xffffff, v[86:87]
	v_add_nc_u32_e32 v10, 7, v15
	v_cndmask_b32_e64 v14, v25, v10, s7
	v_cndmask_b32_e64 v10, 0, 1, s7
	s_delay_alu instid0(VALU_DEP_1)
	v_lshrrev_b64 v[10:11], v10, v[86:87]
; %bb.6202:                             ;   in Loop: Header=BB6_5963 Depth=2
	s_and_not1_saveexec_b32 s7, s10
; %bb.6203:                             ;   in Loop: Header=BB6_5963 Depth=2
	v_mov_b64_e32 v[10:11], v[86:87]
	v_bfe_u32 v14, v86, 23, 1
; %bb.6204:                             ;   in Loop: Header=BB6_5963 Depth=2
	s_or_b32 exec_lo, exec_lo, s7
	s_delay_alu instid0(VALU_DEP_2) | instskip(NEXT) | instid1(VALU_DEP_2)
	v_lshrrev_b64 v[10:11], 20, v[10:11]
	v_cmp_gt_i32_e64 s7, 16, v14
	v_min_i32_e32 v15, 15, v14
	v_cmp_eq_u32_e64 s10, 0, v14
	s_delay_alu instid0(VALU_DEP_3) | instskip(NEXT) | instid1(VALU_DEP_3)
	v_cndmask_b32_e64 v11, 0, v11, s7
	v_dual_lshlrev_b32 v15, 3, v15 :: v_dual_cndmask_b32 v10, 7, v10, s7
	s_delay_alu instid0(VALU_DEP_1) | instskip(NEXT) | instid1(VALU_DEP_2)
	v_and_b32_e32 v15, 0xf8, v15
	v_cmp_eq_u64_e64 s7, 0, v[10:11]
	s_delay_alu instid0(VALU_DEP_2)
	v_and_or_b32 v10, v10, 7, v15
	s_and_b32 s7, s10, s7
	s_delay_alu instid0(VALU_DEP_1) | instid1(SALU_CYCLE_1)
	v_cndmask_b32_e64 v10, v10, 0, s7
	s_delay_alu instid0(VALU_DEP_1)
	v_or_b32_e32 v27, v10, v24
.LBB6_6205:                             ;   in Loop: Header=BB6_5963 Depth=2
	s_or_b32 exec_lo, exec_lo, s40
                                        ; implicit-def: $vgpr24
.LBB6_6206:                             ;   in Loop: Header=BB6_5963 Depth=2
	s_and_not1_saveexec_b32 s7, s29
; %bb.6207:                             ;   in Loop: Header=BB6_5963 Depth=2
	v_or_b32_e32 v27, 0x7e, v24
; %bb.6208:                             ;   in Loop: Header=BB6_5963 Depth=2
	s_or_b32 exec_lo, exec_lo, s7
                                        ; implicit-def: $vgpr11
.LBB6_6209:                             ;   in Loop: Header=BB6_5963 Depth=2
	s_and_not1_saveexec_b32 s7, s11
; %bb.6210:                             ;   in Loop: Header=BB6_5963 Depth=2
	v_or_b32_e32 v27, 0x7f, v11
; %bb.6211:                             ;   in Loop: Header=BB6_5963 Depth=2
	s_or_b32 exec_lo, exec_lo, s7
	v_and_b32_e32 v11, 0xff, v16
	v_mov_b32_e32 v10, 0
	s_mov_b32 s10, exec_lo
	s_delay_alu instid0(VALU_DEP_2)
	v_cmpx_ne_u16_e32 0, v11
	s_cbranch_execz .LBB6_6217
; %bb.6212:                             ;   in Loop: Header=BB6_5963 Depth=2
	v_bfrev_b32_e32 v10, 1
	s_mov_b32 s11, exec_lo
	v_cmpx_ne_u16_e32 0x80, v11
	s_cbranch_execz .LBB6_6216
; %bb.6213:                             ;   in Loop: Header=BB6_5963 Depth=2
	v_and_b32_e32 v11, 0x7f, v16
	v_mov_b32_e32 v10, 0x7f800001
	s_mov_b32 s29, exec_lo
	s_delay_alu instid0(VALU_DEP_2)
	v_cmpx_ne_u32_e32 0x7f, v11
	s_cbranch_execz .LBB6_6215
; %bb.6214:                             ;   in Loop: Header=BB6_5963 Depth=2
	v_dual_lshrrev_b32 v14, 3, v11 :: v_dual_bitop2_b32 v10, 7, v16 bitop3:0x40
	v_cmp_gt_u32_e64 s7, 8, v11
	s_delay_alu instid0(VALU_DEP_2) | instskip(NEXT) | instid1(VALU_DEP_1)
	v_clz_i32_u32_e32 v10, v10
	v_min_u32_e32 v10, 32, v10
	s_delay_alu instid0(VALU_DEP_1) | instskip(SKIP_1) | instid1(VALU_DEP_1)
	v_subrev_nc_u32_e32 v15, 28, v10
	v_sub_nc_u32_e32 v10, 29, v10
	v_dual_cndmask_b32 v14, v14, v10, s7 :: v_dual_cndmask_b32 v10, 0, v15, s7
	s_delay_alu instid0(VALU_DEP_1) | instskip(NEXT) | instid1(VALU_DEP_2)
	v_lshl_add_u32 v14, v14, 23, 0x3c000000
	v_lshlrev_b64_e32 v[10:11], v10, v[16:17]
	v_lshlrev_b32_e32 v11, 24, v16
	s_delay_alu instid0(VALU_DEP_1) | instskip(NEXT) | instid1(VALU_DEP_3)
	v_and_b32_e32 v11, 0x80000000, v11
	v_lshlrev_b32_e32 v10, 20, v10
	s_delay_alu instid0(VALU_DEP_1) | instskip(NEXT) | instid1(VALU_DEP_1)
	v_and_b32_e32 v10, 0x700000, v10
	v_or3_b32 v10, v10, v11, v14
.LBB6_6215:                             ;   in Loop: Header=BB6_5963 Depth=2
	s_or_b32 exec_lo, exec_lo, s29
.LBB6_6216:                             ;   in Loop: Header=BB6_5963 Depth=2
	s_delay_alu instid0(SALU_CYCLE_1)
	s_or_b32 exec_lo, exec_lo, s11
.LBB6_6217:                             ;   in Loop: Header=BB6_5963 Depth=2
	s_delay_alu instid0(SALU_CYCLE_1) | instskip(SKIP_3) | instid1(VALU_DEP_1)
	s_or_b32 exec_lo, exec_lo, s10
	v_and_b32_e32 v14, 0xff, v12
	s_mov_b32 s10, 0
	s_mov_b32 s11, exec_lo
	v_cmpx_lt_i16_e32 0x7f, v14
	s_xor_b32 s11, exec_lo, s11
	s_cbranch_execz .LBB6_6252
; %bb.6218:                             ;   in Loop: Header=BB6_5963 Depth=2
	s_mov_b32 s10, -1
	s_mov_b32 s29, exec_lo
	v_cmpx_eq_u16_e32 0x80, v14
; %bb.6219:                             ;   in Loop: Header=BB6_5963 Depth=2
	s_xor_b32 s10, exec_lo, -1
; %bb.6220:                             ;   in Loop: Header=BB6_5963 Depth=2
	s_or_b32 exec_lo, exec_lo, s29
	s_delay_alu instid0(SALU_CYCLE_1)
	s_and_b32 s10, s10, exec_lo
                                        ; implicit-def: $vgpr14
	s_or_saveexec_b32 s11, s11
	v_bfrev_b32_e32 v11, 1
	s_xor_b32 exec_lo, exec_lo, s11
	s_cbranch_execnz .LBB6_6253
.LBB6_6221:                             ;   in Loop: Header=BB6_5963 Depth=2
	s_or_b32 exec_lo, exec_lo, s11
	s_and_saveexec_b32 s11, s10
	s_cbranch_execz .LBB6_6223
.LBB6_6222:                             ;   in Loop: Header=BB6_5963 Depth=2
	v_and_b32_e32 v24, 0x7f, v12
	v_bfe_u32 v14, v12, 3, 4
	s_delay_alu instid0(VALU_DEP_2) | instskip(SKIP_1) | instid1(VALU_DEP_1)
	v_cmp_gt_u32_e64 s7, 8, v24
	v_and_b32_e32 v11, 7, v12
	v_clz_i32_u32_e32 v11, v11
	s_delay_alu instid0(VALU_DEP_1) | instskip(NEXT) | instid1(VALU_DEP_1)
	v_min_u32_e32 v11, 32, v11
	v_subrev_nc_u32_e32 v15, 28, v11
	v_sub_nc_u32_e32 v11, 29, v11
	s_delay_alu instid0(VALU_DEP_1) | instskip(NEXT) | instid1(VALU_DEP_3)
	v_cndmask_b32_e64 v11, v14, v11, s7
	v_cndmask_b32_e64 v14, 0, v15, s7
	v_cmp_ne_u32_e64 s7, 0x7f, v24
	s_delay_alu instid0(VALU_DEP_2) | instskip(SKIP_1) | instid1(VALU_DEP_1)
	v_lshlrev_b64_e32 v[14:15], v14, v[12:13]
	v_lshlrev_b32_e32 v15, 24, v12
	v_and_b32_e32 v15, 0x80000000, v15
	s_delay_alu instid0(VALU_DEP_3) | instskip(SKIP_1) | instid1(VALU_DEP_2)
	v_lshlrev_b32_e32 v14, 20, v14
	v_lshl_add_u32 v11, v11, 23, 0x3c000000
	v_and_b32_e32 v14, 0x700000, v14
	s_delay_alu instid0(VALU_DEP_1) | instskip(NEXT) | instid1(VALU_DEP_1)
	v_or3_b32 v11, v14, v15, v11
	v_cndmask_b32_e64 v11, 0x7f800001, v11, s7
.LBB6_6223:                             ;   in Loop: Header=BB6_5963 Depth=2
	s_or_b32 exec_lo, exec_lo, s11
	s_delay_alu instid0(VALU_DEP_1) | instskip(SKIP_1) | instid1(VALU_DEP_1)
	v_mul_f32_e32 v10, v10, v11
                                        ; implicit-def: $vgpr38
	s_mov_b32 s10, exec_lo
	v_and_b32_e32 v86, 0x7f800000, v10
	v_lshrrev_b32_e32 v11, 24, v10
	s_delay_alu instid0(VALU_DEP_2)
	v_cmpx_ne_u64_e32 0x7f800000, v[86:87]
	s_xor_b32 s11, exec_lo, s10
	s_cbranch_execz .LBB6_6237
; %bb.6224:                             ;   in Loop: Header=BB6_5963 Depth=2
	v_and_b32_e32 v86, 0x7fffffff, v10
	v_and_b32_e32 v24, 0x80, v11
                                        ; implicit-def: $vgpr38
	s_mov_b32 s10, exec_lo
	s_delay_alu instid0(VALU_DEP_2)
	v_cmpx_gt_u64_e32 0x43e00001, v[86:87]
	s_xor_b32 s29, exec_lo, s10
	s_cbranch_execz .LBB6_6234
; %bb.6225:                             ;   in Loop: Header=BB6_5963 Depth=2
	v_mov_b32_e32 v38, 0
	s_mov_b32 s40, exec_lo
	v_cmpx_ne_u32_e32 0, v10
	s_cbranch_execz .LBB6_6233
; %bb.6226:                             ;   in Loop: Header=BB6_5963 Depth=2
	v_bfe_u32 v25, v10, 23, 8
	v_and_b32_e32 v14, 0x7fffff, v10
	s_delay_alu instid0(VALU_DEP_2) | instskip(SKIP_1) | instid1(VALU_DEP_3)
	v_sub_nc_u32_e32 v11, 0x79, v25
	v_cmp_gt_u32_e64 s7, 0x7a, v25
	v_or_b32_e32 v15, 0x800000, v14
	s_delay_alu instid0(VALU_DEP_2) | instskip(SKIP_1) | instid1(VALU_DEP_1)
	v_cndmask_b32_e64 v11, 0, v11, s7
	v_cmp_eq_u32_e64 s7, 0, v25
	v_cndmask_b32_e64 v86, v15, v14, s7
	s_delay_alu instid0(VALU_DEP_3) | instskip(NEXT) | instid1(VALU_DEP_1)
	v_cndmask_b32_e64 v31, v11, 0x78, s7
	v_dual_add_nc_u32 v10, 20, v31 :: v_dual_add_nc_u32 v38, 19, v31
	s_delay_alu instid0(VALU_DEP_1) | instskip(NEXT) | instid1(VALU_DEP_2)
	v_lshlrev_b64_e64 v[10:11], v10, -1
	v_lshlrev_b64_e64 v[14:15], v38, 1
	s_delay_alu instid0(VALU_DEP_2) | instskip(NEXT) | instid1(VALU_DEP_3)
	v_bfi_b32 v39, v11, 0, 0
	v_bfi_b32 v38, v10, 0, v86
	v_lshrrev_b64 v[10:11], v31, v[86:87]
	s_delay_alu instid0(VALU_DEP_2) | instskip(NEXT) | instid1(VALU_DEP_2)
	v_cmp_eq_u64_e64 s10, v[38:39], v[14:15]
	v_mov_b64_e32 v[14:15], v[10:11]
	s_and_saveexec_b32 s41, s10
; %bb.6227:                             ;   in Loop: Header=BB6_5963 Depth=2
	v_bfe_u32 v86, v10, 20, 1
	s_delay_alu instid0(VALU_DEP_1) | instskip(NEXT) | instid1(VALU_DEP_1)
	v_add_nc_u64_e32 v[14:15], v[10:11], v[86:87]
	v_add_nc_u64_e32 v[14:15], -1, v[14:15]
; %bb.6228:                             ;   in Loop: Header=BB6_5963 Depth=2
	s_or_b32 exec_lo, exec_lo, s41
	v_add_nc_u32_e32 v11, 0xffffff81, v25
	v_lshrrev_b32_e32 v15, 23, v10
	s_mov_b32 s10, exec_lo
	s_delay_alu instid0(VALU_DEP_2) | instskip(NEXT) | instid1(VALU_DEP_1)
	v_cndmask_b32_e64 v11, v11, 0xffffff82, s7
	v_add3_u32 v15, v31, v11, v15
	v_and_b32_e32 v11, 0xfffff, v14
                                        ; implicit-def: $vgpr14
	s_delay_alu instid0(VALU_DEP_1) | instskip(NEXT) | instid1(VALU_DEP_1)
	v_dual_add_nc_u32 v25, 6, v15 :: v_dual_add_nc_u32 v86, v11, v10
                                        ; implicit-def: $vgpr10_vgpr11
	v_cmpx_ne_u32_e32 0, v25
	s_xor_b32 s10, exec_lo, s10
; %bb.6229:                             ;   in Loop: Header=BB6_5963 Depth=2
	s_delay_alu instid0(VALU_DEP_2) | instskip(SKIP_1) | instid1(VALU_DEP_1)
	v_cmp_lt_u64_e64 s7, 0xffffff, v[86:87]
	v_add_nc_u32_e32 v10, 7, v15
	v_cndmask_b32_e64 v14, v25, v10, s7
	v_cndmask_b32_e64 v10, 0, 1, s7
	s_delay_alu instid0(VALU_DEP_1)
	v_lshrrev_b64 v[10:11], v10, v[86:87]
; %bb.6230:                             ;   in Loop: Header=BB6_5963 Depth=2
	s_and_not1_saveexec_b32 s7, s10
; %bb.6231:                             ;   in Loop: Header=BB6_5963 Depth=2
	v_mov_b64_e32 v[10:11], v[86:87]
	v_bfe_u32 v14, v86, 23, 1
; %bb.6232:                             ;   in Loop: Header=BB6_5963 Depth=2
	s_or_b32 exec_lo, exec_lo, s7
	s_delay_alu instid0(VALU_DEP_2) | instskip(NEXT) | instid1(VALU_DEP_2)
	v_lshrrev_b64 v[10:11], 20, v[10:11]
	v_cmp_gt_i32_e64 s7, 16, v14
	v_min_i32_e32 v15, 15, v14
	v_cmp_eq_u32_e64 s10, 0, v14
	s_delay_alu instid0(VALU_DEP_3) | instskip(NEXT) | instid1(VALU_DEP_3)
	v_cndmask_b32_e64 v11, 0, v11, s7
	v_dual_lshlrev_b32 v15, 3, v15 :: v_dual_cndmask_b32 v10, 7, v10, s7
	s_delay_alu instid0(VALU_DEP_1) | instskip(NEXT) | instid1(VALU_DEP_2)
	v_and_b32_e32 v15, 0xf8, v15
	v_cmp_eq_u64_e64 s7, 0, v[10:11]
	s_delay_alu instid0(VALU_DEP_2)
	v_and_or_b32 v10, v10, 7, v15
	s_and_b32 s7, s10, s7
	s_delay_alu instid0(VALU_DEP_1) | instid1(SALU_CYCLE_1)
	v_cndmask_b32_e64 v10, v10, 0, s7
	s_delay_alu instid0(VALU_DEP_1)
	v_or_b32_e32 v38, v10, v24
.LBB6_6233:                             ;   in Loop: Header=BB6_5963 Depth=2
	s_or_b32 exec_lo, exec_lo, s40
                                        ; implicit-def: $vgpr24
.LBB6_6234:                             ;   in Loop: Header=BB6_5963 Depth=2
	s_and_not1_saveexec_b32 s7, s29
; %bb.6235:                             ;   in Loop: Header=BB6_5963 Depth=2
	v_or_b32_e32 v38, 0x7e, v24
; %bb.6236:                             ;   in Loop: Header=BB6_5963 Depth=2
	s_or_b32 exec_lo, exec_lo, s7
                                        ; implicit-def: $vgpr11
.LBB6_6237:                             ;   in Loop: Header=BB6_5963 Depth=2
	s_and_not1_saveexec_b32 s7, s11
; %bb.6238:                             ;   in Loop: Header=BB6_5963 Depth=2
	v_or_b32_e32 v38, 0x7f, v11
; %bb.6239:                             ;   in Loop: Header=BB6_5963 Depth=2
	s_or_b32 exec_lo, exec_lo, s7
	v_lshrrev_b16 v10, 8, v16
	v_mov_b32_e32 v11, 0
	s_mov_b32 s10, exec_lo
	s_delay_alu instid0(VALU_DEP_2)
	v_cmpx_ne_u16_e32 0, v10
	s_cbranch_execz .LBB6_6247
; %bb.6240:                             ;   in Loop: Header=BB6_5963 Depth=2
	v_bfrev_b32_e32 v11, 1
	s_mov_b32 s11, exec_lo
	v_cmpx_ne_u16_e32 0x80, v10
	s_cbranch_execz .LBB6_6246
; %bb.6241:                             ;   in Loop: Header=BB6_5963 Depth=2
	v_and_b32_e32 v10, 0xffff, v10
	v_mov_b32_e32 v11, 0x7f800001
	s_mov_b32 s29, exec_lo
	s_delay_alu instid0(VALU_DEP_2) | instskip(NEXT) | instid1(VALU_DEP_1)
	v_and_b32_e32 v14, 0x7f, v10
	v_cmpx_ne_u32_e32 0x7f, v14
	s_cbranch_execz .LBB6_6245
; %bb.6242:                             ;   in Loop: Header=BB6_5963 Depth=2
	v_and_b32_e32 v86, 7, v10
	v_lshrrev_b32_e32 v10, 3, v14
	s_mov_b32 s40, exec_lo
	v_cmpx_gt_u32_e32 8, v14
; %bb.6243:                             ;   in Loop: Header=BB6_5963 Depth=2
	s_delay_alu instid0(VALU_DEP_3) | instskip(NEXT) | instid1(VALU_DEP_1)
	v_clz_i32_u32_e32 v10, v86
	v_min_u32_e32 v10, 32, v10
	s_delay_alu instid0(VALU_DEP_1) | instskip(SKIP_1) | instid1(VALU_DEP_2)
	v_subrev_nc_u32_e32 v11, 28, v10
	v_sub_nc_u32_e32 v10, 29, v10
	v_lshlrev_b64_e32 v[14:15], v11, v[86:87]
	s_delay_alu instid0(VALU_DEP_1)
	v_and_b32_e32 v86, 7, v14
; %bb.6244:                             ;   in Loop: Header=BB6_5963 Depth=2
	s_or_b32 exec_lo, exec_lo, s40
	s_delay_alu instid0(VALU_DEP_1) | instskip(SKIP_1) | instid1(VALU_DEP_2)
	v_dual_lshlrev_b32 v11, 16, v16 :: v_dual_lshlrev_b32 v14, 20, v86
	v_lshl_add_u32 v10, v10, 23, 0x3c000000
	v_and_b32_e32 v11, 0x80000000, v11
	s_delay_alu instid0(VALU_DEP_1)
	v_or3_b32 v11, v14, v11, v10
.LBB6_6245:                             ;   in Loop: Header=BB6_5963 Depth=2
	s_or_b32 exec_lo, exec_lo, s29
.LBB6_6246:                             ;   in Loop: Header=BB6_5963 Depth=2
	s_delay_alu instid0(SALU_CYCLE_1)
	s_or_b32 exec_lo, exec_lo, s11
.LBB6_6247:                             ;   in Loop: Header=BB6_5963 Depth=2
	s_delay_alu instid0(SALU_CYCLE_1) | instskip(SKIP_3) | instid1(VALU_DEP_1)
	s_or_b32 exec_lo, exec_lo, s10
	v_lshrrev_b16 v14, 8, v12
	s_mov_b32 s11, 0
	s_mov_b32 s10, exec_lo
	v_cmpx_lt_i16_e32 0x7f, v14
	s_xor_b32 s10, exec_lo, s10
	s_cbranch_execz .LBB6_6254
; %bb.6248:                             ;   in Loop: Header=BB6_5963 Depth=2
	s_mov_b32 s11, -1
	s_mov_b32 s29, exec_lo
	v_cmpx_eq_u16_e32 0x80, v14
; %bb.6249:                             ;   in Loop: Header=BB6_5963 Depth=2
	s_xor_b32 s11, exec_lo, -1
; %bb.6250:                             ;   in Loop: Header=BB6_5963 Depth=2
	s_or_b32 exec_lo, exec_lo, s29
	s_delay_alu instid0(SALU_CYCLE_1)
	s_and_b32 s11, s11, exec_lo
	s_or_saveexec_b32 s10, s10
	v_bfrev_b32_e32 v15, 1
	s_xor_b32 exec_lo, exec_lo, s10
	s_cbranch_execnz .LBB6_6255
.LBB6_6251:                             ;   in Loop: Header=BB6_5963 Depth=2
	s_or_b32 exec_lo, exec_lo, s10
	s_and_saveexec_b32 s10, s11
	s_cbranch_execnz .LBB6_6256
	s_branch .LBB6_6259
.LBB6_6252:                             ;   in Loop: Header=BB6_5963 Depth=2
	s_or_saveexec_b32 s11, s11
	v_bfrev_b32_e32 v11, 1
	s_xor_b32 exec_lo, exec_lo, s11
	s_cbranch_execz .LBB6_6221
.LBB6_6253:                             ;   in Loop: Header=BB6_5963 Depth=2
	v_cmp_ne_u16_e64 s7, 0, v14
	v_mov_b32_e32 v11, 0
	s_and_not1_b32 s10, s10, exec_lo
	s_and_b32 s7, s7, exec_lo
	s_delay_alu instid0(SALU_CYCLE_1)
	s_or_b32 s10, s10, s7
	s_or_b32 exec_lo, exec_lo, s11
	s_and_saveexec_b32 s11, s10
	s_cbranch_execnz .LBB6_6222
	s_branch .LBB6_6223
.LBB6_6254:                             ;   in Loop: Header=BB6_5963 Depth=2
	s_or_saveexec_b32 s10, s10
	v_bfrev_b32_e32 v15, 1
	s_xor_b32 exec_lo, exec_lo, s10
	s_cbranch_execz .LBB6_6251
.LBB6_6255:                             ;   in Loop: Header=BB6_5963 Depth=2
	v_cmp_ne_u16_e64 s7, 0, v14
	v_mov_b32_e32 v15, 0
	s_and_not1_b32 s11, s11, exec_lo
	s_and_b32 s7, s7, exec_lo
	s_delay_alu instid0(SALU_CYCLE_1)
	s_or_b32 s11, s11, s7
	s_or_b32 exec_lo, exec_lo, s10
	s_and_saveexec_b32 s10, s11
	s_cbranch_execz .LBB6_6259
.LBB6_6256:                             ;   in Loop: Header=BB6_5963 Depth=2
	v_and_b32_e32 v10, 0xffff, v14
	v_mov_b32_e32 v15, 0x7f800001
	s_mov_b32 s11, exec_lo
	s_delay_alu instid0(VALU_DEP_2) | instskip(NEXT) | instid1(VALU_DEP_1)
	v_and_b32_e32 v24, 0x7f, v10
	v_cmpx_ne_u32_e32 0x7f, v24
	s_cbranch_execz .LBB6_6258
; %bb.6257:                             ;   in Loop: Header=BB6_5963 Depth=2
	v_and_b32_e32 v15, 7, v10
	v_cmp_gt_u32_e64 s7, 8, v24
	s_delay_alu instid0(VALU_DEP_2) | instskip(NEXT) | instid1(VALU_DEP_1)
	v_clz_i32_u32_e32 v25, v15
	v_min_u32_e32 v25, 32, v25
	s_delay_alu instid0(VALU_DEP_1) | instskip(NEXT) | instid1(VALU_DEP_1)
	v_subrev_nc_u32_e32 v31, 28, v25
	v_lshlrev_b64_e32 v[48:49], v31, v[10:11]
	v_dual_lshrrev_b32 v10, 3, v24 :: v_dual_sub_nc_u32 v25, 29, v25
	s_delay_alu instid0(VALU_DEP_2) | instskip(NEXT) | instid1(VALU_DEP_1)
	v_dual_lshlrev_b32 v14, 24, v14 :: v_dual_bitop2_b32 v24, 7, v48 bitop3:0x40
	v_dual_cndmask_b32 v10, v10, v25, s7 :: v_dual_cndmask_b32 v15, v15, v24, s7
	s_delay_alu instid0(VALU_DEP_2) | instskip(NEXT) | instid1(VALU_DEP_2)
	v_and_b32_e32 v14, 0x80000000, v14
	v_lshl_add_u32 v10, v10, 23, 0x3c000000
	s_delay_alu instid0(VALU_DEP_3) | instskip(NEXT) | instid1(VALU_DEP_1)
	v_lshlrev_b32_e32 v15, 20, v15
	v_or3_b32 v15, v15, v14, v10
.LBB6_6258:                             ;   in Loop: Header=BB6_5963 Depth=2
	s_or_b32 exec_lo, exec_lo, s11
.LBB6_6259:                             ;   in Loop: Header=BB6_5963 Depth=2
	s_delay_alu instid0(SALU_CYCLE_1) | instskip(NEXT) | instid1(VALU_DEP_1)
	s_or_b32 exec_lo, exec_lo, s10
	v_mul_f32_e32 v10, v11, v15
                                        ; implicit-def: $vgpr39
	s_mov_b32 s10, exec_lo
	s_delay_alu instid0(VALU_DEP_1) | instskip(SKIP_1) | instid1(VALU_DEP_2)
	v_and_b32_e32 v86, 0x7f800000, v10
	v_lshrrev_b32_e32 v11, 24, v10
	v_cmpx_ne_u64_e32 0x7f800000, v[86:87]
	s_xor_b32 s11, exec_lo, s10
	s_cbranch_execz .LBB6_6273
; %bb.6260:                             ;   in Loop: Header=BB6_5963 Depth=2
	v_and_b32_e32 v86, 0x7fffffff, v10
	v_and_b32_e32 v24, 0x80, v11
                                        ; implicit-def: $vgpr39
	s_mov_b32 s10, exec_lo
	s_delay_alu instid0(VALU_DEP_2)
	v_cmpx_gt_u64_e32 0x43e00001, v[86:87]
	s_xor_b32 s29, exec_lo, s10
	s_cbranch_execz .LBB6_6270
; %bb.6261:                             ;   in Loop: Header=BB6_5963 Depth=2
	v_mov_b32_e32 v39, 0
	s_mov_b32 s40, exec_lo
	v_cmpx_ne_u32_e32 0, v10
	s_cbranch_execz .LBB6_6269
; %bb.6262:                             ;   in Loop: Header=BB6_5963 Depth=2
	v_bfe_u32 v25, v10, 23, 8
	v_and_b32_e32 v14, 0x7fffff, v10
	s_delay_alu instid0(VALU_DEP_2) | instskip(SKIP_1) | instid1(VALU_DEP_3)
	v_sub_nc_u32_e32 v11, 0x79, v25
	v_cmp_gt_u32_e64 s7, 0x7a, v25
	v_or_b32_e32 v15, 0x800000, v14
	s_delay_alu instid0(VALU_DEP_2) | instskip(SKIP_1) | instid1(VALU_DEP_1)
	v_cndmask_b32_e64 v11, 0, v11, s7
	v_cmp_eq_u32_e64 s7, 0, v25
	v_cndmask_b32_e64 v86, v15, v14, s7
	s_delay_alu instid0(VALU_DEP_3) | instskip(NEXT) | instid1(VALU_DEP_1)
	v_cndmask_b32_e64 v31, v11, 0x78, s7
	v_dual_add_nc_u32 v10, 20, v31 :: v_dual_add_nc_u32 v39, 19, v31
	s_delay_alu instid0(VALU_DEP_1) | instskip(NEXT) | instid1(VALU_DEP_2)
	v_lshlrev_b64_e64 v[10:11], v10, -1
	v_lshlrev_b64_e64 v[14:15], v39, 1
	s_delay_alu instid0(VALU_DEP_2) | instskip(NEXT) | instid1(VALU_DEP_3)
	v_bfi_b32 v49, v11, 0, 0
	v_bfi_b32 v48, v10, 0, v86
	v_lshrrev_b64 v[10:11], v31, v[86:87]
	s_delay_alu instid0(VALU_DEP_2) | instskip(NEXT) | instid1(VALU_DEP_2)
	v_cmp_eq_u64_e64 s10, v[48:49], v[14:15]
	v_mov_b64_e32 v[14:15], v[10:11]
	s_and_saveexec_b32 s41, s10
; %bb.6263:                             ;   in Loop: Header=BB6_5963 Depth=2
	v_bfe_u32 v86, v10, 20, 1
	s_delay_alu instid0(VALU_DEP_1) | instskip(NEXT) | instid1(VALU_DEP_1)
	v_add_nc_u64_e32 v[14:15], v[10:11], v[86:87]
	v_add_nc_u64_e32 v[14:15], -1, v[14:15]
; %bb.6264:                             ;   in Loop: Header=BB6_5963 Depth=2
	s_or_b32 exec_lo, exec_lo, s41
	v_add_nc_u32_e32 v11, 0xffffff81, v25
	v_lshrrev_b32_e32 v15, 23, v10
	s_mov_b32 s10, exec_lo
	s_delay_alu instid0(VALU_DEP_2) | instskip(NEXT) | instid1(VALU_DEP_1)
	v_cndmask_b32_e64 v11, v11, 0xffffff82, s7
	v_add3_u32 v15, v31, v11, v15
	v_and_b32_e32 v11, 0xfffff, v14
                                        ; implicit-def: $vgpr14
	s_delay_alu instid0(VALU_DEP_1) | instskip(NEXT) | instid1(VALU_DEP_1)
	v_dual_add_nc_u32 v25, 6, v15 :: v_dual_add_nc_u32 v86, v11, v10
                                        ; implicit-def: $vgpr10_vgpr11
	v_cmpx_ne_u32_e32 0, v25
	s_xor_b32 s10, exec_lo, s10
; %bb.6265:                             ;   in Loop: Header=BB6_5963 Depth=2
	s_delay_alu instid0(VALU_DEP_2) | instskip(SKIP_1) | instid1(VALU_DEP_1)
	v_cmp_lt_u64_e64 s7, 0xffffff, v[86:87]
	v_add_nc_u32_e32 v10, 7, v15
	v_cndmask_b32_e64 v14, v25, v10, s7
	v_cndmask_b32_e64 v10, 0, 1, s7
	s_delay_alu instid0(VALU_DEP_1)
	v_lshrrev_b64 v[10:11], v10, v[86:87]
; %bb.6266:                             ;   in Loop: Header=BB6_5963 Depth=2
	s_and_not1_saveexec_b32 s7, s10
; %bb.6267:                             ;   in Loop: Header=BB6_5963 Depth=2
	v_mov_b64_e32 v[10:11], v[86:87]
	v_bfe_u32 v14, v86, 23, 1
; %bb.6268:                             ;   in Loop: Header=BB6_5963 Depth=2
	s_or_b32 exec_lo, exec_lo, s7
	s_delay_alu instid0(VALU_DEP_2) | instskip(NEXT) | instid1(VALU_DEP_2)
	v_lshrrev_b64 v[10:11], 20, v[10:11]
	v_cmp_gt_i32_e64 s7, 16, v14
	v_min_i32_e32 v15, 15, v14
	v_cmp_eq_u32_e64 s10, 0, v14
	s_delay_alu instid0(VALU_DEP_3) | instskip(NEXT) | instid1(VALU_DEP_3)
	v_cndmask_b32_e64 v11, 0, v11, s7
	v_dual_lshlrev_b32 v15, 3, v15 :: v_dual_cndmask_b32 v10, 7, v10, s7
	s_delay_alu instid0(VALU_DEP_1) | instskip(NEXT) | instid1(VALU_DEP_2)
	v_and_b32_e32 v15, 0xf8, v15
	v_cmp_eq_u64_e64 s7, 0, v[10:11]
	s_delay_alu instid0(VALU_DEP_2)
	v_and_or_b32 v10, v10, 7, v15
	s_and_b32 s7, s10, s7
	s_delay_alu instid0(VALU_DEP_1) | instid1(SALU_CYCLE_1)
	v_cndmask_b32_e64 v10, v10, 0, s7
	s_delay_alu instid0(VALU_DEP_1)
	v_or_b32_e32 v39, v10, v24
.LBB6_6269:                             ;   in Loop: Header=BB6_5963 Depth=2
	s_or_b32 exec_lo, exec_lo, s40
                                        ; implicit-def: $vgpr24
.LBB6_6270:                             ;   in Loop: Header=BB6_5963 Depth=2
	s_and_not1_saveexec_b32 s7, s29
; %bb.6271:                             ;   in Loop: Header=BB6_5963 Depth=2
	v_or_b32_e32 v39, 0x7e, v24
; %bb.6272:                             ;   in Loop: Header=BB6_5963 Depth=2
	s_or_b32 exec_lo, exec_lo, s7
                                        ; implicit-def: $vgpr11
.LBB6_6273:                             ;   in Loop: Header=BB6_5963 Depth=2
	s_and_not1_saveexec_b32 s7, s11
; %bb.6274:                             ;   in Loop: Header=BB6_5963 Depth=2
	v_or_b32_e32 v39, 0x7f, v11
; %bb.6275:                             ;   in Loop: Header=BB6_5963 Depth=2
	s_or_b32 exec_lo, exec_lo, s7
	v_dual_mov_b32 v11, 0 :: v_dual_lshrrev_b32 v10, 16, v16
	s_mov_b32 s10, exec_lo
	s_delay_alu instid0(VALU_DEP_1) | instskip(NEXT) | instid1(VALU_DEP_1)
	v_and_b32_e32 v14, 0xff, v10
	v_cmpx_ne_u16_e32 0, v14
	s_cbranch_execz .LBB6_6283
; %bb.6276:                             ;   in Loop: Header=BB6_5963 Depth=2
	v_bfrev_b32_e32 v11, 1
	s_mov_b32 s11, exec_lo
	v_cmpx_ne_u16_e32 0x80, v14
	s_cbranch_execz .LBB6_6282
; %bb.6277:                             ;   in Loop: Header=BB6_5963 Depth=2
	v_bfe_u32 v14, v16, 16, 7
	v_mov_b32_e32 v11, 0x7f800001
	s_mov_b32 s29, exec_lo
	s_delay_alu instid0(VALU_DEP_2)
	v_cmpx_ne_u32_e32 0x7f, v14
	s_cbranch_execz .LBB6_6281
; %bb.6278:                             ;   in Loop: Header=BB6_5963 Depth=2
	v_and_b32_e32 v86, 7, v10
	v_lshrrev_b32_e32 v11, 3, v14
	s_mov_b32 s40, exec_lo
	v_cmpx_gt_u32_e32 8, v14
; %bb.6279:                             ;   in Loop: Header=BB6_5963 Depth=2
	s_delay_alu instid0(VALU_DEP_3) | instskip(NEXT) | instid1(VALU_DEP_1)
	v_clz_i32_u32_e32 v11, v86
	v_min_u32_e32 v11, 32, v11
	s_delay_alu instid0(VALU_DEP_1) | instskip(NEXT) | instid1(VALU_DEP_1)
	v_subrev_nc_u32_e32 v14, 28, v11
	v_lshlrev_b64_e32 v[14:15], v14, v[86:87]
	s_delay_alu instid0(VALU_DEP_1)
	v_dual_sub_nc_u32 v11, 29, v11 :: v_dual_bitop2_b32 v86, 7, v14 bitop3:0x40
; %bb.6280:                             ;   in Loop: Header=BB6_5963 Depth=2
	s_or_b32 exec_lo, exec_lo, s40
	v_lshlrev_b32_e32 v10, 24, v10
	s_delay_alu instid0(VALU_DEP_2) | instskip(NEXT) | instid1(VALU_DEP_3)
	v_lshlrev_b32_e32 v14, 20, v86
	v_lshl_add_u32 v11, v11, 23, 0x3c000000
	s_delay_alu instid0(VALU_DEP_3) | instskip(NEXT) | instid1(VALU_DEP_1)
	v_and_b32_e32 v10, 0x80000000, v10
	v_or3_b32 v11, v14, v10, v11
.LBB6_6281:                             ;   in Loop: Header=BB6_5963 Depth=2
	s_or_b32 exec_lo, exec_lo, s29
.LBB6_6282:                             ;   in Loop: Header=BB6_5963 Depth=2
	s_delay_alu instid0(SALU_CYCLE_1)
	s_or_b32 exec_lo, exec_lo, s11
.LBB6_6283:                             ;   in Loop: Header=BB6_5963 Depth=2
	s_delay_alu instid0(SALU_CYCLE_1) | instskip(SKIP_3) | instid1(VALU_DEP_1)
	s_or_b32 exec_lo, exec_lo, s10
	v_lshrrev_b32_e32 v10, 16, v12
	s_mov_b32 s11, 0
	s_mov_b32 s10, exec_lo
	v_and_b32_e32 v15, 0xff, v10
	s_delay_alu instid0(VALU_DEP_1)
	v_cmpx_lt_i16_e32 0x7f, v15
	s_xor_b32 s10, exec_lo, s10
	s_cbranch_execz .LBB6_6288
; %bb.6284:                             ;   in Loop: Header=BB6_5963 Depth=2
	s_mov_b32 s11, -1
	s_mov_b32 s29, exec_lo
	v_cmpx_eq_u16_e32 0x80, v15
; %bb.6285:                             ;   in Loop: Header=BB6_5963 Depth=2
	s_xor_b32 s11, exec_lo, -1
; %bb.6286:                             ;   in Loop: Header=BB6_5963 Depth=2
	s_or_b32 exec_lo, exec_lo, s29
	s_delay_alu instid0(SALU_CYCLE_1)
	s_and_b32 s11, s11, exec_lo
                                        ; implicit-def: $vgpr15
	s_or_saveexec_b32 s10, s10
	v_bfrev_b32_e32 v14, 1
	s_xor_b32 exec_lo, exec_lo, s10
	s_cbranch_execnz .LBB6_6289
.LBB6_6287:                             ;   in Loop: Header=BB6_5963 Depth=2
	s_or_b32 exec_lo, exec_lo, s10
	s_and_saveexec_b32 s10, s11
	s_cbranch_execnz .LBB6_6290
	s_branch .LBB6_6293
.LBB6_6288:                             ;   in Loop: Header=BB6_5963 Depth=2
	s_or_saveexec_b32 s10, s10
	v_bfrev_b32_e32 v14, 1
	s_xor_b32 exec_lo, exec_lo, s10
	s_cbranch_execz .LBB6_6287
.LBB6_6289:                             ;   in Loop: Header=BB6_5963 Depth=2
	v_cmp_ne_u16_e64 s7, 0, v15
	v_mov_b32_e32 v14, 0
	s_and_not1_b32 s11, s11, exec_lo
	s_and_b32 s7, s7, exec_lo
	s_delay_alu instid0(SALU_CYCLE_1)
	s_or_b32 s11, s11, s7
	s_or_b32 exec_lo, exec_lo, s10
	s_and_saveexec_b32 s10, s11
	s_cbranch_execz .LBB6_6293
.LBB6_6290:                             ;   in Loop: Header=BB6_5963 Depth=2
	v_and_b32_e32 v15, 0x7f, v10
	v_mov_b32_e32 v14, 0x7f800001
	s_mov_b32 s11, exec_lo
	s_delay_alu instid0(VALU_DEP_2)
	v_cmpx_ne_u32_e32 0x7f, v15
	s_cbranch_execz .LBB6_6292
; %bb.6291:                             ;   in Loop: Header=BB6_5963 Depth=2
	v_and_b32_e32 v14, 7, v10
	v_cmp_gt_u32_e64 s7, 8, v15
	s_delay_alu instid0(VALU_DEP_2) | instskip(NEXT) | instid1(VALU_DEP_1)
	v_clz_i32_u32_e32 v24, v14
	v_min_u32_e32 v31, 32, v24
	s_delay_alu instid0(VALU_DEP_1) | instskip(NEXT) | instid1(VALU_DEP_1)
	v_subrev_nc_u32_e32 v24, 28, v31
	v_lshlrev_b64_e32 v[24:25], v24, v[10:11]
	v_lshrrev_b32_e32 v25, 3, v15
	v_dual_sub_nc_u32 v31, 29, v31 :: v_dual_lshlrev_b32 v10, 24, v10
	s_delay_alu instid0(VALU_DEP_1) | instskip(NEXT) | instid1(VALU_DEP_2)
	v_dual_cndmask_b32 v24, v25, v31, s7 :: v_dual_bitop2_b32 v15, 7, v24 bitop3:0x40
	v_and_b32_e32 v10, 0x80000000, v10
	s_delay_alu instid0(VALU_DEP_2) | instskip(NEXT) | instid1(VALU_DEP_3)
	v_cndmask_b32_e64 v14, v14, v15, s7
	v_lshl_add_u32 v15, v24, 23, 0x3c000000
	s_delay_alu instid0(VALU_DEP_2) | instskip(NEXT) | instid1(VALU_DEP_1)
	v_lshlrev_b32_e32 v14, 20, v14
	v_or3_b32 v14, v14, v10, v15
.LBB6_6292:                             ;   in Loop: Header=BB6_5963 Depth=2
	s_or_b32 exec_lo, exec_lo, s11
.LBB6_6293:                             ;   in Loop: Header=BB6_5963 Depth=2
	s_delay_alu instid0(SALU_CYCLE_1) | instskip(NEXT) | instid1(VALU_DEP_1)
	s_or_b32 exec_lo, exec_lo, s10
	v_mul_f32_e32 v10, v11, v14
                                        ; implicit-def: $vgpr48
	s_mov_b32 s10, exec_lo
	s_delay_alu instid0(VALU_DEP_1) | instskip(SKIP_1) | instid1(VALU_DEP_2)
	v_and_b32_e32 v86, 0x7f800000, v10
	v_lshrrev_b32_e32 v11, 24, v10
	v_cmpx_ne_u64_e32 0x7f800000, v[86:87]
	s_xor_b32 s11, exec_lo, s10
	s_cbranch_execz .LBB6_6307
; %bb.6294:                             ;   in Loop: Header=BB6_5963 Depth=2
	v_and_b32_e32 v86, 0x7fffffff, v10
	v_and_b32_e32 v24, 0x80, v11
                                        ; implicit-def: $vgpr48
	s_mov_b32 s10, exec_lo
	s_delay_alu instid0(VALU_DEP_2)
	v_cmpx_gt_u64_e32 0x43e00001, v[86:87]
	s_xor_b32 s29, exec_lo, s10
	s_cbranch_execz .LBB6_6304
; %bb.6295:                             ;   in Loop: Header=BB6_5963 Depth=2
	v_mov_b32_e32 v48, 0
	s_mov_b32 s40, exec_lo
	v_cmpx_ne_u32_e32 0, v10
	s_cbranch_execz .LBB6_6303
; %bb.6296:                             ;   in Loop: Header=BB6_5963 Depth=2
	v_bfe_u32 v25, v10, 23, 8
	v_and_b32_e32 v14, 0x7fffff, v10
	s_delay_alu instid0(VALU_DEP_2) | instskip(SKIP_1) | instid1(VALU_DEP_3)
	v_sub_nc_u32_e32 v11, 0x79, v25
	v_cmp_gt_u32_e64 s7, 0x7a, v25
	v_or_b32_e32 v15, 0x800000, v14
	s_delay_alu instid0(VALU_DEP_2) | instskip(SKIP_1) | instid1(VALU_DEP_1)
	v_cndmask_b32_e64 v11, 0, v11, s7
	v_cmp_eq_u32_e64 s7, 0, v25
	v_cndmask_b32_e64 v86, v15, v14, s7
	s_delay_alu instid0(VALU_DEP_3) | instskip(NEXT) | instid1(VALU_DEP_1)
	v_cndmask_b32_e64 v31, v11, 0x78, s7
	v_dual_add_nc_u32 v10, 20, v31 :: v_dual_add_nc_u32 v48, 19, v31
	s_delay_alu instid0(VALU_DEP_1) | instskip(NEXT) | instid1(VALU_DEP_2)
	v_lshlrev_b64_e64 v[10:11], v10, -1
	v_lshlrev_b64_e64 v[14:15], v48, 1
	s_delay_alu instid0(VALU_DEP_2) | instskip(NEXT) | instid1(VALU_DEP_3)
	v_bfi_b32 v49, v11, 0, 0
	v_bfi_b32 v48, v10, 0, v86
	v_lshrrev_b64 v[10:11], v31, v[86:87]
	s_delay_alu instid0(VALU_DEP_2) | instskip(NEXT) | instid1(VALU_DEP_2)
	v_cmp_eq_u64_e64 s10, v[48:49], v[14:15]
	v_mov_b64_e32 v[14:15], v[10:11]
	s_and_saveexec_b32 s41, s10
; %bb.6297:                             ;   in Loop: Header=BB6_5963 Depth=2
	v_bfe_u32 v86, v10, 20, 1
	s_delay_alu instid0(VALU_DEP_1) | instskip(NEXT) | instid1(VALU_DEP_1)
	v_add_nc_u64_e32 v[14:15], v[10:11], v[86:87]
	v_add_nc_u64_e32 v[14:15], -1, v[14:15]
; %bb.6298:                             ;   in Loop: Header=BB6_5963 Depth=2
	s_or_b32 exec_lo, exec_lo, s41
	v_add_nc_u32_e32 v11, 0xffffff81, v25
	v_lshrrev_b32_e32 v15, 23, v10
	s_mov_b32 s10, exec_lo
	s_delay_alu instid0(VALU_DEP_2) | instskip(NEXT) | instid1(VALU_DEP_1)
	v_cndmask_b32_e64 v11, v11, 0xffffff82, s7
	v_add3_u32 v15, v31, v11, v15
	v_and_b32_e32 v11, 0xfffff, v14
                                        ; implicit-def: $vgpr14
	s_delay_alu instid0(VALU_DEP_1) | instskip(NEXT) | instid1(VALU_DEP_1)
	v_dual_add_nc_u32 v25, 6, v15 :: v_dual_add_nc_u32 v86, v11, v10
                                        ; implicit-def: $vgpr10_vgpr11
	v_cmpx_ne_u32_e32 0, v25
	s_xor_b32 s10, exec_lo, s10
; %bb.6299:                             ;   in Loop: Header=BB6_5963 Depth=2
	s_delay_alu instid0(VALU_DEP_2) | instskip(SKIP_1) | instid1(VALU_DEP_1)
	v_cmp_lt_u64_e64 s7, 0xffffff, v[86:87]
	v_add_nc_u32_e32 v10, 7, v15
	v_cndmask_b32_e64 v14, v25, v10, s7
	v_cndmask_b32_e64 v10, 0, 1, s7
	s_delay_alu instid0(VALU_DEP_1)
	v_lshrrev_b64 v[10:11], v10, v[86:87]
; %bb.6300:                             ;   in Loop: Header=BB6_5963 Depth=2
	s_and_not1_saveexec_b32 s7, s10
; %bb.6301:                             ;   in Loop: Header=BB6_5963 Depth=2
	v_mov_b64_e32 v[10:11], v[86:87]
	v_bfe_u32 v14, v86, 23, 1
; %bb.6302:                             ;   in Loop: Header=BB6_5963 Depth=2
	s_or_b32 exec_lo, exec_lo, s7
	s_delay_alu instid0(VALU_DEP_2) | instskip(NEXT) | instid1(VALU_DEP_2)
	v_lshrrev_b64 v[10:11], 20, v[10:11]
	v_cmp_gt_i32_e64 s7, 16, v14
	v_min_i32_e32 v15, 15, v14
	v_cmp_eq_u32_e64 s10, 0, v14
	s_delay_alu instid0(VALU_DEP_3) | instskip(NEXT) | instid1(VALU_DEP_3)
	v_cndmask_b32_e64 v11, 0, v11, s7
	v_dual_lshlrev_b32 v15, 3, v15 :: v_dual_cndmask_b32 v10, 7, v10, s7
	s_delay_alu instid0(VALU_DEP_1) | instskip(NEXT) | instid1(VALU_DEP_2)
	v_and_b32_e32 v15, 0xf8, v15
	v_cmp_eq_u64_e64 s7, 0, v[10:11]
	s_delay_alu instid0(VALU_DEP_2)
	v_and_or_b32 v10, v10, 7, v15
	s_and_b32 s7, s10, s7
	s_delay_alu instid0(VALU_DEP_1) | instid1(SALU_CYCLE_1)
	v_cndmask_b32_e64 v10, v10, 0, s7
	s_delay_alu instid0(VALU_DEP_1)
	v_or_b32_e32 v48, v10, v24
.LBB6_6303:                             ;   in Loop: Header=BB6_5963 Depth=2
	s_or_b32 exec_lo, exec_lo, s40
                                        ; implicit-def: $vgpr24
.LBB6_6304:                             ;   in Loop: Header=BB6_5963 Depth=2
	s_and_not1_saveexec_b32 s7, s29
; %bb.6305:                             ;   in Loop: Header=BB6_5963 Depth=2
	v_or_b32_e32 v48, 0x7e, v24
; %bb.6306:                             ;   in Loop: Header=BB6_5963 Depth=2
	s_or_b32 exec_lo, exec_lo, s7
                                        ; implicit-def: $vgpr11
.LBB6_6307:                             ;   in Loop: Header=BB6_5963 Depth=2
	s_and_not1_saveexec_b32 s7, s11
; %bb.6308:                             ;   in Loop: Header=BB6_5963 Depth=2
	v_or_b32_e32 v48, 0x7f, v11
; %bb.6309:                             ;   in Loop: Header=BB6_5963 Depth=2
	s_or_b32 exec_lo, exec_lo, s7
	v_mov_b32_e32 v11, 0
	s_mov_b32 s10, exec_lo
	v_cmpx_lt_u32_e32 0xffffff, v16
	s_cbranch_execz .LBB6_6317
; %bb.6310:                             ;   in Loop: Header=BB6_5963 Depth=2
	v_lshrrev_b32_e32 v10, 24, v16
	v_bfrev_b32_e32 v11, 1
	s_mov_b32 s11, exec_lo
	s_delay_alu instid0(VALU_DEP_2)
	v_cmpx_ne_u32_e32 0x80, v10
	s_cbranch_execz .LBB6_6316
; %bb.6311:                             ;   in Loop: Header=BB6_5963 Depth=2
	v_bfe_u32 v14, v16, 24, 7
	v_mov_b32_e32 v11, 0x7f800001
	s_mov_b32 s29, exec_lo
	s_delay_alu instid0(VALU_DEP_2)
	v_cmpx_ne_u32_e32 0x7f, v14
	s_cbranch_execz .LBB6_6315
; %bb.6312:                             ;   in Loop: Header=BB6_5963 Depth=2
	v_and_b32_e32 v86, 7, v10
	v_lshrrev_b32_e32 v11, 3, v14
	s_mov_b32 s40, exec_lo
	v_cmpx_gt_u32_e32 8, v14
; %bb.6313:                             ;   in Loop: Header=BB6_5963 Depth=2
	s_delay_alu instid0(VALU_DEP_3) | instskip(NEXT) | instid1(VALU_DEP_1)
	v_clz_i32_u32_e32 v11, v86
	v_min_u32_e32 v11, 32, v11
	s_delay_alu instid0(VALU_DEP_1) | instskip(NEXT) | instid1(VALU_DEP_1)
	v_subrev_nc_u32_e32 v14, 28, v11
	v_lshlrev_b64_e32 v[14:15], v14, v[86:87]
	s_delay_alu instid0(VALU_DEP_1)
	v_dual_sub_nc_u32 v11, 29, v11 :: v_dual_bitop2_b32 v86, 7, v14 bitop3:0x40
; %bb.6314:                             ;   in Loop: Header=BB6_5963 Depth=2
	s_or_b32 exec_lo, exec_lo, s40
	v_lshlrev_b32_e32 v10, 24, v10
	s_delay_alu instid0(VALU_DEP_2) | instskip(NEXT) | instid1(VALU_DEP_3)
	v_lshlrev_b32_e32 v14, 20, v86
	v_lshl_add_u32 v11, v11, 23, 0x3c000000
	s_delay_alu instid0(VALU_DEP_3) | instskip(NEXT) | instid1(VALU_DEP_1)
	v_and_b32_e32 v10, 0x80000000, v10
	v_or3_b32 v11, v14, v10, v11
.LBB6_6315:                             ;   in Loop: Header=BB6_5963 Depth=2
	s_or_b32 exec_lo, exec_lo, s29
.LBB6_6316:                             ;   in Loop: Header=BB6_5963 Depth=2
	s_delay_alu instid0(SALU_CYCLE_1)
	s_or_b32 exec_lo, exec_lo, s11
.LBB6_6317:                             ;   in Loop: Header=BB6_5963 Depth=2
	s_delay_alu instid0(SALU_CYCLE_1) | instskip(SKIP_3) | instid1(VALU_DEP_3)
	s_or_b32 exec_lo, exec_lo, s10
	v_lshrrev_b32_e32 v10, 24, v12
	v_bfe_u32 v14, v12, 24, 7
	v_cmp_gt_u32_e64 s11, 0x1000000, v12
	v_cmp_eq_u32_e64 s7, 0x80, v10
	s_delay_alu instid0(VALU_DEP_3) | instskip(NEXT) | instid1(VALU_DEP_2)
	v_cmp_eq_u32_e64 s10, 0x7f, v14
	v_cndmask_b32_e64 v15, 0x7f800001, v63, s7
	s_or_b32 s7, s7, s10
	s_delay_alu instid0(SALU_CYCLE_1) | instskip(NEXT) | instid1(VALU_DEP_1)
	s_nor_b32 s7, s11, s7
	v_cndmask_b32_e64 v15, v15, 0, s11
	s_and_saveexec_b32 s10, s7
	s_cbranch_execz .LBB6_6319
; %bb.6318:                             ;   in Loop: Header=BB6_5963 Depth=2
	v_and_b32_e32 v15, 7, v10
	v_cmp_gt_u32_e64 s7, 8, v14
	s_delay_alu instid0(VALU_DEP_2) | instskip(NEXT) | instid1(VALU_DEP_1)
	v_clz_i32_u32_e32 v24, v15
	v_min_u32_e32 v31, 32, v24
	s_delay_alu instid0(VALU_DEP_1) | instskip(SKIP_1) | instid1(VALU_DEP_2)
	v_subrev_nc_u32_e32 v24, 28, v31
	v_sub_nc_u32_e32 v31, 29, v31
	v_lshlrev_b64_e32 v[24:25], v24, v[10:11]
	v_lshrrev_b32_e32 v25, 3, v14
	s_delay_alu instid0(VALU_DEP_2) | instskip(NEXT) | instid1(VALU_DEP_2)
	v_dual_lshlrev_b32 v10, 24, v10 :: v_dual_bitop2_b32 v14, 7, v24 bitop3:0x40
	v_cndmask_b32_e64 v24, v25, v31, s7
	s_delay_alu instid0(VALU_DEP_2) | instskip(NEXT) | instid1(VALU_DEP_3)
	v_and_b32_e32 v10, 0x80000000, v10
	v_cndmask_b32_e64 v14, v15, v14, s7
	s_delay_alu instid0(VALU_DEP_3) | instskip(NEXT) | instid1(VALU_DEP_2)
	v_lshl_add_u32 v15, v24, 23, 0x3c000000
	v_lshlrev_b32_e32 v14, 20, v14
	s_delay_alu instid0(VALU_DEP_1)
	v_or3_b32 v15, v14, v10, v15
.LBB6_6319:                             ;   in Loop: Header=BB6_5963 Depth=2
	s_or_b32 exec_lo, exec_lo, s10
	s_delay_alu instid0(VALU_DEP_1) | instskip(SKIP_1) | instid1(VALU_DEP_1)
	v_mul_f32_e32 v10, v11, v15
                                        ; implicit-def: $vgpr49
	s_mov_b32 s10, exec_lo
	v_and_b32_e32 v86, 0x7f800000, v10
	v_lshrrev_b32_e32 v11, 24, v10
	s_delay_alu instid0(VALU_DEP_2)
	v_cmpx_ne_u64_e32 0x7f800000, v[86:87]
	s_xor_b32 s11, exec_lo, s10
	s_cbranch_execz .LBB6_6333
; %bb.6320:                             ;   in Loop: Header=BB6_5963 Depth=2
	v_and_b32_e32 v86, 0x7fffffff, v10
	v_and_b32_e32 v24, 0x80, v11
                                        ; implicit-def: $vgpr49
	s_mov_b32 s10, exec_lo
	s_delay_alu instid0(VALU_DEP_2)
	v_cmpx_gt_u64_e32 0x43e00001, v[86:87]
	s_xor_b32 s29, exec_lo, s10
	s_cbranch_execz .LBB6_6330
; %bb.6321:                             ;   in Loop: Header=BB6_5963 Depth=2
	v_mov_b32_e32 v49, 0
	s_mov_b32 s40, exec_lo
	v_cmpx_ne_u32_e32 0, v10
	s_cbranch_execz .LBB6_6329
; %bb.6322:                             ;   in Loop: Header=BB6_5963 Depth=2
	v_bfe_u32 v25, v10, 23, 8
	v_and_b32_e32 v14, 0x7fffff, v10
	s_delay_alu instid0(VALU_DEP_2) | instskip(SKIP_1) | instid1(VALU_DEP_3)
	v_sub_nc_u32_e32 v11, 0x79, v25
	v_cmp_gt_u32_e64 s7, 0x7a, v25
	v_or_b32_e32 v15, 0x800000, v14
	s_delay_alu instid0(VALU_DEP_2) | instskip(SKIP_1) | instid1(VALU_DEP_1)
	v_cndmask_b32_e64 v11, 0, v11, s7
	v_cmp_eq_u32_e64 s7, 0, v25
	v_cndmask_b32_e64 v86, v15, v14, s7
	s_delay_alu instid0(VALU_DEP_3) | instskip(NEXT) | instid1(VALU_DEP_1)
	v_cndmask_b32_e64 v31, v11, 0x78, s7
	v_dual_add_nc_u32 v10, 20, v31 :: v_dual_add_nc_u32 v49, 19, v31
	s_delay_alu instid0(VALU_DEP_1) | instskip(NEXT) | instid1(VALU_DEP_2)
	v_lshlrev_b64_e64 v[10:11], v10, -1
	v_lshlrev_b64_e64 v[14:15], v49, 1
	s_delay_alu instid0(VALU_DEP_2) | instskip(NEXT) | instid1(VALU_DEP_3)
	v_bfi_b32 v51, v11, 0, 0
	v_bfi_b32 v50, v10, 0, v86
	v_lshrrev_b64 v[10:11], v31, v[86:87]
	s_delay_alu instid0(VALU_DEP_2) | instskip(NEXT) | instid1(VALU_DEP_2)
	v_cmp_eq_u64_e64 s10, v[50:51], v[14:15]
	v_mov_b64_e32 v[14:15], v[10:11]
	s_and_saveexec_b32 s41, s10
; %bb.6323:                             ;   in Loop: Header=BB6_5963 Depth=2
	v_bfe_u32 v86, v10, 20, 1
	s_delay_alu instid0(VALU_DEP_1) | instskip(NEXT) | instid1(VALU_DEP_1)
	v_add_nc_u64_e32 v[14:15], v[10:11], v[86:87]
	v_add_nc_u64_e32 v[14:15], -1, v[14:15]
; %bb.6324:                             ;   in Loop: Header=BB6_5963 Depth=2
	s_or_b32 exec_lo, exec_lo, s41
	v_add_nc_u32_e32 v11, 0xffffff81, v25
	v_lshrrev_b32_e32 v15, 23, v10
	s_mov_b32 s10, exec_lo
	s_delay_alu instid0(VALU_DEP_2) | instskip(NEXT) | instid1(VALU_DEP_1)
	v_cndmask_b32_e64 v11, v11, 0xffffff82, s7
	v_add3_u32 v15, v31, v11, v15
	v_and_b32_e32 v11, 0xfffff, v14
                                        ; implicit-def: $vgpr14
	s_delay_alu instid0(VALU_DEP_1) | instskip(NEXT) | instid1(VALU_DEP_1)
	v_dual_add_nc_u32 v25, 6, v15 :: v_dual_add_nc_u32 v86, v11, v10
                                        ; implicit-def: $vgpr10_vgpr11
	v_cmpx_ne_u32_e32 0, v25
	s_xor_b32 s10, exec_lo, s10
; %bb.6325:                             ;   in Loop: Header=BB6_5963 Depth=2
	s_delay_alu instid0(VALU_DEP_2) | instskip(SKIP_1) | instid1(VALU_DEP_1)
	v_cmp_lt_u64_e64 s7, 0xffffff, v[86:87]
	v_add_nc_u32_e32 v10, 7, v15
	v_cndmask_b32_e64 v14, v25, v10, s7
	v_cndmask_b32_e64 v10, 0, 1, s7
	s_delay_alu instid0(VALU_DEP_1)
	v_lshrrev_b64 v[10:11], v10, v[86:87]
; %bb.6326:                             ;   in Loop: Header=BB6_5963 Depth=2
	s_and_not1_saveexec_b32 s7, s10
; %bb.6327:                             ;   in Loop: Header=BB6_5963 Depth=2
	v_mov_b64_e32 v[10:11], v[86:87]
	v_bfe_u32 v14, v86, 23, 1
; %bb.6328:                             ;   in Loop: Header=BB6_5963 Depth=2
	s_or_b32 exec_lo, exec_lo, s7
	s_delay_alu instid0(VALU_DEP_2) | instskip(NEXT) | instid1(VALU_DEP_2)
	v_lshrrev_b64 v[10:11], 20, v[10:11]
	v_cmp_gt_i32_e64 s7, 16, v14
	v_min_i32_e32 v15, 15, v14
	v_cmp_eq_u32_e64 s10, 0, v14
	s_delay_alu instid0(VALU_DEP_3) | instskip(NEXT) | instid1(VALU_DEP_3)
	v_cndmask_b32_e64 v11, 0, v11, s7
	v_dual_lshlrev_b32 v15, 3, v15 :: v_dual_cndmask_b32 v10, 7, v10, s7
	s_delay_alu instid0(VALU_DEP_1) | instskip(NEXT) | instid1(VALU_DEP_2)
	v_and_b32_e32 v15, 0xf8, v15
	v_cmp_eq_u64_e64 s7, 0, v[10:11]
	s_delay_alu instid0(VALU_DEP_2)
	v_and_or_b32 v10, v10, 7, v15
	s_and_b32 s7, s10, s7
	s_delay_alu instid0(VALU_DEP_1) | instid1(SALU_CYCLE_1)
	v_cndmask_b32_e64 v10, v10, 0, s7
	s_delay_alu instid0(VALU_DEP_1)
	v_or_b32_e32 v49, v10, v24
.LBB6_6329:                             ;   in Loop: Header=BB6_5963 Depth=2
	s_or_b32 exec_lo, exec_lo, s40
                                        ; implicit-def: $vgpr24
.LBB6_6330:                             ;   in Loop: Header=BB6_5963 Depth=2
	s_and_not1_saveexec_b32 s7, s29
; %bb.6331:                             ;   in Loop: Header=BB6_5963 Depth=2
	v_or_b32_e32 v49, 0x7e, v24
; %bb.6332:                             ;   in Loop: Header=BB6_5963 Depth=2
	s_or_b32 exec_lo, exec_lo, s7
                                        ; implicit-def: $vgpr11
.LBB6_6333:                             ;   in Loop: Header=BB6_5963 Depth=2
	s_and_not1_saveexec_b32 s7, s11
; %bb.6334:                             ;   in Loop: Header=BB6_5963 Depth=2
	v_or_b32_e32 v49, 0x7f, v11
; %bb.6335:                             ;   in Loop: Header=BB6_5963 Depth=2
	s_or_b32 exec_lo, exec_lo, s7
	v_and_b32_e32 v10, 0xff, v17
	v_dual_mov_b32 v86, v17 :: v_dual_mov_b32 v14, 0
	s_mov_b32 s10, exec_lo
	s_delay_alu instid0(VALU_DEP_2)
	v_cmpx_ne_u16_e32 0, v10
	s_cbranch_execz .LBB6_6341
; %bb.6336:                             ;   in Loop: Header=BB6_5963 Depth=2
	v_bfrev_b32_e32 v14, 1
	s_mov_b32 s11, exec_lo
	v_cmpx_ne_u16_e32 0x80, v10
	s_cbranch_execz .LBB6_6340
; %bb.6337:                             ;   in Loop: Header=BB6_5963 Depth=2
	v_and_b32_e32 v10, 0x7f, v17
	v_mov_b32_e32 v14, 0x7f800001
	s_mov_b32 s29, exec_lo
	s_delay_alu instid0(VALU_DEP_2)
	v_cmpx_ne_u32_e32 0x7f, v10
	s_cbranch_execz .LBB6_6339
; %bb.6338:                             ;   in Loop: Header=BB6_5963 Depth=2
	v_dual_lshrrev_b32 v14, 3, v10 :: v_dual_bitop2_b32 v11, 7, v17 bitop3:0x40
	v_cmp_gt_u32_e64 s7, 8, v10
	s_delay_alu instid0(VALU_DEP_2) | instskip(NEXT) | instid1(VALU_DEP_1)
	v_clz_i32_u32_e32 v11, v11
	v_min_u32_e32 v11, 32, v11
	s_delay_alu instid0(VALU_DEP_1) | instskip(SKIP_1) | instid1(VALU_DEP_2)
	v_subrev_nc_u32_e32 v15, 28, v11
	v_sub_nc_u32_e32 v11, 29, v11
	v_cndmask_b32_e64 v10, 0, v15, s7
	s_delay_alu instid0(VALU_DEP_2) | instskip(NEXT) | instid1(VALU_DEP_2)
	v_cndmask_b32_e64 v14, v14, v11, s7
	v_lshlrev_b64_e32 v[10:11], v10, v[86:87]
	v_lshlrev_b32_e32 v11, 24, v86
	s_delay_alu instid0(VALU_DEP_3) | instskip(NEXT) | instid1(VALU_DEP_2)
	v_lshl_add_u32 v14, v14, 23, 0x3c000000
	v_and_b32_e32 v11, 0x80000000, v11
	s_delay_alu instid0(VALU_DEP_4) | instskip(NEXT) | instid1(VALU_DEP_1)
	v_lshlrev_b32_e32 v10, 20, v10
	v_and_b32_e32 v10, 0x700000, v10
	s_delay_alu instid0(VALU_DEP_1)
	v_or3_b32 v14, v10, v11, v14
.LBB6_6339:                             ;   in Loop: Header=BB6_5963 Depth=2
	s_or_b32 exec_lo, exec_lo, s29
.LBB6_6340:                             ;   in Loop: Header=BB6_5963 Depth=2
	s_delay_alu instid0(SALU_CYCLE_1)
	s_or_b32 exec_lo, exec_lo, s11
.LBB6_6341:                             ;   in Loop: Header=BB6_5963 Depth=2
	s_delay_alu instid0(SALU_CYCLE_1) | instskip(SKIP_4) | instid1(VALU_DEP_2)
	s_or_b32 exec_lo, exec_lo, s10
	v_and_b32_e32 v11, 0xff, v13
	v_mov_b32_e32 v10, v13
	s_mov_b32 s10, 0
	s_mov_b32 s11, exec_lo
	v_cmpx_lt_i16_e32 0x7f, v11
	s_xor_b32 s11, exec_lo, s11
	s_cbranch_execz .LBB6_6376
; %bb.6342:                             ;   in Loop: Header=BB6_5963 Depth=2
	s_mov_b32 s10, -1
	s_mov_b32 s29, exec_lo
	v_cmpx_eq_u16_e32 0x80, v11
; %bb.6343:                             ;   in Loop: Header=BB6_5963 Depth=2
	s_xor_b32 s10, exec_lo, -1
; %bb.6344:                             ;   in Loop: Header=BB6_5963 Depth=2
	s_or_b32 exec_lo, exec_lo, s29
	s_delay_alu instid0(SALU_CYCLE_1)
	s_and_b32 s10, s10, exec_lo
                                        ; implicit-def: $vgpr11
	s_or_saveexec_b32 s11, s11
	v_bfrev_b32_e32 v15, 1
	s_xor_b32 exec_lo, exec_lo, s11
	s_cbranch_execnz .LBB6_6377
.LBB6_6345:                             ;   in Loop: Header=BB6_5963 Depth=2
	s_or_b32 exec_lo, exec_lo, s11
	v_mov_b32_e32 v11, v87
	s_and_saveexec_b32 s11, s10
	s_cbranch_execz .LBB6_6347
.LBB6_6346:                             ;   in Loop: Header=BB6_5963 Depth=2
	v_and_b32_e32 v15, 7, v13
	v_and_b32_e32 v31, 0x7f, v13
	v_bfe_u32 v24, v13, 3, 4
	s_delay_alu instid0(VALU_DEP_3) | instskip(NEXT) | instid1(VALU_DEP_3)
	v_clz_i32_u32_e32 v15, v15
	v_cmp_gt_u32_e64 s7, 8, v31
	s_delay_alu instid0(VALU_DEP_2) | instskip(NEXT) | instid1(VALU_DEP_1)
	v_min_u32_e32 v15, 32, v15
	v_subrev_nc_u32_e32 v25, 28, v15
	v_sub_nc_u32_e32 v15, 29, v15
	s_delay_alu instid0(VALU_DEP_1) | instskip(SKIP_1) | instid1(VALU_DEP_2)
	v_dual_cndmask_b32 v15, v24, v15, s7 :: v_dual_cndmask_b32 v24, 0, v25, s7
	v_cmp_ne_u32_e64 s7, 0x7f, v31
	v_lshlrev_b64_e32 v[24:25], v24, v[10:11]
	v_lshlrev_b32_e32 v11, 24, v10
	s_delay_alu instid0(VALU_DEP_1) | instskip(NEXT) | instid1(VALU_DEP_3)
	v_and_b32_e32 v11, 0x80000000, v11
	v_lshlrev_b32_e32 v24, 20, v24
	v_lshl_add_u32 v15, v15, 23, 0x3c000000
	s_delay_alu instid0(VALU_DEP_2) | instskip(NEXT) | instid1(VALU_DEP_1)
	v_and_b32_e32 v24, 0x700000, v24
	v_or3_b32 v11, v24, v11, v15
	s_delay_alu instid0(VALU_DEP_1)
	v_cndmask_b32_e64 v15, 0x7f800001, v11, s7
.LBB6_6347:                             ;   in Loop: Header=BB6_5963 Depth=2
	s_or_b32 exec_lo, exec_lo, s11
	s_delay_alu instid0(VALU_DEP_1) | instskip(NEXT) | instid1(VALU_DEP_1)
	v_dual_mul_f32 v14, v14, v15 :: v_dual_mov_b32 v25, v87
	v_and_b32_e32 v24, 0x7f800000, v14
	v_lshrrev_b32_e32 v11, 24, v14
	s_delay_alu instid0(VALU_DEP_2) | instskip(SKIP_1) | instid1(SALU_CYCLE_1)
	v_cmp_ne_u64_e64 s7, 0x7f800000, v[24:25]
                                        ; implicit-def: $vgpr24
	s_and_saveexec_b32 s10, s7
	s_xor_b32 s11, exec_lo, s10
	s_cbranch_execz .LBB6_6361
; %bb.6348:                             ;   in Loop: Header=BB6_5963 Depth=2
	v_and_b32_e32 v24, 0x7fffffff, v14
	v_mov_b32_e32 v25, v87
	v_and_b32_e32 v11, 0x80, v11
	s_delay_alu instid0(VALU_DEP_2) | instskip(SKIP_1) | instid1(SALU_CYCLE_1)
	v_cmp_gt_u64_e64 s7, 0x43e00001, v[24:25]
                                        ; implicit-def: $vgpr24
	s_and_saveexec_b32 s10, s7
	s_xor_b32 s29, exec_lo, s10
	s_cbranch_execz .LBB6_6358
; %bb.6349:                             ;   in Loop: Header=BB6_5963 Depth=2
	v_mov_b32_e32 v24, 0
	s_mov_b32 s40, exec_lo
	v_cmpx_ne_u32_e32 0, v14
	s_cbranch_execz .LBB6_6357
; %bb.6350:                             ;   in Loop: Header=BB6_5963 Depth=2
	v_bfe_u32 v31, v14, 23, 8
	v_and_b32_e32 v24, 0x7fffff, v14
	s_mov_b32 s41, exec_lo
	s_delay_alu instid0(VALU_DEP_2) | instskip(SKIP_1) | instid1(VALU_DEP_3)
	v_sub_nc_u32_e32 v15, 0x79, v31
	v_cmp_gt_u32_e64 s7, 0x7a, v31
	v_or_b32_e32 v25, 0x800000, v24
	s_delay_alu instid0(VALU_DEP_2) | instskip(SKIP_1) | instid1(VALU_DEP_1)
	v_cndmask_b32_e64 v15, 0, v15, s7
	v_cmp_eq_u32_e64 s7, 0, v31
	v_cndmask_b32_e64 v50, v15, 0x78, s7
	s_delay_alu instid0(VALU_DEP_4) | instskip(NEXT) | instid1(VALU_DEP_2)
	v_dual_cndmask_b32 v24, v25, v24, s7 :: v_dual_mov_b32 v25, v87
	v_dual_add_nc_u32 v14, 20, v50 :: v_dual_add_nc_u32 v51, 19, v50
	s_delay_alu instid0(VALU_DEP_1) | instskip(NEXT) | instid1(VALU_DEP_2)
	v_lshlrev_b64_e64 v[14:15], v14, -1
	v_lshlrev_b64_e64 v[54:55], v51, 1
	s_delay_alu instid0(VALU_DEP_2) | instskip(NEXT) | instid1(VALU_DEP_3)
	v_bfi_b32 v103, v15, 0, 0
	v_bfi_b32 v102, v14, 0, v24
	v_lshrrev_b64 v[14:15], v50, v[24:25]
	s_delay_alu instid0(VALU_DEP_1) | instskip(NEXT) | instid1(VALU_DEP_3)
	v_mov_b64_e32 v[24:25], v[14:15]
	v_cmpx_eq_u64_e64 v[102:103], v[54:55]
; %bb.6351:                             ;   in Loop: Header=BB6_5963 Depth=2
	v_bfe_u32 v24, v14, 20, 1
	v_mov_b32_e32 v25, v87
	s_delay_alu instid0(VALU_DEP_1) | instskip(NEXT) | instid1(VALU_DEP_1)
	v_add_nc_u64_e32 v[24:25], v[14:15], v[24:25]
	v_add_nc_u64_e32 v[24:25], -1, v[24:25]
; %bb.6352:                             ;   in Loop: Header=BB6_5963 Depth=2
	s_or_b32 exec_lo, exec_lo, s41
	v_add_nc_u32_e32 v15, 0xffffff81, v31
	v_lshrrev_b32_e32 v25, 23, v14
	s_mov_b32 s10, exec_lo
	s_delay_alu instid0(VALU_DEP_2) | instskip(NEXT) | instid1(VALU_DEP_1)
	v_cndmask_b32_e64 v15, v15, 0xffffff82, s7
	v_add3_u32 v25, v50, v15, v25
	v_and_b32_e32 v15, 0xfffff, v24
                                        ; implicit-def: $vgpr24
	s_delay_alu instid0(VALU_DEP_1) | instskip(SKIP_1) | instid1(VALU_DEP_2)
	v_dual_add_nc_u32 v31, 6, v25 :: v_dual_add_nc_u32 v14, v15, v14
	v_mov_b32_e32 v15, v87
	v_cmpx_ne_u32_e32 0, v31
	s_xor_b32 s10, exec_lo, s10
; %bb.6353:                             ;   in Loop: Header=BB6_5963 Depth=2
	s_delay_alu instid0(VALU_DEP_2) | instskip(SKIP_1) | instid1(VALU_DEP_2)
	v_cmp_lt_u64_e64 s7, 0xffffff, v[14:15]
	v_add_nc_u32_e32 v24, 7, v25
	v_cndmask_b32_e64 v25, 0, 1, s7
	s_delay_alu instid0(VALU_DEP_2) | instskip(NEXT) | instid1(VALU_DEP_2)
	v_cndmask_b32_e64 v24, v31, v24, s7
	v_lshrrev_b64 v[14:15], v25, v[14:15]
; %bb.6354:                             ;   in Loop: Header=BB6_5963 Depth=2
	s_and_not1_saveexec_b32 s7, s10
; %bb.6355:                             ;   in Loop: Header=BB6_5963 Depth=2
	s_delay_alu instid0(VALU_DEP_1)
	v_bfe_u32 v24, v14, 23, 1
; %bb.6356:                             ;   in Loop: Header=BB6_5963 Depth=2
	s_or_b32 exec_lo, exec_lo, s7
	s_delay_alu instid0(VALU_DEP_2) | instskip(NEXT) | instid1(VALU_DEP_2)
	v_lshrrev_b64 v[14:15], 20, v[14:15]
	v_cmp_gt_i32_e64 s7, 16, v24
	v_min_i32_e32 v25, 15, v24
	v_cmp_eq_u32_e64 s10, 0, v24
	s_delay_alu instid0(VALU_DEP_2) | instskip(SKIP_1) | instid1(VALU_DEP_2)
	v_dual_cndmask_b32 v15, 0, v15, s7 :: v_dual_lshlrev_b32 v25, 3, v25
	v_cndmask_b32_e64 v14, 7, v14, s7
	v_and_b32_e32 v25, 0xf8, v25
	s_delay_alu instid0(VALU_DEP_2) | instskip(NEXT) | instid1(VALU_DEP_2)
	v_cmp_eq_u64_e64 s7, 0, v[14:15]
	v_and_or_b32 v14, v14, 7, v25
	s_and_b32 s7, s10, s7
	s_delay_alu instid0(VALU_DEP_1) | instid1(SALU_CYCLE_1)
	v_cndmask_b32_e64 v14, v14, 0, s7
	s_delay_alu instid0(VALU_DEP_1)
	v_or_b32_e32 v24, v14, v11
.LBB6_6357:                             ;   in Loop: Header=BB6_5963 Depth=2
	s_or_b32 exec_lo, exec_lo, s40
                                        ; implicit-def: $vgpr11
.LBB6_6358:                             ;   in Loop: Header=BB6_5963 Depth=2
	s_and_not1_saveexec_b32 s7, s29
; %bb.6359:                             ;   in Loop: Header=BB6_5963 Depth=2
	v_or_b32_e32 v24, 0x7e, v11
; %bb.6360:                             ;   in Loop: Header=BB6_5963 Depth=2
	s_or_b32 exec_lo, exec_lo, s7
                                        ; implicit-def: $vgpr11
.LBB6_6361:                             ;   in Loop: Header=BB6_5963 Depth=2
	s_and_not1_saveexec_b32 s7, s11
; %bb.6362:                             ;   in Loop: Header=BB6_5963 Depth=2
	v_or_b32_e32 v24, 0x7f, v11
; %bb.6363:                             ;   in Loop: Header=BB6_5963 Depth=2
	s_or_b32 exec_lo, exec_lo, s7
	v_lshrrev_b16 v14, 8, v86
	v_mov_b32_e32 v11, 0
	s_mov_b32 s10, exec_lo
	s_delay_alu instid0(VALU_DEP_2)
	v_cmpx_ne_u16_e32 0, v14
	s_cbranch_execz .LBB6_6371
; %bb.6364:                             ;   in Loop: Header=BB6_5963 Depth=2
	v_bfrev_b32_e32 v11, 1
	s_mov_b32 s11, exec_lo
	v_cmpx_ne_u16_e32 0x80, v14
	s_cbranch_execz .LBB6_6370
; %bb.6365:                             ;   in Loop: Header=BB6_5963 Depth=2
	v_and_b32_e32 v14, 0xffff, v14
	v_mov_b32_e32 v11, 0x7f800001
	s_mov_b32 s29, exec_lo
	s_delay_alu instid0(VALU_DEP_2) | instskip(NEXT) | instid1(VALU_DEP_1)
	v_and_b32_e32 v25, 0x7f, v14
	v_cmpx_ne_u32_e32 0x7f, v25
	s_cbranch_execz .LBB6_6369
; %bb.6366:                             ;   in Loop: Header=BB6_5963 Depth=2
	v_dual_mov_b32 v15, v87 :: v_dual_bitop2_b32 v14, 7, v14 bitop3:0x40
	v_lshrrev_b32_e32 v11, 3, v25
	s_mov_b32 s40, exec_lo
	v_cmpx_gt_u32_e32 8, v25
; %bb.6367:                             ;   in Loop: Header=BB6_5963 Depth=2
	s_delay_alu instid0(VALU_DEP_3) | instskip(NEXT) | instid1(VALU_DEP_1)
	v_clz_i32_u32_e32 v11, v14
	v_min_u32_e32 v11, 32, v11
	s_delay_alu instid0(VALU_DEP_1) | instskip(NEXT) | instid1(VALU_DEP_1)
	v_subrev_nc_u32_e32 v25, 28, v11
	v_lshlrev_b64_e32 v[14:15], v25, v[14:15]
	s_delay_alu instid0(VALU_DEP_1)
	v_dual_sub_nc_u32 v11, 29, v11 :: v_dual_bitop2_b32 v14, 7, v14 bitop3:0x40
; %bb.6368:                             ;   in Loop: Header=BB6_5963 Depth=2
	s_or_b32 exec_lo, exec_lo, s40
	v_lshlrev_b32_e32 v15, 16, v86
	s_delay_alu instid0(VALU_DEP_2) | instskip(NEXT) | instid1(VALU_DEP_3)
	v_lshlrev_b32_e32 v14, 20, v14
	v_lshl_add_u32 v11, v11, 23, 0x3c000000
	s_delay_alu instid0(VALU_DEP_3) | instskip(NEXT) | instid1(VALU_DEP_1)
	v_and_b32_e32 v15, 0x80000000, v15
	v_or3_b32 v11, v14, v15, v11
.LBB6_6369:                             ;   in Loop: Header=BB6_5963 Depth=2
	s_or_b32 exec_lo, exec_lo, s29
.LBB6_6370:                             ;   in Loop: Header=BB6_5963 Depth=2
	s_delay_alu instid0(SALU_CYCLE_1)
	s_or_b32 exec_lo, exec_lo, s11
.LBB6_6371:                             ;   in Loop: Header=BB6_5963 Depth=2
	s_delay_alu instid0(SALU_CYCLE_1) | instskip(SKIP_3) | instid1(VALU_DEP_1)
	s_or_b32 exec_lo, exec_lo, s10
	v_lshrrev_b16 v14, 8, v10
	s_mov_b32 s11, 0
	s_mov_b32 s10, exec_lo
	v_cmpx_lt_i16_e32 0x7f, v14
	s_xor_b32 s10, exec_lo, s10
	s_cbranch_execz .LBB6_6378
; %bb.6372:                             ;   in Loop: Header=BB6_5963 Depth=2
	s_mov_b32 s11, -1
	s_mov_b32 s29, exec_lo
	v_cmpx_eq_u16_e32 0x80, v14
; %bb.6373:                             ;   in Loop: Header=BB6_5963 Depth=2
	s_xor_b32 s11, exec_lo, -1
; %bb.6374:                             ;   in Loop: Header=BB6_5963 Depth=2
	s_or_b32 exec_lo, exec_lo, s29
	s_delay_alu instid0(SALU_CYCLE_1)
	s_and_b32 s11, s11, exec_lo
	s_or_saveexec_b32 s10, s10
	v_bfrev_b32_e32 v15, 1
	s_xor_b32 exec_lo, exec_lo, s10
	s_cbranch_execnz .LBB6_6379
.LBB6_6375:                             ;   in Loop: Header=BB6_5963 Depth=2
	s_or_b32 exec_lo, exec_lo, s10
	s_and_saveexec_b32 s10, s11
	s_cbranch_execnz .LBB6_6380
	s_branch .LBB6_6383
.LBB6_6376:                             ;   in Loop: Header=BB6_5963 Depth=2
	s_or_saveexec_b32 s11, s11
	v_bfrev_b32_e32 v15, 1
	s_xor_b32 exec_lo, exec_lo, s11
	s_cbranch_execz .LBB6_6345
.LBB6_6377:                             ;   in Loop: Header=BB6_5963 Depth=2
	v_cmp_ne_u16_e64 s7, 0, v11
	v_mov_b32_e32 v15, 0
	s_and_not1_b32 s10, s10, exec_lo
	s_and_b32 s7, s7, exec_lo
	s_delay_alu instid0(SALU_CYCLE_1)
	s_or_b32 s10, s10, s7
	s_or_b32 exec_lo, exec_lo, s11
	v_mov_b32_e32 v11, v87
	s_and_saveexec_b32 s11, s10
	s_cbranch_execnz .LBB6_6346
	s_branch .LBB6_6347
.LBB6_6378:                             ;   in Loop: Header=BB6_5963 Depth=2
	s_or_saveexec_b32 s10, s10
	v_bfrev_b32_e32 v15, 1
	s_xor_b32 exec_lo, exec_lo, s10
	s_cbranch_execz .LBB6_6375
.LBB6_6379:                             ;   in Loop: Header=BB6_5963 Depth=2
	v_cmp_ne_u16_e64 s7, 0, v14
	v_mov_b32_e32 v15, 0
	s_and_not1_b32 s11, s11, exec_lo
	s_and_b32 s7, s7, exec_lo
	s_delay_alu instid0(SALU_CYCLE_1)
	s_or_b32 s11, s11, s7
	s_or_b32 exec_lo, exec_lo, s10
	s_and_saveexec_b32 s10, s11
	s_cbranch_execz .LBB6_6383
.LBB6_6380:                             ;   in Loop: Header=BB6_5963 Depth=2
	v_and_b32_e32 v10, 0xffff, v14
	v_mov_b32_e32 v15, 0x7f800001
	s_mov_b32 s11, exec_lo
	s_delay_alu instid0(VALU_DEP_2) | instskip(NEXT) | instid1(VALU_DEP_1)
	v_and_b32_e32 v25, 0x7f, v10
	v_cmpx_ne_u32_e32 0x7f, v25
	s_cbranch_execz .LBB6_6382
; %bb.6381:                             ;   in Loop: Header=BB6_5963 Depth=2
	v_and_b32_e32 v15, 7, v10
	v_cmp_gt_u32_e64 s7, 8, v25
	s_delay_alu instid0(VALU_DEP_2) | instskip(NEXT) | instid1(VALU_DEP_1)
	v_clz_i32_u32_e32 v31, v15
	v_min_u32_e32 v31, 32, v31
	s_delay_alu instid0(VALU_DEP_1) | instskip(NEXT) | instid1(VALU_DEP_1)
	v_subrev_nc_u32_e32 v50, 28, v31
	v_lshlrev_b64_e32 v[50:51], v50, v[10:11]
	v_dual_lshrrev_b32 v10, 3, v25 :: v_dual_sub_nc_u32 v31, 29, v31
	s_delay_alu instid0(VALU_DEP_2) | instskip(NEXT) | instid1(VALU_DEP_2)
	v_and_b32_e32 v25, 7, v50
	v_dual_lshlrev_b32 v14, 24, v14 :: v_dual_cndmask_b32 v10, v10, v31, s7
	s_delay_alu instid0(VALU_DEP_2) | instskip(NEXT) | instid1(VALU_DEP_2)
	v_cndmask_b32_e64 v15, v15, v25, s7
	v_and_b32_e32 v14, 0x80000000, v14
	s_delay_alu instid0(VALU_DEP_3) | instskip(NEXT) | instid1(VALU_DEP_3)
	v_lshl_add_u32 v10, v10, 23, 0x3c000000
	v_lshlrev_b32_e32 v15, 20, v15
	s_delay_alu instid0(VALU_DEP_1)
	v_or3_b32 v15, v15, v14, v10
.LBB6_6382:                             ;   in Loop: Header=BB6_5963 Depth=2
	s_or_b32 exec_lo, exec_lo, s11
.LBB6_6383:                             ;   in Loop: Header=BB6_5963 Depth=2
	s_delay_alu instid0(SALU_CYCLE_1) | instskip(NEXT) | instid1(VALU_DEP_1)
	s_or_b32 exec_lo, exec_lo, s10
	v_mul_f32_e32 v10, v11, v15
                                        ; implicit-def: $vgpr25
	s_mov_b32 s10, exec_lo
	s_delay_alu instid0(VALU_DEP_1) | instskip(SKIP_1) | instid1(VALU_DEP_2)
	v_and_b32_e32 v86, 0x7f800000, v10
	v_lshrrev_b32_e32 v11, 24, v10
	v_cmpx_ne_u64_e32 0x7f800000, v[86:87]
	s_xor_b32 s11, exec_lo, s10
	s_cbranch_execz .LBB6_6397
; %bb.6384:                             ;   in Loop: Header=BB6_5963 Depth=2
	v_and_b32_e32 v86, 0x7fffffff, v10
	v_and_b32_e32 v31, 0x80, v11
                                        ; implicit-def: $vgpr25
	s_mov_b32 s10, exec_lo
	s_delay_alu instid0(VALU_DEP_2)
	v_cmpx_gt_u64_e32 0x43e00001, v[86:87]
	s_xor_b32 s29, exec_lo, s10
	s_cbranch_execz .LBB6_6394
; %bb.6385:                             ;   in Loop: Header=BB6_5963 Depth=2
	v_mov_b32_e32 v25, 0
	s_mov_b32 s40, exec_lo
	v_cmpx_ne_u32_e32 0, v10
	s_cbranch_execz .LBB6_6393
; %bb.6386:                             ;   in Loop: Header=BB6_5963 Depth=2
	v_bfe_u32 v25, v10, 23, 8
	v_and_b32_e32 v14, 0x7fffff, v10
	s_delay_alu instid0(VALU_DEP_2) | instskip(SKIP_1) | instid1(VALU_DEP_3)
	v_sub_nc_u32_e32 v11, 0x79, v25
	v_cmp_gt_u32_e64 s7, 0x7a, v25
	v_or_b32_e32 v15, 0x800000, v14
	s_delay_alu instid0(VALU_DEP_2) | instskip(SKIP_1) | instid1(VALU_DEP_1)
	v_cndmask_b32_e64 v11, 0, v11, s7
	v_cmp_eq_u32_e64 s7, 0, v25
	v_cndmask_b32_e64 v50, v11, 0x78, s7
	s_delay_alu instid0(VALU_DEP_4) | instskip(NEXT) | instid1(VALU_DEP_2)
	v_cndmask_b32_e64 v86, v15, v14, s7
	v_dual_add_nc_u32 v10, 20, v50 :: v_dual_add_nc_u32 v51, 19, v50
	s_delay_alu instid0(VALU_DEP_1) | instskip(NEXT) | instid1(VALU_DEP_2)
	v_lshlrev_b64_e64 v[10:11], v10, -1
	v_lshlrev_b64_e64 v[14:15], v51, 1
	s_delay_alu instid0(VALU_DEP_2) | instskip(NEXT) | instid1(VALU_DEP_3)
	v_bfi_b32 v55, v11, 0, 0
	v_bfi_b32 v54, v10, 0, v86
	v_lshrrev_b64 v[10:11], v50, v[86:87]
	s_delay_alu instid0(VALU_DEP_2) | instskip(NEXT) | instid1(VALU_DEP_2)
	v_cmp_eq_u64_e64 s10, v[54:55], v[14:15]
	v_mov_b64_e32 v[14:15], v[10:11]
	s_and_saveexec_b32 s41, s10
; %bb.6387:                             ;   in Loop: Header=BB6_5963 Depth=2
	v_bfe_u32 v86, v10, 20, 1
	s_delay_alu instid0(VALU_DEP_1) | instskip(NEXT) | instid1(VALU_DEP_1)
	v_add_nc_u64_e32 v[14:15], v[10:11], v[86:87]
	v_add_nc_u64_e32 v[14:15], -1, v[14:15]
; %bb.6388:                             ;   in Loop: Header=BB6_5963 Depth=2
	s_or_b32 exec_lo, exec_lo, s41
	v_add_nc_u32_e32 v11, 0xffffff81, v25
	v_lshrrev_b32_e32 v15, 23, v10
	s_mov_b32 s10, exec_lo
	s_delay_alu instid0(VALU_DEP_2) | instskip(NEXT) | instid1(VALU_DEP_1)
	v_cndmask_b32_e64 v11, v11, 0xffffff82, s7
	v_add3_u32 v15, v50, v11, v15
	v_and_b32_e32 v11, 0xfffff, v14
                                        ; implicit-def: $vgpr14
	s_delay_alu instid0(VALU_DEP_1) | instskip(NEXT) | instid1(VALU_DEP_1)
	v_dual_add_nc_u32 v25, 6, v15 :: v_dual_add_nc_u32 v86, v11, v10
                                        ; implicit-def: $vgpr10_vgpr11
	v_cmpx_ne_u32_e32 0, v25
	s_xor_b32 s10, exec_lo, s10
; %bb.6389:                             ;   in Loop: Header=BB6_5963 Depth=2
	s_delay_alu instid0(VALU_DEP_2) | instskip(SKIP_1) | instid1(VALU_DEP_1)
	v_cmp_lt_u64_e64 s7, 0xffffff, v[86:87]
	v_add_nc_u32_e32 v10, 7, v15
	v_cndmask_b32_e64 v14, v25, v10, s7
	v_cndmask_b32_e64 v10, 0, 1, s7
	s_delay_alu instid0(VALU_DEP_1)
	v_lshrrev_b64 v[10:11], v10, v[86:87]
; %bb.6390:                             ;   in Loop: Header=BB6_5963 Depth=2
	s_and_not1_saveexec_b32 s7, s10
; %bb.6391:                             ;   in Loop: Header=BB6_5963 Depth=2
	v_mov_b64_e32 v[10:11], v[86:87]
	v_bfe_u32 v14, v86, 23, 1
; %bb.6392:                             ;   in Loop: Header=BB6_5963 Depth=2
	s_or_b32 exec_lo, exec_lo, s7
	s_delay_alu instid0(VALU_DEP_2) | instskip(NEXT) | instid1(VALU_DEP_2)
	v_lshrrev_b64 v[10:11], 20, v[10:11]
	v_cmp_gt_i32_e64 s7, 16, v14
	v_min_i32_e32 v15, 15, v14
	v_cmp_eq_u32_e64 s10, 0, v14
	s_delay_alu instid0(VALU_DEP_3) | instskip(NEXT) | instid1(VALU_DEP_3)
	v_cndmask_b32_e64 v11, 0, v11, s7
	v_dual_lshlrev_b32 v15, 3, v15 :: v_dual_cndmask_b32 v10, 7, v10, s7
	s_delay_alu instid0(VALU_DEP_1) | instskip(NEXT) | instid1(VALU_DEP_2)
	v_and_b32_e32 v15, 0xf8, v15
	v_cmp_eq_u64_e64 s7, 0, v[10:11]
	s_delay_alu instid0(VALU_DEP_2)
	v_and_or_b32 v10, v10, 7, v15
	s_and_b32 s7, s10, s7
	s_delay_alu instid0(VALU_DEP_1) | instid1(SALU_CYCLE_1)
	v_cndmask_b32_e64 v10, v10, 0, s7
	s_delay_alu instid0(VALU_DEP_1)
	v_or_b32_e32 v25, v10, v31
.LBB6_6393:                             ;   in Loop: Header=BB6_5963 Depth=2
	s_or_b32 exec_lo, exec_lo, s40
                                        ; implicit-def: $vgpr31
.LBB6_6394:                             ;   in Loop: Header=BB6_5963 Depth=2
	s_and_not1_saveexec_b32 s7, s29
; %bb.6395:                             ;   in Loop: Header=BB6_5963 Depth=2
	v_or_b32_e32 v25, 0x7e, v31
; %bb.6396:                             ;   in Loop: Header=BB6_5963 Depth=2
	s_or_b32 exec_lo, exec_lo, s7
                                        ; implicit-def: $vgpr11
.LBB6_6397:                             ;   in Loop: Header=BB6_5963 Depth=2
	s_and_not1_saveexec_b32 s7, s11
; %bb.6398:                             ;   in Loop: Header=BB6_5963 Depth=2
	v_or_b32_e32 v25, 0x7f, v11
; %bb.6399:                             ;   in Loop: Header=BB6_5963 Depth=2
	s_or_b32 exec_lo, exec_lo, s7
	v_dual_mov_b32 v11, 0 :: v_dual_lshrrev_b32 v10, 16, v17
	s_mov_b32 s10, exec_lo
	s_delay_alu instid0(VALU_DEP_1) | instskip(NEXT) | instid1(VALU_DEP_1)
	v_and_b32_e32 v14, 0xff, v10
	v_cmpx_ne_u16_e32 0, v14
	s_cbranch_execz .LBB6_6407
; %bb.6400:                             ;   in Loop: Header=BB6_5963 Depth=2
	v_bfrev_b32_e32 v11, 1
	s_mov_b32 s11, exec_lo
	v_cmpx_ne_u16_e32 0x80, v14
	s_cbranch_execz .LBB6_6406
; %bb.6401:                             ;   in Loop: Header=BB6_5963 Depth=2
	v_bfe_u32 v14, v17, 16, 7
	v_mov_b32_e32 v11, 0x7f800001
	s_mov_b32 s29, exec_lo
	s_delay_alu instid0(VALU_DEP_2)
	v_cmpx_ne_u32_e32 0x7f, v14
	s_cbranch_execz .LBB6_6405
; %bb.6402:                             ;   in Loop: Header=BB6_5963 Depth=2
	v_and_b32_e32 v86, 7, v10
	v_lshrrev_b32_e32 v11, 3, v14
	s_mov_b32 s40, exec_lo
	v_cmpx_gt_u32_e32 8, v14
; %bb.6403:                             ;   in Loop: Header=BB6_5963 Depth=2
	s_delay_alu instid0(VALU_DEP_3) | instskip(NEXT) | instid1(VALU_DEP_1)
	v_clz_i32_u32_e32 v11, v86
	v_min_u32_e32 v11, 32, v11
	s_delay_alu instid0(VALU_DEP_1) | instskip(NEXT) | instid1(VALU_DEP_1)
	v_subrev_nc_u32_e32 v14, 28, v11
	v_lshlrev_b64_e32 v[14:15], v14, v[86:87]
	s_delay_alu instid0(VALU_DEP_1)
	v_dual_sub_nc_u32 v11, 29, v11 :: v_dual_bitop2_b32 v86, 7, v14 bitop3:0x40
; %bb.6404:                             ;   in Loop: Header=BB6_5963 Depth=2
	s_or_b32 exec_lo, exec_lo, s40
	v_lshlrev_b32_e32 v10, 24, v10
	s_delay_alu instid0(VALU_DEP_2) | instskip(NEXT) | instid1(VALU_DEP_3)
	v_lshlrev_b32_e32 v14, 20, v86
	v_lshl_add_u32 v11, v11, 23, 0x3c000000
	s_delay_alu instid0(VALU_DEP_3) | instskip(NEXT) | instid1(VALU_DEP_1)
	v_and_b32_e32 v10, 0x80000000, v10
	v_or3_b32 v11, v14, v10, v11
.LBB6_6405:                             ;   in Loop: Header=BB6_5963 Depth=2
	s_or_b32 exec_lo, exec_lo, s29
.LBB6_6406:                             ;   in Loop: Header=BB6_5963 Depth=2
	s_delay_alu instid0(SALU_CYCLE_1)
	s_or_b32 exec_lo, exec_lo, s11
.LBB6_6407:                             ;   in Loop: Header=BB6_5963 Depth=2
	s_delay_alu instid0(SALU_CYCLE_1) | instskip(SKIP_3) | instid1(VALU_DEP_1)
	s_or_b32 exec_lo, exec_lo, s10
	v_lshrrev_b32_e32 v10, 16, v13
	s_mov_b32 s11, 0
	s_mov_b32 s10, exec_lo
	v_and_b32_e32 v15, 0xff, v10
	s_delay_alu instid0(VALU_DEP_1)
	v_cmpx_lt_i16_e32 0x7f, v15
	s_xor_b32 s10, exec_lo, s10
	s_cbranch_execz .LBB6_6412
; %bb.6408:                             ;   in Loop: Header=BB6_5963 Depth=2
	s_mov_b32 s11, -1
	s_mov_b32 s29, exec_lo
	v_cmpx_eq_u16_e32 0x80, v15
; %bb.6409:                             ;   in Loop: Header=BB6_5963 Depth=2
	s_xor_b32 s11, exec_lo, -1
; %bb.6410:                             ;   in Loop: Header=BB6_5963 Depth=2
	s_or_b32 exec_lo, exec_lo, s29
	s_delay_alu instid0(SALU_CYCLE_1)
	s_and_b32 s11, s11, exec_lo
                                        ; implicit-def: $vgpr15
	s_or_saveexec_b32 s10, s10
	v_bfrev_b32_e32 v14, 1
	s_xor_b32 exec_lo, exec_lo, s10
	s_cbranch_execnz .LBB6_6413
.LBB6_6411:                             ;   in Loop: Header=BB6_5963 Depth=2
	s_or_b32 exec_lo, exec_lo, s10
	s_and_saveexec_b32 s10, s11
	s_cbranch_execnz .LBB6_6414
	s_branch .LBB6_6417
.LBB6_6412:                             ;   in Loop: Header=BB6_5963 Depth=2
	s_or_saveexec_b32 s10, s10
	v_bfrev_b32_e32 v14, 1
	s_xor_b32 exec_lo, exec_lo, s10
	s_cbranch_execz .LBB6_6411
.LBB6_6413:                             ;   in Loop: Header=BB6_5963 Depth=2
	v_cmp_ne_u16_e64 s7, 0, v15
	v_mov_b32_e32 v14, 0
	s_and_not1_b32 s11, s11, exec_lo
	s_and_b32 s7, s7, exec_lo
	s_delay_alu instid0(SALU_CYCLE_1)
	s_or_b32 s11, s11, s7
	s_or_b32 exec_lo, exec_lo, s10
	s_and_saveexec_b32 s10, s11
	s_cbranch_execz .LBB6_6417
.LBB6_6414:                             ;   in Loop: Header=BB6_5963 Depth=2
	v_and_b32_e32 v15, 0x7f, v10
	v_mov_b32_e32 v14, 0x7f800001
	s_mov_b32 s11, exec_lo
	s_delay_alu instid0(VALU_DEP_2)
	v_cmpx_ne_u32_e32 0x7f, v15
	s_cbranch_execz .LBB6_6416
; %bb.6415:                             ;   in Loop: Header=BB6_5963 Depth=2
	v_and_b32_e32 v14, 7, v10
	v_cmp_gt_u32_e64 s7, 8, v15
	s_delay_alu instid0(VALU_DEP_2) | instskip(NEXT) | instid1(VALU_DEP_1)
	v_clz_i32_u32_e32 v31, v14
	v_min_u32_e32 v31, 32, v31
	s_delay_alu instid0(VALU_DEP_1) | instskip(NEXT) | instid1(VALU_DEP_1)
	v_subrev_nc_u32_e32 v50, 28, v31
	v_lshlrev_b64_e32 v[50:51], v50, v[10:11]
	v_lshrrev_b32_e32 v51, 3, v15
	s_delay_alu instid0(VALU_DEP_2) | instskip(NEXT) | instid1(VALU_DEP_1)
	v_dual_sub_nc_u32 v31, 29, v31 :: v_dual_bitop2_b32 v15, 7, v50 bitop3:0x40
	v_dual_lshlrev_b32 v10, 24, v10 :: v_dual_cndmask_b32 v31, v51, v31, s7
	s_delay_alu instid0(VALU_DEP_2) | instskip(NEXT) | instid1(VALU_DEP_2)
	v_cndmask_b32_e64 v14, v14, v15, s7
	v_and_b32_e32 v10, 0x80000000, v10
	s_delay_alu instid0(VALU_DEP_3) | instskip(NEXT) | instid1(VALU_DEP_3)
	v_lshl_add_u32 v15, v31, 23, 0x3c000000
	v_lshlrev_b32_e32 v14, 20, v14
	s_delay_alu instid0(VALU_DEP_1)
	v_or3_b32 v14, v14, v10, v15
.LBB6_6416:                             ;   in Loop: Header=BB6_5963 Depth=2
	s_or_b32 exec_lo, exec_lo, s11
.LBB6_6417:                             ;   in Loop: Header=BB6_5963 Depth=2
	s_delay_alu instid0(SALU_CYCLE_1) | instskip(NEXT) | instid1(VALU_DEP_1)
	s_or_b32 exec_lo, exec_lo, s10
	v_mul_f32_e32 v10, v11, v14
                                        ; implicit-def: $vgpr14
	s_mov_b32 s10, exec_lo
	s_delay_alu instid0(VALU_DEP_1) | instskip(SKIP_1) | instid1(VALU_DEP_2)
	v_and_b32_e32 v86, 0x7f800000, v10
	v_lshrrev_b32_e32 v11, 24, v10
	v_cmpx_ne_u64_e32 0x7f800000, v[86:87]
	s_xor_b32 s11, exec_lo, s10
	s_cbranch_execz .LBB6_6431
; %bb.6418:                             ;   in Loop: Header=BB6_5963 Depth=2
	v_and_b32_e32 v86, 0x7fffffff, v10
	v_and_b32_e32 v31, 0x80, v11
                                        ; implicit-def: $vgpr14
	s_mov_b32 s10, exec_lo
	s_delay_alu instid0(VALU_DEP_2)
	v_cmpx_gt_u64_e32 0x43e00001, v[86:87]
	s_xor_b32 s29, exec_lo, s10
	s_cbranch_execz .LBB6_6428
; %bb.6419:                             ;   in Loop: Header=BB6_5963 Depth=2
	v_mov_b32_e32 v14, 0
	s_mov_b32 s40, exec_lo
	v_cmpx_ne_u32_e32 0, v10
	s_cbranch_execz .LBB6_6427
; %bb.6420:                             ;   in Loop: Header=BB6_5963 Depth=2
	v_bfe_u32 v50, v10, 23, 8
	v_and_b32_e32 v14, 0x7fffff, v10
	s_delay_alu instid0(VALU_DEP_2) | instskip(SKIP_1) | instid1(VALU_DEP_3)
	v_sub_nc_u32_e32 v11, 0x79, v50
	v_cmp_gt_u32_e64 s7, 0x7a, v50
	v_or_b32_e32 v15, 0x800000, v14
	s_delay_alu instid0(VALU_DEP_2) | instskip(SKIP_1) | instid1(VALU_DEP_1)
	v_cndmask_b32_e64 v11, 0, v11, s7
	v_cmp_eq_u32_e64 s7, 0, v50
	v_cndmask_b32_e64 v86, v15, v14, s7
	s_delay_alu instid0(VALU_DEP_3) | instskip(NEXT) | instid1(VALU_DEP_1)
	v_cndmask_b32_e64 v51, v11, 0x78, s7
	v_dual_add_nc_u32 v10, 20, v51 :: v_dual_add_nc_u32 v54, 19, v51
	s_delay_alu instid0(VALU_DEP_1) | instskip(NEXT) | instid1(VALU_DEP_2)
	v_lshlrev_b64_e64 v[10:11], v10, -1
	v_lshlrev_b64_e64 v[14:15], v54, 1
	s_delay_alu instid0(VALU_DEP_2) | instskip(NEXT) | instid1(VALU_DEP_3)
	v_bfi_b32 v55, v11, 0, 0
	v_bfi_b32 v54, v10, 0, v86
	v_lshrrev_b64 v[10:11], v51, v[86:87]
	s_delay_alu instid0(VALU_DEP_2) | instskip(NEXT) | instid1(VALU_DEP_2)
	v_cmp_eq_u64_e64 s10, v[54:55], v[14:15]
	v_mov_b64_e32 v[14:15], v[10:11]
	s_and_saveexec_b32 s41, s10
; %bb.6421:                             ;   in Loop: Header=BB6_5963 Depth=2
	v_bfe_u32 v86, v10, 20, 1
	s_delay_alu instid0(VALU_DEP_1) | instskip(NEXT) | instid1(VALU_DEP_1)
	v_add_nc_u64_e32 v[14:15], v[10:11], v[86:87]
	v_add_nc_u64_e32 v[14:15], -1, v[14:15]
; %bb.6422:                             ;   in Loop: Header=BB6_5963 Depth=2
	s_or_b32 exec_lo, exec_lo, s41
	v_add_nc_u32_e32 v11, 0xffffff81, v50
	v_lshrrev_b32_e32 v15, 23, v10
	s_mov_b32 s10, exec_lo
	s_delay_alu instid0(VALU_DEP_2) | instskip(NEXT) | instid1(VALU_DEP_1)
	v_cndmask_b32_e64 v11, v11, 0xffffff82, s7
	v_add3_u32 v15, v51, v11, v15
	v_and_b32_e32 v11, 0xfffff, v14
                                        ; implicit-def: $vgpr14
	s_delay_alu instid0(VALU_DEP_1) | instskip(NEXT) | instid1(VALU_DEP_1)
	v_dual_add_nc_u32 v50, 6, v15 :: v_dual_add_nc_u32 v86, v11, v10
                                        ; implicit-def: $vgpr10_vgpr11
	v_cmpx_ne_u32_e32 0, v50
	s_xor_b32 s10, exec_lo, s10
; %bb.6423:                             ;   in Loop: Header=BB6_5963 Depth=2
	s_delay_alu instid0(VALU_DEP_2) | instskip(SKIP_1) | instid1(VALU_DEP_1)
	v_cmp_lt_u64_e64 s7, 0xffffff, v[86:87]
	v_add_nc_u32_e32 v10, 7, v15
	v_cndmask_b32_e64 v14, v50, v10, s7
	v_cndmask_b32_e64 v10, 0, 1, s7
	s_delay_alu instid0(VALU_DEP_1)
	v_lshrrev_b64 v[10:11], v10, v[86:87]
; %bb.6424:                             ;   in Loop: Header=BB6_5963 Depth=2
	s_and_not1_saveexec_b32 s7, s10
; %bb.6425:                             ;   in Loop: Header=BB6_5963 Depth=2
	v_mov_b64_e32 v[10:11], v[86:87]
	v_bfe_u32 v14, v86, 23, 1
; %bb.6426:                             ;   in Loop: Header=BB6_5963 Depth=2
	s_or_b32 exec_lo, exec_lo, s7
	s_delay_alu instid0(VALU_DEP_2) | instskip(NEXT) | instid1(VALU_DEP_2)
	v_lshrrev_b64 v[10:11], 20, v[10:11]
	v_cmp_gt_i32_e64 s7, 16, v14
	v_min_i32_e32 v15, 15, v14
	v_cmp_eq_u32_e64 s10, 0, v14
	s_delay_alu instid0(VALU_DEP_3) | instskip(NEXT) | instid1(VALU_DEP_3)
	v_cndmask_b32_e64 v11, 0, v11, s7
	v_dual_lshlrev_b32 v15, 3, v15 :: v_dual_cndmask_b32 v10, 7, v10, s7
	s_delay_alu instid0(VALU_DEP_1) | instskip(NEXT) | instid1(VALU_DEP_2)
	v_and_b32_e32 v15, 0xf8, v15
	v_cmp_eq_u64_e64 s7, 0, v[10:11]
	s_delay_alu instid0(VALU_DEP_2)
	v_and_or_b32 v10, v10, 7, v15
	s_and_b32 s7, s10, s7
	s_delay_alu instid0(VALU_DEP_1) | instid1(SALU_CYCLE_1)
	v_cndmask_b32_e64 v10, v10, 0, s7
	s_delay_alu instid0(VALU_DEP_1)
	v_or_b32_e32 v14, v10, v31
.LBB6_6427:                             ;   in Loop: Header=BB6_5963 Depth=2
	s_or_b32 exec_lo, exec_lo, s40
                                        ; implicit-def: $vgpr31
.LBB6_6428:                             ;   in Loop: Header=BB6_5963 Depth=2
	s_and_not1_saveexec_b32 s7, s29
; %bb.6429:                             ;   in Loop: Header=BB6_5963 Depth=2
	v_or_b32_e32 v14, 0x7e, v31
; %bb.6430:                             ;   in Loop: Header=BB6_5963 Depth=2
	s_or_b32 exec_lo, exec_lo, s7
                                        ; implicit-def: $vgpr11
.LBB6_6431:                             ;   in Loop: Header=BB6_5963 Depth=2
	s_and_not1_saveexec_b32 s7, s11
; %bb.6432:                             ;   in Loop: Header=BB6_5963 Depth=2
	v_or_b32_e32 v14, 0x7f, v11
; %bb.6433:                             ;   in Loop: Header=BB6_5963 Depth=2
	s_or_b32 exec_lo, exec_lo, s7
	v_mov_b32_e32 v11, 0
	s_mov_b32 s10, exec_lo
	v_cmpx_lt_u64_e64 s[12:13], v[16:17]
	s_cbranch_execz .LBB6_6441
; %bb.6434:                             ;   in Loop: Header=BB6_5963 Depth=2
	v_lshrrev_b32_e32 v10, 24, v17
	v_bfrev_b32_e32 v11, 1
	s_mov_b32 s11, exec_lo
	s_delay_alu instid0(VALU_DEP_2)
	v_cmpx_ne_u32_e32 0x80, v10
	s_cbranch_execz .LBB6_6440
; %bb.6435:                             ;   in Loop: Header=BB6_5963 Depth=2
	v_bfe_u32 v15, v17, 24, 7
	v_mov_b32_e32 v11, 0x7f800001
	s_mov_b32 s29, exec_lo
	s_delay_alu instid0(VALU_DEP_2)
	v_cmpx_ne_u32_e32 0x7f, v15
	s_cbranch_execz .LBB6_6439
; %bb.6436:                             ;   in Loop: Header=BB6_5963 Depth=2
	v_dual_lshrrev_b32 v11, 3, v15 :: v_dual_bitop2_b32 v86, 7, v10 bitop3:0x40
	s_mov_b32 s40, exec_lo
	v_cmpx_gt_u32_e32 8, v15
; %bb.6437:                             ;   in Loop: Header=BB6_5963 Depth=2
	s_delay_alu instid0(VALU_DEP_2) | instskip(NEXT) | instid1(VALU_DEP_1)
	v_clz_i32_u32_e32 v11, v86
	v_min_u32_e32 v11, 32, v11
	s_delay_alu instid0(VALU_DEP_1) | instskip(NEXT) | instid1(VALU_DEP_1)
	v_subrev_nc_u32_e32 v15, 28, v11
	v_lshlrev_b64_e32 v[16:17], v15, v[86:87]
	s_delay_alu instid0(VALU_DEP_1)
	v_dual_sub_nc_u32 v11, 29, v11 :: v_dual_bitop2_b32 v86, 7, v16 bitop3:0x40
; %bb.6438:                             ;   in Loop: Header=BB6_5963 Depth=2
	s_or_b32 exec_lo, exec_lo, s40
	v_lshlrev_b32_e32 v10, 24, v10
	s_delay_alu instid0(VALU_DEP_2) | instskip(NEXT) | instid1(VALU_DEP_3)
	v_lshlrev_b32_e32 v15, 20, v86
	v_lshl_add_u32 v11, v11, 23, 0x3c000000
	s_delay_alu instid0(VALU_DEP_3) | instskip(NEXT) | instid1(VALU_DEP_1)
	v_and_b32_e32 v10, 0x80000000, v10
	v_or3_b32 v11, v15, v10, v11
.LBB6_6439:                             ;   in Loop: Header=BB6_5963 Depth=2
	s_or_b32 exec_lo, exec_lo, s29
.LBB6_6440:                             ;   in Loop: Header=BB6_5963 Depth=2
	s_delay_alu instid0(SALU_CYCLE_1)
	s_or_b32 exec_lo, exec_lo, s11
.LBB6_6441:                             ;   in Loop: Header=BB6_5963 Depth=2
	s_delay_alu instid0(SALU_CYCLE_1) | instskip(SKIP_3) | instid1(VALU_DEP_3)
	s_or_b32 exec_lo, exec_lo, s10
	v_lshrrev_b32_e32 v10, 24, v13
	v_bfe_u32 v15, v13, 24, 7
	v_cmp_gt_u64_e64 s11, s[14:15], v[12:13]
	v_cmp_eq_u32_e64 s10, 0x80, v10
	s_delay_alu instid0(VALU_DEP_3) | instskip(NEXT) | instid1(VALU_DEP_2)
	v_cmp_eq_u32_e64 s7, 0x7f, v15
	v_cndmask_b32_e64 v16, 0x7f800001, v63, s10
	s_or_b32 s7, s10, s7
	s_delay_alu instid0(SALU_CYCLE_1) | instskip(NEXT) | instid1(VALU_DEP_1)
	s_nor_b32 s7, s11, s7
	v_cndmask_b32_e64 v12, v16, 0, s11
	s_and_saveexec_b32 s10, s7
	s_cbranch_execz .LBB6_6443
; %bb.6442:                             ;   in Loop: Header=BB6_5963 Depth=2
	v_and_b32_e32 v16, 7, v10
	v_cmp_gt_u32_e64 s7, 8, v15
	s_delay_alu instid0(VALU_DEP_2) | instskip(NEXT) | instid1(VALU_DEP_1)
	v_clz_i32_u32_e32 v12, v16
	v_min_u32_e32 v17, 32, v12
	s_delay_alu instid0(VALU_DEP_1) | instskip(NEXT) | instid1(VALU_DEP_1)
	v_subrev_nc_u32_e32 v12, 28, v17
	v_lshlrev_b64_e32 v[12:13], v12, v[10:11]
	v_dual_lshrrev_b32 v13, 3, v15 :: v_dual_sub_nc_u32 v17, 29, v17
	s_delay_alu instid0(VALU_DEP_2) | instskip(NEXT) | instid1(VALU_DEP_1)
	v_dual_lshlrev_b32 v10, 24, v10 :: v_dual_bitop2_b32 v12, 7, v12 bitop3:0x40
	v_dual_cndmask_b32 v13, v13, v17, s7 :: v_dual_cndmask_b32 v12, v16, v12, s7
	s_delay_alu instid0(VALU_DEP_2) | instskip(NEXT) | instid1(VALU_DEP_2)
	v_and_b32_e32 v10, 0x80000000, v10
	v_lshl_add_u32 v13, v13, 23, 0x3c000000
	s_delay_alu instid0(VALU_DEP_3) | instskip(NEXT) | instid1(VALU_DEP_1)
	v_lshlrev_b32_e32 v12, 20, v12
	v_or3_b32 v12, v12, v10, v13
.LBB6_6443:                             ;   in Loop: Header=BB6_5963 Depth=2
	s_or_b32 exec_lo, exec_lo, s10
	s_delay_alu instid0(VALU_DEP_1) | instskip(SKIP_1) | instid1(VALU_DEP_1)
	v_mul_f32_e32 v11, v11, v12
                                        ; implicit-def: $vgpr10
	s_mov_b32 s10, exec_lo
	v_and_b32_e32 v86, 0x7f800000, v11
	v_lshrrev_b32_e32 v12, 24, v11
	s_delay_alu instid0(VALU_DEP_2)
	v_cmpx_ne_u64_e32 0x7f800000, v[86:87]
	s_xor_b32 s11, exec_lo, s10
	s_cbranch_execz .LBB6_6457
; %bb.6444:                             ;   in Loop: Header=BB6_5963 Depth=2
	v_and_b32_e32 v86, 0x7fffffff, v11
	v_and_b32_e32 v15, 0x80, v12
                                        ; implicit-def: $vgpr10
	s_mov_b32 s10, exec_lo
	s_delay_alu instid0(VALU_DEP_2)
	v_cmpx_gt_u64_e32 0x43e00001, v[86:87]
	s_xor_b32 s29, exec_lo, s10
	s_cbranch_execz .LBB6_6454
; %bb.6445:                             ;   in Loop: Header=BB6_5963 Depth=2
	v_mov_b32_e32 v10, 0
	s_mov_b32 s40, exec_lo
	v_cmpx_ne_u32_e32 0, v11
	s_cbranch_execz .LBB6_6453
; %bb.6446:                             ;   in Loop: Header=BB6_5963 Depth=2
	v_bfe_u32 v16, v11, 23, 8
	v_and_b32_e32 v12, 0x7fffff, v11
	s_delay_alu instid0(VALU_DEP_2) | instskip(SKIP_1) | instid1(VALU_DEP_3)
	v_sub_nc_u32_e32 v10, 0x79, v16
	v_cmp_gt_u32_e64 s7, 0x7a, v16
	v_or_b32_e32 v13, 0x800000, v12
	s_delay_alu instid0(VALU_DEP_2) | instskip(SKIP_1) | instid1(VALU_DEP_1)
	v_cndmask_b32_e64 v10, 0, v10, s7
	v_cmp_eq_u32_e64 s7, 0, v16
	v_cndmask_b32_e64 v17, v10, 0x78, s7
	s_delay_alu instid0(VALU_DEP_1) | instskip(SKIP_1) | instid1(VALU_DEP_2)
	v_dual_cndmask_b32 v86, v13, v12, s7 :: v_dual_add_nc_u32 v10, 20, v17
	v_add_nc_u32_e32 v31, 19, v17
	v_lshlrev_b64_e64 v[10:11], v10, -1
	s_delay_alu instid0(VALU_DEP_2) | instskip(NEXT) | instid1(VALU_DEP_2)
	v_lshlrev_b64_e64 v[12:13], v31, 1
	v_bfi_b32 v51, v11, 0, 0
	s_delay_alu instid0(VALU_DEP_3) | instskip(SKIP_1) | instid1(VALU_DEP_2)
	v_bfi_b32 v50, v10, 0, v86
	v_lshrrev_b64 v[10:11], v17, v[86:87]
	v_cmp_eq_u64_e64 s10, v[50:51], v[12:13]
	s_delay_alu instid0(VALU_DEP_2)
	v_mov_b64_e32 v[12:13], v[10:11]
	s_and_saveexec_b32 s41, s10
; %bb.6447:                             ;   in Loop: Header=BB6_5963 Depth=2
	v_bfe_u32 v86, v10, 20, 1
	s_delay_alu instid0(VALU_DEP_1) | instskip(NEXT) | instid1(VALU_DEP_1)
	v_add_nc_u64_e32 v[12:13], v[10:11], v[86:87]
	v_add_nc_u64_e32 v[12:13], -1, v[12:13]
; %bb.6448:                             ;   in Loop: Header=BB6_5963 Depth=2
	s_or_b32 exec_lo, exec_lo, s41
	v_add_nc_u32_e32 v11, 0xffffff81, v16
	v_lshrrev_b32_e32 v13, 23, v10
	s_mov_b32 s10, exec_lo
	s_delay_alu instid0(VALU_DEP_2) | instskip(NEXT) | instid1(VALU_DEP_1)
	v_cndmask_b32_e64 v11, v11, 0xffffff82, s7
	v_add3_u32 v13, v17, v11, v13
	v_and_b32_e32 v11, 0xfffff, v12
                                        ; implicit-def: $vgpr12
	s_delay_alu instid0(VALU_DEP_1) | instskip(NEXT) | instid1(VALU_DEP_1)
	v_dual_add_nc_u32 v16, 6, v13 :: v_dual_add_nc_u32 v86, v11, v10
                                        ; implicit-def: $vgpr10_vgpr11
	v_cmpx_ne_u32_e32 0, v16
	s_xor_b32 s10, exec_lo, s10
; %bb.6449:                             ;   in Loop: Header=BB6_5963 Depth=2
	s_delay_alu instid0(VALU_DEP_2) | instskip(SKIP_1) | instid1(VALU_DEP_1)
	v_cmp_lt_u64_e64 s7, 0xffffff, v[86:87]
	v_add_nc_u32_e32 v10, 7, v13
	v_cndmask_b32_e64 v12, v16, v10, s7
	v_cndmask_b32_e64 v10, 0, 1, s7
	s_delay_alu instid0(VALU_DEP_1)
	v_lshrrev_b64 v[10:11], v10, v[86:87]
; %bb.6450:                             ;   in Loop: Header=BB6_5963 Depth=2
	s_and_not1_saveexec_b32 s7, s10
; %bb.6451:                             ;   in Loop: Header=BB6_5963 Depth=2
	v_mov_b64_e32 v[10:11], v[86:87]
	v_bfe_u32 v12, v86, 23, 1
; %bb.6452:                             ;   in Loop: Header=BB6_5963 Depth=2
	s_or_b32 exec_lo, exec_lo, s7
	s_delay_alu instid0(VALU_DEP_2) | instskip(NEXT) | instid1(VALU_DEP_2)
	v_lshrrev_b64 v[10:11], 20, v[10:11]
	v_cmp_gt_i32_e64 s7, 16, v12
	v_min_i32_e32 v13, 15, v12
	v_cmp_eq_u32_e64 s10, 0, v12
	s_delay_alu instid0(VALU_DEP_2) | instskip(SKIP_1) | instid1(VALU_DEP_2)
	v_dual_cndmask_b32 v11, 0, v11, s7 :: v_dual_lshlrev_b32 v13, 3, v13
	v_cndmask_b32_e64 v10, 7, v10, s7
	v_and_b32_e32 v13, 0xf8, v13
	s_delay_alu instid0(VALU_DEP_2) | instskip(NEXT) | instid1(VALU_DEP_2)
	v_cmp_eq_u64_e64 s7, 0, v[10:11]
	v_and_or_b32 v10, v10, 7, v13
	s_and_b32 s7, s10, s7
	s_delay_alu instid0(VALU_DEP_1) | instid1(SALU_CYCLE_1)
	v_cndmask_b32_e64 v10, v10, 0, s7
	s_delay_alu instid0(VALU_DEP_1)
	v_or_b32_e32 v10, v10, v15
.LBB6_6453:                             ;   in Loop: Header=BB6_5963 Depth=2
	s_or_b32 exec_lo, exec_lo, s40
                                        ; implicit-def: $vgpr15
.LBB6_6454:                             ;   in Loop: Header=BB6_5963 Depth=2
	s_and_not1_saveexec_b32 s7, s29
; %bb.6455:                             ;   in Loop: Header=BB6_5963 Depth=2
	v_or_b32_e32 v10, 0x7e, v15
; %bb.6456:                             ;   in Loop: Header=BB6_5963 Depth=2
	s_or_b32 exec_lo, exec_lo, s7
                                        ; implicit-def: $vgpr12
.LBB6_6457:                             ;   in Loop: Header=BB6_5963 Depth=2
	s_and_not1_saveexec_b32 s7, s11
	s_cbranch_execz .LBB6_5962
; %bb.6458:                             ;   in Loop: Header=BB6_5963 Depth=2
	v_or_b32_e32 v10, 0x7f, v12
	s_branch .LBB6_5962
.LBB6_6459:                             ;   in Loop: Header=BB6_3899 Depth=1
	s_or_b32 exec_lo, exec_lo, s28
.LBB6_6460:                             ;   in Loop: Header=BB6_3899 Depth=1
	s_delay_alu instid0(SALU_CYCLE_1) | instskip(SKIP_3) | instid1(VALU_DEP_1)
	s_or_b32 exec_lo, exec_lo, s27
	v_dual_mov_b32 v20, 0 :: v_dual_bitop2_b32 v10, 15, v73 bitop3:0x40
	s_mov_b32 s10, 0
	s_mov_b32 s11, exec_lo
                                        ; implicit-def: $vgpr22
	v_cndmask_b32_e32 v21, v32, v10, vcc_lo
                                        ; implicit-def: $vgpr10
	s_delay_alu instid0(VALU_DEP_1)
	v_cmpx_ne_u32_e32 0, v21
	s_cbranch_execz .LBB6_6462
; %bb.6461:                             ;   in Loop: Header=BB6_3899 Depth=1
	v_cmp_lt_i32_e64 s7, 0, v3
	s_mov_b32 s10, exec_lo
	v_cndmask_b32_e64 v10, 0, v84, s7
	s_delay_alu instid0(VALU_DEP_1) | instskip(NEXT) | instid1(VALU_DEP_1)
	v_sub_nc_u32_e32 v3, v10, v3
	v_lshl_add_u32 v22, v3, 5, v2
	v_and_b32_e32 v3, 0x1f0, v73
	s_delay_alu instid0(VALU_DEP_2) | instskip(NEXT) | instid1(VALU_DEP_1)
	v_ashrrev_i32_e32 v2, 31, v22
	v_dual_cndmask_b32 v3, 0, v3 :: v_dual_lshrrev_b32 v2, 27, v2
	s_delay_alu instid0(VALU_DEP_1) | instskip(NEXT) | instid1(VALU_DEP_2)
	v_add_nc_u32_e32 v2, v22, v2
	v_and_or_b32 v20, 0x3ffffe00, v73, v3
	s_delay_alu instid0(VALU_DEP_2)
	v_ashrrev_i32_e32 v10, 5, v2
.LBB6_6462:                             ;   in Loop: Header=BB6_3899 Depth=1
	s_or_b32 exec_lo, exec_lo, s11
	s_delay_alu instid0(SALU_CYCLE_1)
	s_and_b32 s7, s10, exec_lo
.LBB6_6463:                             ;   in Loop: Header=BB6_3899 Depth=1
	s_or_b32 exec_lo, exec_lo, s26
	s_and_saveexec_b32 s10, s7
	s_cbranch_execz .LBB6_7660
.LBB6_6464:                             ;   in Loop: Header=BB6_3899 Depth=1
	v_lshrrev_b32_e32 v2, 10, v21
	s_mov_b32 s11, exec_lo
	s_delay_alu instid0(VALU_DEP_1) | instskip(SKIP_1) | instid1(VALU_DEP_1)
	v_sub_nc_u32_e32 v23, v2, v10
	v_ashrrev_i32_e32 v2, 31, v22
	v_lshrrev_b32_e32 v24, 27, v2
	s_delay_alu instid0(VALU_DEP_3)
	v_cmpx_lt_i32_e32 0, v23
	s_cbranch_execz .LBB6_7620
; %bb.6465:                             ;   in Loop: Header=BB6_3899 Depth=1
	s_delay_alu instid0(VALU_DEP_2) | instskip(SKIP_3) | instid1(VALU_DEP_2)
	v_dual_add_nc_u32 v2, v22, v24 :: v_dual_lshlrev_b32 v10, 10, v10
	s_trap 2
	v_add_nc_u64_e32 v[16:17], 0x3e0, v[40:41]
	s_mov_b32 s26, 0
	v_and_b32_e32 v11, 0xffffffe0, v2
	ds_load_b64 v[2:3], v0
	v_sub_nc_u32_e32 v11, v22, v11
	s_delay_alu instid0(VALU_DEP_1) | instskip(NEXT) | instid1(VALU_DEP_1)
	v_add3_u32 v14, v20, v11, v10
	v_ashrrev_i32_e32 v15, 31, v14
	s_delay_alu instid0(VALU_DEP_1)
	v_add_nc_u64_e32 v[10:11], v[14:15], v[118:119]
	s_wait_dscnt 0x0
	v_add_nc_u64_e32 v[12:13], v[2:3], v[14:15]
	v_add_nc_u64_e32 v[14:15], v[16:17], v[14:15]
	s_branch .LBB6_6467
.LBB6_6466:                             ;   in Loop: Header=BB6_6467 Depth=2
	s_or_b32 exec_lo, exec_lo, s7
	v_sub_nc_u32_e32 v23, v23, v84
	s_clause 0x1f
	flat_store_b8 v[14:15], v27 offset:-992 th:TH_STORE_NT
	flat_store_b8 v[14:15], v32 offset:-960 th:TH_STORE_NT
	;; [unrolled: 1-line block ×31, first 2 shown]
	flat_store_b8 v[14:15], v17 th:TH_STORE_NT
	v_add_nc_u64_e32 v[10:11], v[10:11], v[112:113]
	v_add_nc_u64_e32 v[12:13], v[12:13], v[112:113]
	v_cmp_gt_i32_e32 vcc_lo, 1, v23
	s_wait_xcnt 0x0
	v_add_nc_u64_e32 v[14:15], v[14:15], v[112:113]
	s_or_b32 s26, vcc_lo, s26
	s_delay_alu instid0(SALU_CYCLE_1)
	s_and_not1_b32 exec_lo, exec_lo, s26
	s_cbranch_execz .LBB6_7619
.LBB6_6467:                             ;   Parent Loop BB6_3899 Depth=1
                                        ; =>  This Inner Loop Header: Depth=2
	s_clause 0x1f
	flat_load_u8 v17, v[10:11] th:TH_LOAD_NT
	flat_load_u8 v61, v[10:11] offset:32 th:TH_LOAD_NT
	flat_load_u8 v31, v[10:11] offset:64 th:TH_LOAD_NT
	flat_load_u8 v62, v[10:11] offset:96 th:TH_LOAD_NT
	flat_load_u8 v123, v[10:11] offset:128 th:TH_LOAD_NT
	flat_load_u8 v72, v[10:11] offset:160 th:TH_LOAD_NT
	flat_load_u8 v122, v[10:11] offset:192 th:TH_LOAD_NT
	flat_load_u8 v121, v[10:11] offset:224 th:TH_LOAD_NT
	flat_load_u8 v120, v[10:11] offset:256 th:TH_LOAD_NT
	flat_load_u8 v111, v[10:11] offset:288 th:TH_LOAD_NT
	flat_load_u8 v110, v[10:11] offset:320 th:TH_LOAD_NT
	flat_load_u8 v109, v[10:11] offset:352 th:TH_LOAD_NT
	flat_load_u8 v108, v[10:11] offset:384 th:TH_LOAD_NT
	flat_load_u8 v107, v[10:11] offset:416 th:TH_LOAD_NT
	flat_load_u8 v106, v[10:11] offset:448 th:TH_LOAD_NT
	flat_load_u8 v105, v[10:11] offset:480 th:TH_LOAD_NT
	flat_load_u8 v95, v[10:11] offset:512 th:TH_LOAD_NT
	flat_load_u8 v92, v[10:11] offset:544 th:TH_LOAD_NT
	flat_load_u8 v89, v[10:11] offset:576 th:TH_LOAD_NT
	flat_load_u8 v78, v[10:11] offset:608 th:TH_LOAD_NT
	flat_load_u8 v77, v[10:11] offset:640 th:TH_LOAD_NT
	flat_load_u8 v74, v[10:11] offset:672 th:TH_LOAD_NT
	flat_load_u8 v57, v[10:11] offset:704 th:TH_LOAD_NT
	flat_load_u8 v46, v[10:11] offset:736 th:TH_LOAD_NT
	flat_load_u8 v43, v[10:11] offset:768 th:TH_LOAD_NT
	flat_load_u8 v40, v[10:11] offset:800 th:TH_LOAD_NT
	flat_load_u8 v51, v[10:11] offset:832 th:TH_LOAD_NT
	flat_load_u8 v48, v[10:11] offset:864 th:TH_LOAD_NT
	flat_load_u8 v37, v[10:11] offset:896 th:TH_LOAD_NT
	flat_load_u8 v34, v[10:11] offset:928 th:TH_LOAD_NT
	flat_load_u8 v29, v[10:11] offset:960 th:TH_LOAD_NT
	flat_load_u8 v26, v[10:11] offset:992 th:TH_LOAD_NT
	s_clause 0x1f
	flat_load_u8 v16, v[12:13] th:TH_LOAD_NT
	flat_load_u8 v32, v[12:13] offset:32 th:TH_LOAD_NT
	flat_load_u8 v35, v[12:13] offset:64 th:TH_LOAD_NT
	;; [unrolled: 1-line block ×31, first 2 shown]
	v_dual_mov_b32 v18, 0 :: v_dual_mov_b32 v19, 0
	s_mov_b32 s7, exec_lo
	s_wait_loadcnt_dscnt 0x3e3e
	s_wait_xcnt 0x0
	v_cmpx_ne_u16_e32 0, v17
	s_cbranch_execz .LBB6_6475
; %bb.6468:                             ;   in Loop: Header=BB6_6467 Depth=2
	v_bfrev_b32_e32 v19, 1
	s_mov_b32 s27, exec_lo
	v_cmpx_ne_u16_e32 0x80, v17
	s_cbranch_execz .LBB6_6474
; %bb.6469:                             ;   in Loop: Header=BB6_6467 Depth=2
	v_and_b32_e32 v54, 0xffff, v17
	v_mov_b32_e32 v19, 0x7f800001
	s_mov_b32 s28, exec_lo
	s_delay_alu instid0(VALU_DEP_2) | instskip(NEXT) | instid1(VALU_DEP_1)
	v_and_b32_e32 v27, 0x7f, v54
	v_cmpx_ne_u32_e32 0x7f, v27
	s_cbranch_execz .LBB6_6473
; %bb.6470:                             ;   in Loop: Header=BB6_6467 Depth=2
	v_dual_lshrrev_b32 v19, 3, v27 :: v_dual_bitop2_b32 v86, 7, v54 bitop3:0x40
	s_mov_b32 s29, exec_lo
	v_cmpx_gt_u32_e32 8, v27
; %bb.6471:                             ;   in Loop: Header=BB6_6467 Depth=2
	s_delay_alu instid0(VALU_DEP_2) | instskip(NEXT) | instid1(VALU_DEP_1)
	v_clz_i32_u32_e32 v19, v86
	v_min_u32_e32 v19, 32, v19
	s_delay_alu instid0(VALU_DEP_1) | instskip(NEXT) | instid1(VALU_DEP_1)
	v_subrev_nc_u32_e32 v27, 28, v19
	v_lshlrev_b64_e32 v[54:55], v27, v[86:87]
	s_delay_alu instid0(VALU_DEP_1)
	v_dual_sub_nc_u32 v19, 29, v19 :: v_dual_bitop2_b32 v86, 7, v54 bitop3:0x40
; %bb.6472:                             ;   in Loop: Header=BB6_6467 Depth=2
	s_or_b32 exec_lo, exec_lo, s29
	s_delay_alu instid0(VALU_DEP_1) | instskip(NEXT) | instid1(VALU_DEP_2)
	v_dual_lshlrev_b32 v17, 24, v17 :: v_dual_lshlrev_b32 v27, 20, v86
	v_lshl_add_u32 v19, v19, 23, 0x3c000000
	s_delay_alu instid0(VALU_DEP_2) | instskip(NEXT) | instid1(VALU_DEP_1)
	v_and_b32_e32 v17, 0x80000000, v17
	v_or3_b32 v19, v27, v17, v19
.LBB6_6473:                             ;   in Loop: Header=BB6_6467 Depth=2
	s_or_b32 exec_lo, exec_lo, s28
.LBB6_6474:                             ;   in Loop: Header=BB6_6467 Depth=2
	s_delay_alu instid0(SALU_CYCLE_1)
	s_or_b32 exec_lo, exec_lo, s27
.LBB6_6475:                             ;   in Loop: Header=BB6_6467 Depth=2
	s_delay_alu instid0(SALU_CYCLE_1) | instskip(SKIP_3) | instid1(VALU_DEP_1)
	s_or_b32 exec_lo, exec_lo, s7
	s_wait_loadcnt_dscnt 0x1f1f
	v_and_b32_e32 v17, 0xff, v16
	s_mov_b32 s7, exec_lo
	v_cmpx_ne_u16_e32 0, v17
	s_cbranch_execz .LBB6_6483
; %bb.6476:                             ;   in Loop: Header=BB6_6467 Depth=2
	v_bfrev_b32_e32 v18, 1
	s_mov_b32 s27, exec_lo
	v_cmpx_ne_u16_e32 0x80, v17
	s_cbranch_execz .LBB6_6482
; %bb.6477:                             ;   in Loop: Header=BB6_6467 Depth=2
	v_and_b32_e32 v27, 0x7f, v16
	v_mov_b32_e32 v18, 0x7f800001
	s_mov_b32 s28, exec_lo
	s_delay_alu instid0(VALU_DEP_2)
	v_cmpx_ne_u32_e32 0x7f, v27
	s_cbranch_execz .LBB6_6481
; %bb.6478:                             ;   in Loop: Header=BB6_6467 Depth=2
	v_dual_lshrrev_b32 v17, 3, v27 :: v_dual_bitop2_b32 v86, 7, v17 bitop3:0x40
	s_mov_b32 s29, exec_lo
	v_cmpx_gt_u32_e32 8, v27
; %bb.6479:                             ;   in Loop: Header=BB6_6467 Depth=2
	s_delay_alu instid0(VALU_DEP_2) | instskip(NEXT) | instid1(VALU_DEP_1)
	v_clz_i32_u32_e32 v17, v86
	v_min_u32_e32 v17, 32, v17
	s_delay_alu instid0(VALU_DEP_1) | instskip(NEXT) | instid1(VALU_DEP_1)
	v_subrev_nc_u32_e32 v18, 28, v17
	v_lshlrev_b64_e32 v[54:55], v18, v[86:87]
	s_delay_alu instid0(VALU_DEP_1)
	v_dual_sub_nc_u32 v17, 29, v17 :: v_dual_bitop2_b32 v86, 7, v54 bitop3:0x40
; %bb.6480:                             ;   in Loop: Header=BB6_6467 Depth=2
	s_or_b32 exec_lo, exec_lo, s29
	s_delay_alu instid0(VALU_DEP_1) | instskip(NEXT) | instid1(VALU_DEP_2)
	v_dual_lshlrev_b32 v16, 24, v16 :: v_dual_lshlrev_b32 v18, 20, v86
	v_lshl_add_u32 v17, v17, 23, 0x3c000000
	s_delay_alu instid0(VALU_DEP_2) | instskip(NEXT) | instid1(VALU_DEP_1)
	v_and_b32_e32 v16, 0x80000000, v16
	v_or3_b32 v18, v18, v16, v17
.LBB6_6481:                             ;   in Loop: Header=BB6_6467 Depth=2
	s_or_b32 exec_lo, exec_lo, s28
.LBB6_6482:                             ;   in Loop: Header=BB6_6467 Depth=2
	s_delay_alu instid0(SALU_CYCLE_1)
	s_or_b32 exec_lo, exec_lo, s27
.LBB6_6483:                             ;   in Loop: Header=BB6_6467 Depth=2
	s_delay_alu instid0(SALU_CYCLE_1) | instskip(NEXT) | instid1(VALU_DEP_1)
	s_or_b32 exec_lo, exec_lo, s7
	v_mul_f32_e32 v16, v19, v18
                                        ; implicit-def: $vgpr27
	s_mov_b32 s7, exec_lo
	s_delay_alu instid0(VALU_DEP_1) | instskip(SKIP_1) | instid1(VALU_DEP_2)
	v_and_b32_e32 v86, 0x7f800000, v16
	v_lshrrev_b32_e32 v17, 24, v16
	v_cmpx_ne_u64_e32 0x7f800000, v[86:87]
	s_xor_b32 s27, exec_lo, s7
	s_cbranch_execz .LBB6_6501
; %bb.6484:                             ;   in Loop: Header=BB6_6467 Depth=2
	v_and_b32_e32 v86, 0x7fffffff, v16
	v_and_b32_e32 v124, 0x80, v17
                                        ; implicit-def: $vgpr27
	s_mov_b32 s7, exec_lo
	s_delay_alu instid0(VALU_DEP_2)
	v_cmpx_gt_u64_e32 0x43e00001, v[86:87]
	s_xor_b32 s28, exec_lo, s7
	s_cbranch_execz .LBB6_6498
; %bb.6485:                             ;   in Loop: Header=BB6_6467 Depth=2
	v_mov_b32_e32 v27, 0
	s_mov_b32 s29, exec_lo
	v_cmpx_ne_u32_e32 0, v16
	s_cbranch_execz .LBB6_6497
; %bb.6486:                             ;   in Loop: Header=BB6_6467 Depth=2
	v_bfe_u32 v27, v16, 23, 8
	v_and_b32_e32 v17, 0x7fffff, v16
	s_delay_alu instid0(VALU_DEP_2) | instskip(SKIP_2) | instid1(VALU_DEP_4)
	v_cmp_gt_u32_e64 s7, 0x7a, v27
	v_sub_nc_u32_e32 v16, 0x79, v27
	v_cmp_eq_u32_e32 vcc_lo, 0, v27
	v_or_b32_e32 v18, 0x800000, v17
	s_delay_alu instid0(VALU_DEP_1) | instskip(NEXT) | instid1(VALU_DEP_1)
	v_dual_cndmask_b32 v16, 0, v16, s7 :: v_dual_cndmask_b32 v86, v18, v17, vcc_lo
	v_cndmask_b32_e64 v54, v16, 0x78, vcc_lo
	s_delay_alu instid0(VALU_DEP_1) | instskip(NEXT) | instid1(VALU_DEP_1)
	v_dual_add_nc_u32 v16, 20, v54 :: v_dual_add_nc_u32 v18, 19, v54
	v_lshlrev_b64_e64 v[16:17], v16, -1
	s_delay_alu instid0(VALU_DEP_2) | instskip(NEXT) | instid1(VALU_DEP_2)
	v_lshlrev_b64_e64 v[18:19], v18, 1
	v_bfi_b32 v17, v17, 0, 0
	s_delay_alu instid0(VALU_DEP_3) | instskip(NEXT) | instid1(VALU_DEP_1)
	v_bfi_b32 v16, v16, 0, v86
	v_cmp_eq_u64_e64 s7, v[16:17], v[18:19]
	v_lshrrev_b64 v[16:17], v54, v[86:87]
	s_delay_alu instid0(VALU_DEP_1)
	v_mov_b64_e32 v[18:19], v[16:17]
	s_and_saveexec_b32 s40, s7
; %bb.6487:                             ;   in Loop: Header=BB6_6467 Depth=2
	v_bfe_u32 v86, v16, 20, 1
	s_delay_alu instid0(VALU_DEP_1) | instskip(NEXT) | instid1(VALU_DEP_1)
	v_add_nc_u64_e32 v[18:19], v[16:17], v[86:87]
	v_add_nc_u64_e32 v[18:19], -1, v[18:19]
; %bb.6488:                             ;   in Loop: Header=BB6_6467 Depth=2
	s_or_b32 exec_lo, exec_lo, s40
	v_add_nc_u32_e32 v17, 0xffffff81, v27
	v_lshrrev_b32_e32 v19, 23, v16
	s_mov_b32 s7, exec_lo
	s_delay_alu instid0(VALU_DEP_2) | instskip(NEXT) | instid1(VALU_DEP_1)
	v_cndmask_b32_e64 v17, v17, 0xffffff82, vcc_lo
	v_add3_u32 v27, v54, v17, v19
	v_and_b32_e32 v17, 0xfffff, v18
                                        ; implicit-def: $vgpr18
	s_delay_alu instid0(VALU_DEP_1) | instskip(NEXT) | instid1(VALU_DEP_1)
	v_dual_add_nc_u32 v19, 6, v27 :: v_dual_add_nc_u32 v86, v17, v16
                                        ; implicit-def: $vgpr16_vgpr17
	v_cmpx_ne_u32_e32 0, v19
	s_xor_b32 s7, exec_lo, s7
; %bb.6489:                             ;   in Loop: Header=BB6_6467 Depth=2
	s_delay_alu instid0(VALU_DEP_2) | instskip(SKIP_1) | instid1(VALU_DEP_1)
	v_cmp_lt_u64_e32 vcc_lo, 0xffffff, v[86:87]
	v_add_nc_u32_e32 v16, 7, v27
	v_cndmask_b32_e32 v18, v19, v16, vcc_lo
	v_cndmask_b32_e64 v16, 0, 1, vcc_lo
	s_delay_alu instid0(VALU_DEP_1)
	v_lshrrev_b64 v[16:17], v16, v[86:87]
; %bb.6490:                             ;   in Loop: Header=BB6_6467 Depth=2
	s_and_not1_saveexec_b32 s7, s7
; %bb.6491:                             ;   in Loop: Header=BB6_6467 Depth=2
	v_mov_b64_e32 v[16:17], v[86:87]
	v_bfe_u32 v18, v86, 23, 1
; %bb.6492:                             ;   in Loop: Header=BB6_6467 Depth=2
	s_or_b32 exec_lo, exec_lo, s7
	s_delay_alu instid0(VALU_DEP_2) | instskip(NEXT) | instid1(VALU_DEP_2)
	v_lshrrev_b64 v[16:17], 20, v[16:17]
	v_cmp_gt_i32_e32 vcc_lo, 16, v18
	v_cmp_ne_u32_e64 s7, 0, v18
                                        ; implicit-def: $vgpr27
	s_delay_alu instid0(VALU_DEP_3) | instskip(NEXT) | instid1(VALU_DEP_1)
	v_dual_cndmask_b32 v17, 0, v17 :: v_dual_cndmask_b32 v16, 7, v16
	v_cmp_ne_u64_e32 vcc_lo, 0, v[16:17]
	s_or_b32 s7, s7, vcc_lo
	s_delay_alu instid0(SALU_CYCLE_1) | instskip(NEXT) | instid1(SALU_CYCLE_1)
	s_and_saveexec_b32 s40, s7
	s_xor_b32 s7, exec_lo, s40
; %bb.6493:                             ;   in Loop: Header=BB6_6467 Depth=2
	v_min_i32_e32 v17, 15, v18
	s_delay_alu instid0(VALU_DEP_1) | instskip(NEXT) | instid1(VALU_DEP_1)
	v_lshl_or_b32 v17, v17, 3, v124
                                        ; implicit-def: $vgpr124
	v_and_or_b32 v27, v16, 7, v17
; %bb.6494:                             ;   in Loop: Header=BB6_6467 Depth=2
	s_and_not1_saveexec_b32 s7, s7
; %bb.6495:                             ;   in Loop: Header=BB6_6467 Depth=2
	v_mov_b32_e32 v27, v124
; %bb.6496:                             ;   in Loop: Header=BB6_6467 Depth=2
	s_or_b32 exec_lo, exec_lo, s7
.LBB6_6497:                             ;   in Loop: Header=BB6_6467 Depth=2
	s_delay_alu instid0(SALU_CYCLE_1)
	s_or_b32 exec_lo, exec_lo, s29
                                        ; implicit-def: $vgpr124
.LBB6_6498:                             ;   in Loop: Header=BB6_6467 Depth=2
	s_and_not1_saveexec_b32 s7, s28
; %bb.6499:                             ;   in Loop: Header=BB6_6467 Depth=2
	v_or_b32_e32 v27, 0x7e, v124
; %bb.6500:                             ;   in Loop: Header=BB6_6467 Depth=2
	s_or_b32 exec_lo, exec_lo, s7
                                        ; implicit-def: $vgpr17
.LBB6_6501:                             ;   in Loop: Header=BB6_6467 Depth=2
	s_and_not1_saveexec_b32 s7, s27
; %bb.6502:                             ;   in Loop: Header=BB6_6467 Depth=2
	v_or_b32_e32 v27, 0x7f, v17
; %bb.6503:                             ;   in Loop: Header=BB6_6467 Depth=2
	s_or_b32 exec_lo, exec_lo, s7
	v_and_b32_e32 v18, 0xff, v61
	v_dual_mov_b32 v16, 0 :: v_dual_mov_b32 v17, 0
	s_mov_b32 s7, exec_lo
	s_delay_alu instid0(VALU_DEP_2)
	v_cmpx_ne_u16_e32 0, v18
	s_cbranch_execz .LBB6_6511
; %bb.6504:                             ;   in Loop: Header=BB6_6467 Depth=2
	v_bfrev_b32_e32 v17, 1
	s_mov_b32 s27, exec_lo
	v_cmpx_ne_u16_e32 0x80, v18
	s_cbranch_execz .LBB6_6510
; %bb.6505:                             ;   in Loop: Header=BB6_6467 Depth=2
	v_and_b32_e32 v19, 0x7f, v61
	v_mov_b32_e32 v17, 0x7f800001
	s_mov_b32 s28, exec_lo
	s_delay_alu instid0(VALU_DEP_2)
	v_cmpx_ne_u32_e32 0x7f, v19
	s_cbranch_execz .LBB6_6509
; %bb.6506:                             ;   in Loop: Header=BB6_6467 Depth=2
	v_dual_lshrrev_b32 v17, 3, v19 :: v_dual_bitop2_b32 v86, 7, v18 bitop3:0x40
	s_mov_b32 s29, exec_lo
	v_cmpx_gt_u32_e32 8, v19
; %bb.6507:                             ;   in Loop: Header=BB6_6467 Depth=2
	s_delay_alu instid0(VALU_DEP_2) | instskip(NEXT) | instid1(VALU_DEP_1)
	v_clz_i32_u32_e32 v17, v86
	v_min_u32_e32 v17, 32, v17
	s_delay_alu instid0(VALU_DEP_1) | instskip(NEXT) | instid1(VALU_DEP_1)
	v_subrev_nc_u32_e32 v18, 28, v17
	v_lshlrev_b64_e32 v[18:19], v18, v[86:87]
	s_delay_alu instid0(VALU_DEP_1)
	v_dual_sub_nc_u32 v17, 29, v17 :: v_dual_bitop2_b32 v86, 7, v18 bitop3:0x40
; %bb.6508:                             ;   in Loop: Header=BB6_6467 Depth=2
	s_or_b32 exec_lo, exec_lo, s29
	s_delay_alu instid0(VALU_DEP_1) | instskip(NEXT) | instid1(VALU_DEP_2)
	v_dual_lshlrev_b32 v18, 24, v61 :: v_dual_lshlrev_b32 v19, 20, v86
	v_lshl_add_u32 v17, v17, 23, 0x3c000000
	s_delay_alu instid0(VALU_DEP_2) | instskip(NEXT) | instid1(VALU_DEP_1)
	v_and_b32_e32 v18, 0x80000000, v18
	v_or3_b32 v17, v19, v18, v17
.LBB6_6509:                             ;   in Loop: Header=BB6_6467 Depth=2
	s_or_b32 exec_lo, exec_lo, s28
.LBB6_6510:                             ;   in Loop: Header=BB6_6467 Depth=2
	s_delay_alu instid0(SALU_CYCLE_1)
	s_or_b32 exec_lo, exec_lo, s27
.LBB6_6511:                             ;   in Loop: Header=BB6_6467 Depth=2
	s_delay_alu instid0(SALU_CYCLE_1) | instskip(SKIP_3) | instid1(VALU_DEP_1)
	s_or_b32 exec_lo, exec_lo, s7
	s_wait_loadcnt_dscnt 0x1e1e
	v_and_b32_e32 v18, 0xff, v32
	s_mov_b32 s7, exec_lo
	v_cmpx_ne_u16_e32 0, v18
	s_cbranch_execz .LBB6_6519
; %bb.6512:                             ;   in Loop: Header=BB6_6467 Depth=2
	v_bfrev_b32_e32 v16, 1
	s_mov_b32 s27, exec_lo
	v_cmpx_ne_u16_e32 0x80, v18
	s_cbranch_execz .LBB6_6518
; %bb.6513:                             ;   in Loop: Header=BB6_6467 Depth=2
	v_and_b32_e32 v19, 0x7f, v32
	v_mov_b32_e32 v16, 0x7f800001
	s_mov_b32 s28, exec_lo
	s_delay_alu instid0(VALU_DEP_2)
	v_cmpx_ne_u32_e32 0x7f, v19
	s_cbranch_execz .LBB6_6517
; %bb.6514:                             ;   in Loop: Header=BB6_6467 Depth=2
	v_dual_lshrrev_b32 v16, 3, v19 :: v_dual_bitop2_b32 v86, 7, v18 bitop3:0x40
	s_mov_b32 s29, exec_lo
	v_cmpx_gt_u32_e32 8, v19
; %bb.6515:                             ;   in Loop: Header=BB6_6467 Depth=2
	s_delay_alu instid0(VALU_DEP_2) | instskip(NEXT) | instid1(VALU_DEP_1)
	v_clz_i32_u32_e32 v16, v86
	v_min_u32_e32 v16, 32, v16
	s_delay_alu instid0(VALU_DEP_1) | instskip(NEXT) | instid1(VALU_DEP_1)
	v_subrev_nc_u32_e32 v18, 28, v16
	v_lshlrev_b64_e32 v[18:19], v18, v[86:87]
	s_delay_alu instid0(VALU_DEP_1)
	v_dual_sub_nc_u32 v16, 29, v16 :: v_dual_bitop2_b32 v86, 7, v18 bitop3:0x40
; %bb.6516:                             ;   in Loop: Header=BB6_6467 Depth=2
	s_or_b32 exec_lo, exec_lo, s29
	s_delay_alu instid0(VALU_DEP_1) | instskip(NEXT) | instid1(VALU_DEP_2)
	v_dual_lshlrev_b32 v18, 24, v32 :: v_dual_lshlrev_b32 v19, 20, v86
	v_lshl_add_u32 v16, v16, 23, 0x3c000000
	s_delay_alu instid0(VALU_DEP_2) | instskip(NEXT) | instid1(VALU_DEP_1)
	v_and_b32_e32 v18, 0x80000000, v18
	v_or3_b32 v16, v19, v18, v16
.LBB6_6517:                             ;   in Loop: Header=BB6_6467 Depth=2
	s_or_b32 exec_lo, exec_lo, s28
.LBB6_6518:                             ;   in Loop: Header=BB6_6467 Depth=2
	s_delay_alu instid0(SALU_CYCLE_1)
	s_or_b32 exec_lo, exec_lo, s27
.LBB6_6519:                             ;   in Loop: Header=BB6_6467 Depth=2
	s_delay_alu instid0(SALU_CYCLE_1) | instskip(NEXT) | instid1(VALU_DEP_1)
	s_or_b32 exec_lo, exec_lo, s7
	v_mul_f32_e32 v16, v17, v16
                                        ; implicit-def: $vgpr32
	s_mov_b32 s7, exec_lo
	s_delay_alu instid0(VALU_DEP_1) | instskip(SKIP_1) | instid1(VALU_DEP_2)
	v_and_b32_e32 v86, 0x7f800000, v16
	v_lshrrev_b32_e32 v17, 24, v16
	v_cmpx_ne_u64_e32 0x7f800000, v[86:87]
	s_xor_b32 s27, exec_lo, s7
	s_cbranch_execz .LBB6_6537
; %bb.6520:                             ;   in Loop: Header=BB6_6467 Depth=2
	v_and_b32_e32 v86, 0x7fffffff, v16
	v_and_b32_e32 v61, 0x80, v17
                                        ; implicit-def: $vgpr32
	s_mov_b32 s7, exec_lo
	s_delay_alu instid0(VALU_DEP_2)
	v_cmpx_gt_u64_e32 0x43e00001, v[86:87]
	s_xor_b32 s28, exec_lo, s7
	s_cbranch_execz .LBB6_6534
; %bb.6521:                             ;   in Loop: Header=BB6_6467 Depth=2
	v_mov_b32_e32 v32, 0
	s_mov_b32 s29, exec_lo
	v_cmpx_ne_u32_e32 0, v16
	s_cbranch_execz .LBB6_6533
; %bb.6522:                             ;   in Loop: Header=BB6_6467 Depth=2
	v_bfe_u32 v32, v16, 23, 8
	v_and_b32_e32 v17, 0x7fffff, v16
	s_delay_alu instid0(VALU_DEP_2) | instskip(SKIP_2) | instid1(VALU_DEP_4)
	v_cmp_gt_u32_e64 s7, 0x7a, v32
	v_sub_nc_u32_e32 v16, 0x79, v32
	v_cmp_eq_u32_e32 vcc_lo, 0, v32
	v_or_b32_e32 v18, 0x800000, v17
	s_delay_alu instid0(VALU_DEP_1) | instskip(NEXT) | instid1(VALU_DEP_1)
	v_dual_cndmask_b32 v16, 0, v16, s7 :: v_dual_cndmask_b32 v86, v18, v17, vcc_lo
	v_cndmask_b32_e64 v54, v16, 0x78, vcc_lo
	s_delay_alu instid0(VALU_DEP_1) | instskip(NEXT) | instid1(VALU_DEP_1)
	v_dual_add_nc_u32 v16, 20, v54 :: v_dual_add_nc_u32 v18, 19, v54
	v_lshlrev_b64_e64 v[16:17], v16, -1
	s_delay_alu instid0(VALU_DEP_2) | instskip(NEXT) | instid1(VALU_DEP_2)
	v_lshlrev_b64_e64 v[18:19], v18, 1
	v_bfi_b32 v17, v17, 0, 0
	s_delay_alu instid0(VALU_DEP_3) | instskip(NEXT) | instid1(VALU_DEP_1)
	v_bfi_b32 v16, v16, 0, v86
	v_cmp_eq_u64_e64 s7, v[16:17], v[18:19]
	v_lshrrev_b64 v[16:17], v54, v[86:87]
	s_delay_alu instid0(VALU_DEP_1)
	v_mov_b64_e32 v[18:19], v[16:17]
	s_and_saveexec_b32 s40, s7
; %bb.6523:                             ;   in Loop: Header=BB6_6467 Depth=2
	v_bfe_u32 v86, v16, 20, 1
	s_delay_alu instid0(VALU_DEP_1) | instskip(NEXT) | instid1(VALU_DEP_1)
	v_add_nc_u64_e32 v[18:19], v[16:17], v[86:87]
	v_add_nc_u64_e32 v[18:19], -1, v[18:19]
; %bb.6524:                             ;   in Loop: Header=BB6_6467 Depth=2
	s_or_b32 exec_lo, exec_lo, s40
	v_add_nc_u32_e32 v17, 0xffffff81, v32
	v_lshrrev_b32_e32 v19, 23, v16
	s_mov_b32 s7, exec_lo
	s_delay_alu instid0(VALU_DEP_2) | instskip(NEXT) | instid1(VALU_DEP_1)
	v_cndmask_b32_e64 v17, v17, 0xffffff82, vcc_lo
	v_add3_u32 v32, v54, v17, v19
	v_and_b32_e32 v17, 0xfffff, v18
                                        ; implicit-def: $vgpr18
	s_delay_alu instid0(VALU_DEP_2) | instskip(NEXT) | instid1(VALU_DEP_2)
	v_add_nc_u32_e32 v19, 6, v32
	v_add_nc_u32_e32 v86, v17, v16
                                        ; implicit-def: $vgpr16_vgpr17
	s_delay_alu instid0(VALU_DEP_2)
	v_cmpx_ne_u32_e32 0, v19
	s_xor_b32 s7, exec_lo, s7
; %bb.6525:                             ;   in Loop: Header=BB6_6467 Depth=2
	s_delay_alu instid0(VALU_DEP_2) | instskip(SKIP_1) | instid1(VALU_DEP_1)
	v_cmp_lt_u64_e32 vcc_lo, 0xffffff, v[86:87]
	v_add_nc_u32_e32 v16, 7, v32
	v_cndmask_b32_e32 v18, v19, v16, vcc_lo
	v_cndmask_b32_e64 v16, 0, 1, vcc_lo
	s_delay_alu instid0(VALU_DEP_1)
	v_lshrrev_b64 v[16:17], v16, v[86:87]
; %bb.6526:                             ;   in Loop: Header=BB6_6467 Depth=2
	s_and_not1_saveexec_b32 s7, s7
; %bb.6527:                             ;   in Loop: Header=BB6_6467 Depth=2
	v_mov_b64_e32 v[16:17], v[86:87]
	v_bfe_u32 v18, v86, 23, 1
; %bb.6528:                             ;   in Loop: Header=BB6_6467 Depth=2
	s_or_b32 exec_lo, exec_lo, s7
	s_delay_alu instid0(VALU_DEP_2) | instskip(NEXT) | instid1(VALU_DEP_2)
	v_lshrrev_b64 v[16:17], 20, v[16:17]
	v_cmp_gt_i32_e32 vcc_lo, 16, v18
	v_cmp_ne_u32_e64 s7, 0, v18
                                        ; implicit-def: $vgpr32
	s_delay_alu instid0(VALU_DEP_3) | instskip(NEXT) | instid1(VALU_DEP_1)
	v_dual_cndmask_b32 v17, 0, v17 :: v_dual_cndmask_b32 v16, 7, v16
	v_cmp_ne_u64_e32 vcc_lo, 0, v[16:17]
	s_or_b32 s7, s7, vcc_lo
	s_delay_alu instid0(SALU_CYCLE_1) | instskip(NEXT) | instid1(SALU_CYCLE_1)
	s_and_saveexec_b32 s40, s7
	s_xor_b32 s7, exec_lo, s40
; %bb.6529:                             ;   in Loop: Header=BB6_6467 Depth=2
	v_min_i32_e32 v17, 15, v18
	s_delay_alu instid0(VALU_DEP_1) | instskip(NEXT) | instid1(VALU_DEP_1)
	v_lshl_or_b32 v17, v17, 3, v61
                                        ; implicit-def: $vgpr61
	v_and_or_b32 v32, v16, 7, v17
; %bb.6530:                             ;   in Loop: Header=BB6_6467 Depth=2
	s_and_not1_saveexec_b32 s7, s7
; %bb.6531:                             ;   in Loop: Header=BB6_6467 Depth=2
	v_mov_b32_e32 v32, v61
; %bb.6532:                             ;   in Loop: Header=BB6_6467 Depth=2
	s_or_b32 exec_lo, exec_lo, s7
.LBB6_6533:                             ;   in Loop: Header=BB6_6467 Depth=2
	s_delay_alu instid0(SALU_CYCLE_1)
	s_or_b32 exec_lo, exec_lo, s29
                                        ; implicit-def: $vgpr61
.LBB6_6534:                             ;   in Loop: Header=BB6_6467 Depth=2
	s_and_not1_saveexec_b32 s7, s28
; %bb.6535:                             ;   in Loop: Header=BB6_6467 Depth=2
	v_or_b32_e32 v32, 0x7e, v61
; %bb.6536:                             ;   in Loop: Header=BB6_6467 Depth=2
	s_or_b32 exec_lo, exec_lo, s7
                                        ; implicit-def: $vgpr17
.LBB6_6537:                             ;   in Loop: Header=BB6_6467 Depth=2
	s_and_not1_saveexec_b32 s7, s27
; %bb.6538:                             ;   in Loop: Header=BB6_6467 Depth=2
	v_or_b32_e32 v32, 0x7f, v17
; %bb.6539:                             ;   in Loop: Header=BB6_6467 Depth=2
	s_or_b32 exec_lo, exec_lo, s7
	v_and_b32_e32 v18, 0xff, v31
	v_dual_mov_b32 v16, 0 :: v_dual_mov_b32 v17, 0
	s_mov_b32 s7, exec_lo
	s_delay_alu instid0(VALU_DEP_2)
	v_cmpx_ne_u16_e32 0, v18
	s_cbranch_execz .LBB6_6547
; %bb.6540:                             ;   in Loop: Header=BB6_6467 Depth=2
	v_bfrev_b32_e32 v17, 1
	s_mov_b32 s27, exec_lo
	v_cmpx_ne_u16_e32 0x80, v18
	s_cbranch_execz .LBB6_6546
; %bb.6541:                             ;   in Loop: Header=BB6_6467 Depth=2
	v_and_b32_e32 v19, 0x7f, v31
	v_mov_b32_e32 v17, 0x7f800001
	s_mov_b32 s28, exec_lo
	s_delay_alu instid0(VALU_DEP_2)
	v_cmpx_ne_u32_e32 0x7f, v19
	s_cbranch_execz .LBB6_6545
; %bb.6542:                             ;   in Loop: Header=BB6_6467 Depth=2
	v_dual_lshrrev_b32 v17, 3, v19 :: v_dual_bitop2_b32 v86, 7, v18 bitop3:0x40
	s_mov_b32 s29, exec_lo
	v_cmpx_gt_u32_e32 8, v19
; %bb.6543:                             ;   in Loop: Header=BB6_6467 Depth=2
	s_delay_alu instid0(VALU_DEP_2) | instskip(NEXT) | instid1(VALU_DEP_1)
	v_clz_i32_u32_e32 v17, v86
	v_min_u32_e32 v17, 32, v17
	s_delay_alu instid0(VALU_DEP_1) | instskip(NEXT) | instid1(VALU_DEP_1)
	v_subrev_nc_u32_e32 v18, 28, v17
	v_lshlrev_b64_e32 v[18:19], v18, v[86:87]
	s_delay_alu instid0(VALU_DEP_1)
	v_dual_sub_nc_u32 v17, 29, v17 :: v_dual_bitop2_b32 v86, 7, v18 bitop3:0x40
; %bb.6544:                             ;   in Loop: Header=BB6_6467 Depth=2
	s_or_b32 exec_lo, exec_lo, s29
	s_delay_alu instid0(VALU_DEP_1) | instskip(NEXT) | instid1(VALU_DEP_2)
	v_dual_lshlrev_b32 v18, 24, v31 :: v_dual_lshlrev_b32 v19, 20, v86
	v_lshl_add_u32 v17, v17, 23, 0x3c000000
	s_delay_alu instid0(VALU_DEP_2) | instskip(NEXT) | instid1(VALU_DEP_1)
	v_and_b32_e32 v18, 0x80000000, v18
	v_or3_b32 v17, v19, v18, v17
.LBB6_6545:                             ;   in Loop: Header=BB6_6467 Depth=2
	s_or_b32 exec_lo, exec_lo, s28
.LBB6_6546:                             ;   in Loop: Header=BB6_6467 Depth=2
	s_delay_alu instid0(SALU_CYCLE_1)
	s_or_b32 exec_lo, exec_lo, s27
.LBB6_6547:                             ;   in Loop: Header=BB6_6467 Depth=2
	s_delay_alu instid0(SALU_CYCLE_1) | instskip(SKIP_3) | instid1(VALU_DEP_1)
	s_or_b32 exec_lo, exec_lo, s7
	s_wait_loadcnt_dscnt 0x1d1d
	v_and_b32_e32 v18, 0xff, v35
	s_mov_b32 s7, exec_lo
	v_cmpx_ne_u16_e32 0, v18
	s_cbranch_execz .LBB6_6555
; %bb.6548:                             ;   in Loop: Header=BB6_6467 Depth=2
	v_bfrev_b32_e32 v16, 1
	s_mov_b32 s27, exec_lo
	v_cmpx_ne_u16_e32 0x80, v18
	s_cbranch_execz .LBB6_6554
; %bb.6549:                             ;   in Loop: Header=BB6_6467 Depth=2
	v_and_b32_e32 v19, 0x7f, v35
	v_mov_b32_e32 v16, 0x7f800001
	s_mov_b32 s28, exec_lo
	s_delay_alu instid0(VALU_DEP_2)
	v_cmpx_ne_u32_e32 0x7f, v19
	s_cbranch_execz .LBB6_6553
; %bb.6550:                             ;   in Loop: Header=BB6_6467 Depth=2
	v_dual_lshrrev_b32 v16, 3, v19 :: v_dual_bitop2_b32 v86, 7, v18 bitop3:0x40
	s_mov_b32 s29, exec_lo
	v_cmpx_gt_u32_e32 8, v19
; %bb.6551:                             ;   in Loop: Header=BB6_6467 Depth=2
	s_delay_alu instid0(VALU_DEP_2) | instskip(NEXT) | instid1(VALU_DEP_1)
	v_clz_i32_u32_e32 v16, v86
	v_min_u32_e32 v16, 32, v16
	s_delay_alu instid0(VALU_DEP_1) | instskip(NEXT) | instid1(VALU_DEP_1)
	v_subrev_nc_u32_e32 v18, 28, v16
	v_lshlrev_b64_e32 v[18:19], v18, v[86:87]
	s_delay_alu instid0(VALU_DEP_1)
	v_dual_sub_nc_u32 v16, 29, v16 :: v_dual_bitop2_b32 v86, 7, v18 bitop3:0x40
; %bb.6552:                             ;   in Loop: Header=BB6_6467 Depth=2
	s_or_b32 exec_lo, exec_lo, s29
	s_delay_alu instid0(VALU_DEP_1) | instskip(NEXT) | instid1(VALU_DEP_2)
	v_dual_lshlrev_b32 v18, 24, v35 :: v_dual_lshlrev_b32 v19, 20, v86
	v_lshl_add_u32 v16, v16, 23, 0x3c000000
	s_delay_alu instid0(VALU_DEP_2) | instskip(NEXT) | instid1(VALU_DEP_1)
	v_and_b32_e32 v18, 0x80000000, v18
	v_or3_b32 v16, v19, v18, v16
.LBB6_6553:                             ;   in Loop: Header=BB6_6467 Depth=2
	s_or_b32 exec_lo, exec_lo, s28
.LBB6_6554:                             ;   in Loop: Header=BB6_6467 Depth=2
	s_delay_alu instid0(SALU_CYCLE_1)
	s_or_b32 exec_lo, exec_lo, s27
.LBB6_6555:                             ;   in Loop: Header=BB6_6467 Depth=2
	s_delay_alu instid0(SALU_CYCLE_1) | instskip(NEXT) | instid1(VALU_DEP_1)
	s_or_b32 exec_lo, exec_lo, s7
	v_mul_f32_e32 v16, v17, v16
                                        ; implicit-def: $vgpr35
	s_mov_b32 s7, exec_lo
	s_delay_alu instid0(VALU_DEP_1) | instskip(SKIP_1) | instid1(VALU_DEP_2)
	v_and_b32_e32 v86, 0x7f800000, v16
	v_lshrrev_b32_e32 v17, 24, v16
	v_cmpx_ne_u64_e32 0x7f800000, v[86:87]
	s_xor_b32 s27, exec_lo, s7
	s_cbranch_execz .LBB6_6573
; %bb.6556:                             ;   in Loop: Header=BB6_6467 Depth=2
	v_and_b32_e32 v86, 0x7fffffff, v16
	v_and_b32_e32 v31, 0x80, v17
                                        ; implicit-def: $vgpr35
	s_mov_b32 s7, exec_lo
	s_delay_alu instid0(VALU_DEP_2)
	v_cmpx_gt_u64_e32 0x43e00001, v[86:87]
	s_xor_b32 s28, exec_lo, s7
	s_cbranch_execz .LBB6_6570
; %bb.6557:                             ;   in Loop: Header=BB6_6467 Depth=2
	v_mov_b32_e32 v35, 0
	s_mov_b32 s29, exec_lo
	v_cmpx_ne_u32_e32 0, v16
	s_cbranch_execz .LBB6_6569
; %bb.6558:                             ;   in Loop: Header=BB6_6467 Depth=2
	v_bfe_u32 v35, v16, 23, 8
	v_and_b32_e32 v17, 0x7fffff, v16
	s_delay_alu instid0(VALU_DEP_2) | instskip(SKIP_2) | instid1(VALU_DEP_4)
	v_cmp_gt_u32_e64 s7, 0x7a, v35
	v_sub_nc_u32_e32 v16, 0x79, v35
	v_cmp_eq_u32_e32 vcc_lo, 0, v35
	v_or_b32_e32 v18, 0x800000, v17
	s_delay_alu instid0(VALU_DEP_1) | instskip(NEXT) | instid1(VALU_DEP_1)
	v_dual_cndmask_b32 v16, 0, v16, s7 :: v_dual_cndmask_b32 v86, v18, v17, vcc_lo
	v_cndmask_b32_e64 v54, v16, 0x78, vcc_lo
	s_delay_alu instid0(VALU_DEP_1) | instskip(NEXT) | instid1(VALU_DEP_1)
	v_dual_add_nc_u32 v16, 20, v54 :: v_dual_add_nc_u32 v18, 19, v54
	v_lshlrev_b64_e64 v[16:17], v16, -1
	s_delay_alu instid0(VALU_DEP_2) | instskip(NEXT) | instid1(VALU_DEP_2)
	v_lshlrev_b64_e64 v[18:19], v18, 1
	v_bfi_b32 v17, v17, 0, 0
	s_delay_alu instid0(VALU_DEP_3) | instskip(NEXT) | instid1(VALU_DEP_1)
	v_bfi_b32 v16, v16, 0, v86
	v_cmp_eq_u64_e64 s7, v[16:17], v[18:19]
	v_lshrrev_b64 v[16:17], v54, v[86:87]
	s_delay_alu instid0(VALU_DEP_1)
	v_mov_b64_e32 v[18:19], v[16:17]
	s_and_saveexec_b32 s40, s7
; %bb.6559:                             ;   in Loop: Header=BB6_6467 Depth=2
	v_bfe_u32 v86, v16, 20, 1
	s_delay_alu instid0(VALU_DEP_1) | instskip(NEXT) | instid1(VALU_DEP_1)
	v_add_nc_u64_e32 v[18:19], v[16:17], v[86:87]
	v_add_nc_u64_e32 v[18:19], -1, v[18:19]
; %bb.6560:                             ;   in Loop: Header=BB6_6467 Depth=2
	s_or_b32 exec_lo, exec_lo, s40
	v_add_nc_u32_e32 v17, 0xffffff81, v35
	v_lshrrev_b32_e32 v19, 23, v16
	s_mov_b32 s7, exec_lo
	s_delay_alu instid0(VALU_DEP_2) | instskip(NEXT) | instid1(VALU_DEP_1)
	v_cndmask_b32_e64 v17, v17, 0xffffff82, vcc_lo
	v_add3_u32 v19, v54, v17, v19
	v_and_b32_e32 v17, 0xfffff, v18
                                        ; implicit-def: $vgpr18
	s_delay_alu instid0(VALU_DEP_1) | instskip(NEXT) | instid1(VALU_DEP_1)
	v_dual_add_nc_u32 v35, 6, v19 :: v_dual_add_nc_u32 v86, v17, v16
                                        ; implicit-def: $vgpr16_vgpr17
	v_cmpx_ne_u32_e32 0, v35
	s_xor_b32 s7, exec_lo, s7
; %bb.6561:                             ;   in Loop: Header=BB6_6467 Depth=2
	s_delay_alu instid0(VALU_DEP_2) | instskip(SKIP_1) | instid1(VALU_DEP_1)
	v_cmp_lt_u64_e32 vcc_lo, 0xffffff, v[86:87]
	v_add_nc_u32_e32 v16, 7, v19
	v_cndmask_b32_e32 v18, v35, v16, vcc_lo
	v_cndmask_b32_e64 v16, 0, 1, vcc_lo
	s_delay_alu instid0(VALU_DEP_1)
	v_lshrrev_b64 v[16:17], v16, v[86:87]
; %bb.6562:                             ;   in Loop: Header=BB6_6467 Depth=2
	s_and_not1_saveexec_b32 s7, s7
; %bb.6563:                             ;   in Loop: Header=BB6_6467 Depth=2
	v_mov_b64_e32 v[16:17], v[86:87]
	v_bfe_u32 v18, v86, 23, 1
; %bb.6564:                             ;   in Loop: Header=BB6_6467 Depth=2
	s_or_b32 exec_lo, exec_lo, s7
	s_delay_alu instid0(VALU_DEP_2) | instskip(NEXT) | instid1(VALU_DEP_2)
	v_lshrrev_b64 v[16:17], 20, v[16:17]
	v_cmp_gt_i32_e32 vcc_lo, 16, v18
	v_cmp_ne_u32_e64 s7, 0, v18
                                        ; implicit-def: $vgpr35
	s_delay_alu instid0(VALU_DEP_3) | instskip(NEXT) | instid1(VALU_DEP_1)
	v_dual_cndmask_b32 v17, 0, v17 :: v_dual_cndmask_b32 v16, 7, v16
	v_cmp_ne_u64_e32 vcc_lo, 0, v[16:17]
	s_or_b32 s7, s7, vcc_lo
	s_delay_alu instid0(SALU_CYCLE_1) | instskip(NEXT) | instid1(SALU_CYCLE_1)
	s_and_saveexec_b32 s40, s7
	s_xor_b32 s7, exec_lo, s40
; %bb.6565:                             ;   in Loop: Header=BB6_6467 Depth=2
	v_min_i32_e32 v17, 15, v18
	s_delay_alu instid0(VALU_DEP_1) | instskip(NEXT) | instid1(VALU_DEP_1)
	v_lshl_or_b32 v17, v17, 3, v31
                                        ; implicit-def: $vgpr31
	v_and_or_b32 v35, v16, 7, v17
; %bb.6566:                             ;   in Loop: Header=BB6_6467 Depth=2
	s_and_not1_saveexec_b32 s7, s7
; %bb.6567:                             ;   in Loop: Header=BB6_6467 Depth=2
	v_mov_b32_e32 v35, v31
; %bb.6568:                             ;   in Loop: Header=BB6_6467 Depth=2
	s_or_b32 exec_lo, exec_lo, s7
.LBB6_6569:                             ;   in Loop: Header=BB6_6467 Depth=2
	s_delay_alu instid0(SALU_CYCLE_1)
	s_or_b32 exec_lo, exec_lo, s29
                                        ; implicit-def: $vgpr31
.LBB6_6570:                             ;   in Loop: Header=BB6_6467 Depth=2
	s_and_not1_saveexec_b32 s7, s28
; %bb.6571:                             ;   in Loop: Header=BB6_6467 Depth=2
	v_or_b32_e32 v35, 0x7e, v31
; %bb.6572:                             ;   in Loop: Header=BB6_6467 Depth=2
	s_or_b32 exec_lo, exec_lo, s7
                                        ; implicit-def: $vgpr17
.LBB6_6573:                             ;   in Loop: Header=BB6_6467 Depth=2
	s_and_not1_saveexec_b32 s7, s27
; %bb.6574:                             ;   in Loop: Header=BB6_6467 Depth=2
	v_or_b32_e32 v35, 0x7f, v17
; %bb.6575:                             ;   in Loop: Header=BB6_6467 Depth=2
	s_or_b32 exec_lo, exec_lo, s7
	v_and_b32_e32 v18, 0xff, v62
	v_dual_mov_b32 v16, 0 :: v_dual_mov_b32 v17, 0
	s_mov_b32 s7, exec_lo
	s_delay_alu instid0(VALU_DEP_2)
	v_cmpx_ne_u16_e32 0, v18
	s_cbranch_execz .LBB6_6583
; %bb.6576:                             ;   in Loop: Header=BB6_6467 Depth=2
	v_bfrev_b32_e32 v17, 1
	s_mov_b32 s27, exec_lo
	v_cmpx_ne_u16_e32 0x80, v18
	s_cbranch_execz .LBB6_6582
; %bb.6577:                             ;   in Loop: Header=BB6_6467 Depth=2
	v_and_b32_e32 v19, 0x7f, v62
	v_mov_b32_e32 v17, 0x7f800001
	s_mov_b32 s28, exec_lo
	s_delay_alu instid0(VALU_DEP_2)
	v_cmpx_ne_u32_e32 0x7f, v19
	s_cbranch_execz .LBB6_6581
; %bb.6578:                             ;   in Loop: Header=BB6_6467 Depth=2
	v_dual_lshrrev_b32 v17, 3, v19 :: v_dual_bitop2_b32 v86, 7, v18 bitop3:0x40
	s_mov_b32 s29, exec_lo
	v_cmpx_gt_u32_e32 8, v19
; %bb.6579:                             ;   in Loop: Header=BB6_6467 Depth=2
	s_delay_alu instid0(VALU_DEP_2) | instskip(NEXT) | instid1(VALU_DEP_1)
	v_clz_i32_u32_e32 v17, v86
	v_min_u32_e32 v17, 32, v17
	s_delay_alu instid0(VALU_DEP_1) | instskip(NEXT) | instid1(VALU_DEP_1)
	v_subrev_nc_u32_e32 v18, 28, v17
	v_lshlrev_b64_e32 v[18:19], v18, v[86:87]
	s_delay_alu instid0(VALU_DEP_1)
	v_dual_sub_nc_u32 v17, 29, v17 :: v_dual_bitop2_b32 v86, 7, v18 bitop3:0x40
; %bb.6580:                             ;   in Loop: Header=BB6_6467 Depth=2
	s_or_b32 exec_lo, exec_lo, s29
	v_lshlrev_b32_e32 v18, 24, v62
	s_delay_alu instid0(VALU_DEP_2) | instskip(NEXT) | instid1(VALU_DEP_3)
	v_lshlrev_b32_e32 v19, 20, v86
	v_lshl_add_u32 v17, v17, 23, 0x3c000000
	s_delay_alu instid0(VALU_DEP_3) | instskip(NEXT) | instid1(VALU_DEP_1)
	v_and_b32_e32 v18, 0x80000000, v18
	v_or3_b32 v17, v19, v18, v17
.LBB6_6581:                             ;   in Loop: Header=BB6_6467 Depth=2
	s_or_b32 exec_lo, exec_lo, s28
.LBB6_6582:                             ;   in Loop: Header=BB6_6467 Depth=2
	s_delay_alu instid0(SALU_CYCLE_1)
	s_or_b32 exec_lo, exec_lo, s27
.LBB6_6583:                             ;   in Loop: Header=BB6_6467 Depth=2
	s_delay_alu instid0(SALU_CYCLE_1) | instskip(SKIP_3) | instid1(VALU_DEP_1)
	s_or_b32 exec_lo, exec_lo, s7
	s_wait_loadcnt_dscnt 0x1c1c
	v_and_b32_e32 v18, 0xff, v38
	s_mov_b32 s7, exec_lo
	v_cmpx_ne_u16_e32 0, v18
	s_cbranch_execz .LBB6_6591
; %bb.6584:                             ;   in Loop: Header=BB6_6467 Depth=2
	v_bfrev_b32_e32 v16, 1
	s_mov_b32 s27, exec_lo
	v_cmpx_ne_u16_e32 0x80, v18
	s_cbranch_execz .LBB6_6590
; %bb.6585:                             ;   in Loop: Header=BB6_6467 Depth=2
	v_and_b32_e32 v19, 0x7f, v38
	v_mov_b32_e32 v16, 0x7f800001
	s_mov_b32 s28, exec_lo
	s_delay_alu instid0(VALU_DEP_2)
	v_cmpx_ne_u32_e32 0x7f, v19
	s_cbranch_execz .LBB6_6589
; %bb.6586:                             ;   in Loop: Header=BB6_6467 Depth=2
	v_dual_lshrrev_b32 v16, 3, v19 :: v_dual_bitop2_b32 v86, 7, v18 bitop3:0x40
	s_mov_b32 s29, exec_lo
	v_cmpx_gt_u32_e32 8, v19
; %bb.6587:                             ;   in Loop: Header=BB6_6467 Depth=2
	s_delay_alu instid0(VALU_DEP_2) | instskip(NEXT) | instid1(VALU_DEP_1)
	v_clz_i32_u32_e32 v16, v86
	v_min_u32_e32 v16, 32, v16
	s_delay_alu instid0(VALU_DEP_1) | instskip(NEXT) | instid1(VALU_DEP_1)
	v_subrev_nc_u32_e32 v18, 28, v16
	v_lshlrev_b64_e32 v[18:19], v18, v[86:87]
	s_delay_alu instid0(VALU_DEP_1)
	v_dual_sub_nc_u32 v16, 29, v16 :: v_dual_bitop2_b32 v86, 7, v18 bitop3:0x40
; %bb.6588:                             ;   in Loop: Header=BB6_6467 Depth=2
	s_or_b32 exec_lo, exec_lo, s29
	v_lshlrev_b32_e32 v18, 24, v38
	s_delay_alu instid0(VALU_DEP_2) | instskip(NEXT) | instid1(VALU_DEP_3)
	v_lshlrev_b32_e32 v19, 20, v86
	v_lshl_add_u32 v16, v16, 23, 0x3c000000
	s_delay_alu instid0(VALU_DEP_3) | instskip(NEXT) | instid1(VALU_DEP_1)
	v_and_b32_e32 v18, 0x80000000, v18
	v_or3_b32 v16, v19, v18, v16
.LBB6_6589:                             ;   in Loop: Header=BB6_6467 Depth=2
	s_or_b32 exec_lo, exec_lo, s28
.LBB6_6590:                             ;   in Loop: Header=BB6_6467 Depth=2
	s_delay_alu instid0(SALU_CYCLE_1)
	s_or_b32 exec_lo, exec_lo, s27
.LBB6_6591:                             ;   in Loop: Header=BB6_6467 Depth=2
	s_delay_alu instid0(SALU_CYCLE_1) | instskip(NEXT) | instid1(VALU_DEP_1)
	s_or_b32 exec_lo, exec_lo, s7
	v_mul_f32_e32 v16, v17, v16
                                        ; implicit-def: $vgpr38
	s_mov_b32 s7, exec_lo
	s_delay_alu instid0(VALU_DEP_1) | instskip(SKIP_1) | instid1(VALU_DEP_2)
	v_and_b32_e32 v86, 0x7f800000, v16
	v_lshrrev_b32_e32 v17, 24, v16
	v_cmpx_ne_u64_e32 0x7f800000, v[86:87]
	s_xor_b32 s27, exec_lo, s7
	s_cbranch_execz .LBB6_6609
; %bb.6592:                             ;   in Loop: Header=BB6_6467 Depth=2
	v_and_b32_e32 v86, 0x7fffffff, v16
	v_and_b32_e32 v31, 0x80, v17
                                        ; implicit-def: $vgpr38
	s_mov_b32 s7, exec_lo
	s_delay_alu instid0(VALU_DEP_2)
	v_cmpx_gt_u64_e32 0x43e00001, v[86:87]
	s_xor_b32 s28, exec_lo, s7
	s_cbranch_execz .LBB6_6606
; %bb.6593:                             ;   in Loop: Header=BB6_6467 Depth=2
	v_mov_b32_e32 v38, 0
	s_mov_b32 s29, exec_lo
	v_cmpx_ne_u32_e32 0, v16
	s_cbranch_execz .LBB6_6605
; %bb.6594:                             ;   in Loop: Header=BB6_6467 Depth=2
	v_bfe_u32 v38, v16, 23, 8
	v_and_b32_e32 v17, 0x7fffff, v16
	s_delay_alu instid0(VALU_DEP_2) | instskip(SKIP_2) | instid1(VALU_DEP_4)
	v_cmp_gt_u32_e64 s7, 0x7a, v38
	v_sub_nc_u32_e32 v16, 0x79, v38
	v_cmp_eq_u32_e32 vcc_lo, 0, v38
	v_or_b32_e32 v18, 0x800000, v17
	s_delay_alu instid0(VALU_DEP_1) | instskip(NEXT) | instid1(VALU_DEP_1)
	v_dual_cndmask_b32 v16, 0, v16, s7 :: v_dual_cndmask_b32 v86, v18, v17, vcc_lo
	v_cndmask_b32_e64 v54, v16, 0x78, vcc_lo
	s_delay_alu instid0(VALU_DEP_1) | instskip(NEXT) | instid1(VALU_DEP_1)
	v_dual_add_nc_u32 v16, 20, v54 :: v_dual_add_nc_u32 v18, 19, v54
	v_lshlrev_b64_e64 v[16:17], v16, -1
	s_delay_alu instid0(VALU_DEP_2) | instskip(NEXT) | instid1(VALU_DEP_2)
	v_lshlrev_b64_e64 v[18:19], v18, 1
	v_bfi_b32 v17, v17, 0, 0
	s_delay_alu instid0(VALU_DEP_3) | instskip(NEXT) | instid1(VALU_DEP_1)
	v_bfi_b32 v16, v16, 0, v86
	v_cmp_eq_u64_e64 s7, v[16:17], v[18:19]
	v_lshrrev_b64 v[16:17], v54, v[86:87]
	s_delay_alu instid0(VALU_DEP_1)
	v_mov_b64_e32 v[18:19], v[16:17]
	s_and_saveexec_b32 s40, s7
; %bb.6595:                             ;   in Loop: Header=BB6_6467 Depth=2
	v_bfe_u32 v86, v16, 20, 1
	s_delay_alu instid0(VALU_DEP_1) | instskip(NEXT) | instid1(VALU_DEP_1)
	v_add_nc_u64_e32 v[18:19], v[16:17], v[86:87]
	v_add_nc_u64_e32 v[18:19], -1, v[18:19]
; %bb.6596:                             ;   in Loop: Header=BB6_6467 Depth=2
	s_or_b32 exec_lo, exec_lo, s40
	v_add_nc_u32_e32 v17, 0xffffff81, v38
	v_lshrrev_b32_e32 v19, 23, v16
	s_mov_b32 s7, exec_lo
	s_delay_alu instid0(VALU_DEP_2) | instskip(NEXT) | instid1(VALU_DEP_1)
	v_cndmask_b32_e64 v17, v17, 0xffffff82, vcc_lo
	v_add3_u32 v19, v54, v17, v19
	v_and_b32_e32 v17, 0xfffff, v18
                                        ; implicit-def: $vgpr18
	s_delay_alu instid0(VALU_DEP_1) | instskip(NEXT) | instid1(VALU_DEP_1)
	v_dual_add_nc_u32 v38, 6, v19 :: v_dual_add_nc_u32 v86, v17, v16
                                        ; implicit-def: $vgpr16_vgpr17
	v_cmpx_ne_u32_e32 0, v38
	s_xor_b32 s7, exec_lo, s7
; %bb.6597:                             ;   in Loop: Header=BB6_6467 Depth=2
	s_delay_alu instid0(VALU_DEP_2) | instskip(SKIP_1) | instid1(VALU_DEP_1)
	v_cmp_lt_u64_e32 vcc_lo, 0xffffff, v[86:87]
	v_add_nc_u32_e32 v16, 7, v19
	v_cndmask_b32_e32 v18, v38, v16, vcc_lo
	v_cndmask_b32_e64 v16, 0, 1, vcc_lo
	s_delay_alu instid0(VALU_DEP_1)
	v_lshrrev_b64 v[16:17], v16, v[86:87]
; %bb.6598:                             ;   in Loop: Header=BB6_6467 Depth=2
	s_and_not1_saveexec_b32 s7, s7
; %bb.6599:                             ;   in Loop: Header=BB6_6467 Depth=2
	v_mov_b64_e32 v[16:17], v[86:87]
	v_bfe_u32 v18, v86, 23, 1
; %bb.6600:                             ;   in Loop: Header=BB6_6467 Depth=2
	s_or_b32 exec_lo, exec_lo, s7
	s_delay_alu instid0(VALU_DEP_2) | instskip(NEXT) | instid1(VALU_DEP_2)
	v_lshrrev_b64 v[16:17], 20, v[16:17]
	v_cmp_gt_i32_e32 vcc_lo, 16, v18
	v_cmp_ne_u32_e64 s7, 0, v18
                                        ; implicit-def: $vgpr38
	s_delay_alu instid0(VALU_DEP_3) | instskip(NEXT) | instid1(VALU_DEP_1)
	v_dual_cndmask_b32 v17, 0, v17 :: v_dual_cndmask_b32 v16, 7, v16
	v_cmp_ne_u64_e32 vcc_lo, 0, v[16:17]
	s_or_b32 s7, s7, vcc_lo
	s_delay_alu instid0(SALU_CYCLE_1) | instskip(NEXT) | instid1(SALU_CYCLE_1)
	s_and_saveexec_b32 s40, s7
	s_xor_b32 s7, exec_lo, s40
; %bb.6601:                             ;   in Loop: Header=BB6_6467 Depth=2
	v_min_i32_e32 v17, 15, v18
	s_delay_alu instid0(VALU_DEP_1) | instskip(NEXT) | instid1(VALU_DEP_1)
	v_lshl_or_b32 v17, v17, 3, v31
                                        ; implicit-def: $vgpr31
	v_and_or_b32 v38, v16, 7, v17
; %bb.6602:                             ;   in Loop: Header=BB6_6467 Depth=2
	s_and_not1_saveexec_b32 s7, s7
; %bb.6603:                             ;   in Loop: Header=BB6_6467 Depth=2
	v_mov_b32_e32 v38, v31
; %bb.6604:                             ;   in Loop: Header=BB6_6467 Depth=2
	s_or_b32 exec_lo, exec_lo, s7
.LBB6_6605:                             ;   in Loop: Header=BB6_6467 Depth=2
	s_delay_alu instid0(SALU_CYCLE_1)
	s_or_b32 exec_lo, exec_lo, s29
                                        ; implicit-def: $vgpr31
.LBB6_6606:                             ;   in Loop: Header=BB6_6467 Depth=2
	s_and_not1_saveexec_b32 s7, s28
; %bb.6607:                             ;   in Loop: Header=BB6_6467 Depth=2
	v_or_b32_e32 v38, 0x7e, v31
; %bb.6608:                             ;   in Loop: Header=BB6_6467 Depth=2
	s_or_b32 exec_lo, exec_lo, s7
                                        ; implicit-def: $vgpr17
.LBB6_6609:                             ;   in Loop: Header=BB6_6467 Depth=2
	s_and_not1_saveexec_b32 s7, s27
; %bb.6610:                             ;   in Loop: Header=BB6_6467 Depth=2
	v_or_b32_e32 v38, 0x7f, v17
; %bb.6611:                             ;   in Loop: Header=BB6_6467 Depth=2
	s_or_b32 exec_lo, exec_lo, s7
	v_and_b32_e32 v18, 0xff, v123
	v_dual_mov_b32 v16, 0 :: v_dual_mov_b32 v17, 0
	s_mov_b32 s7, exec_lo
	s_delay_alu instid0(VALU_DEP_2)
	v_cmpx_ne_u16_e32 0, v18
	s_cbranch_execz .LBB6_6619
; %bb.6612:                             ;   in Loop: Header=BB6_6467 Depth=2
	v_bfrev_b32_e32 v17, 1
	s_mov_b32 s27, exec_lo
	v_cmpx_ne_u16_e32 0x80, v18
	s_cbranch_execz .LBB6_6618
; %bb.6613:                             ;   in Loop: Header=BB6_6467 Depth=2
	v_and_b32_e32 v19, 0x7f, v123
	v_mov_b32_e32 v17, 0x7f800001
	s_mov_b32 s28, exec_lo
	s_delay_alu instid0(VALU_DEP_2)
	v_cmpx_ne_u32_e32 0x7f, v19
	s_cbranch_execz .LBB6_6617
; %bb.6614:                             ;   in Loop: Header=BB6_6467 Depth=2
	v_dual_lshrrev_b32 v17, 3, v19 :: v_dual_bitop2_b32 v86, 7, v18 bitop3:0x40
	s_mov_b32 s29, exec_lo
	v_cmpx_gt_u32_e32 8, v19
; %bb.6615:                             ;   in Loop: Header=BB6_6467 Depth=2
	s_delay_alu instid0(VALU_DEP_2) | instskip(NEXT) | instid1(VALU_DEP_1)
	v_clz_i32_u32_e32 v17, v86
	v_min_u32_e32 v17, 32, v17
	s_delay_alu instid0(VALU_DEP_1) | instskip(NEXT) | instid1(VALU_DEP_1)
	v_subrev_nc_u32_e32 v18, 28, v17
	v_lshlrev_b64_e32 v[18:19], v18, v[86:87]
	s_delay_alu instid0(VALU_DEP_1)
	v_dual_sub_nc_u32 v17, 29, v17 :: v_dual_bitop2_b32 v86, 7, v18 bitop3:0x40
; %bb.6616:                             ;   in Loop: Header=BB6_6467 Depth=2
	s_or_b32 exec_lo, exec_lo, s29
	s_delay_alu instid0(VALU_DEP_1) | instskip(NEXT) | instid1(VALU_DEP_2)
	v_dual_lshlrev_b32 v18, 24, v123 :: v_dual_lshlrev_b32 v19, 20, v86
	v_lshl_add_u32 v17, v17, 23, 0x3c000000
	s_delay_alu instid0(VALU_DEP_2) | instskip(NEXT) | instid1(VALU_DEP_1)
	v_and_b32_e32 v18, 0x80000000, v18
	v_or3_b32 v17, v19, v18, v17
.LBB6_6617:                             ;   in Loop: Header=BB6_6467 Depth=2
	s_or_b32 exec_lo, exec_lo, s28
.LBB6_6618:                             ;   in Loop: Header=BB6_6467 Depth=2
	s_delay_alu instid0(SALU_CYCLE_1)
	s_or_b32 exec_lo, exec_lo, s27
.LBB6_6619:                             ;   in Loop: Header=BB6_6467 Depth=2
	s_delay_alu instid0(SALU_CYCLE_1) | instskip(SKIP_3) | instid1(VALU_DEP_1)
	s_or_b32 exec_lo, exec_lo, s7
	s_wait_loadcnt_dscnt 0x1b1b
	v_and_b32_e32 v18, 0xff, v49
	s_mov_b32 s7, exec_lo
	v_cmpx_ne_u16_e32 0, v18
	s_cbranch_execz .LBB6_6627
; %bb.6620:                             ;   in Loop: Header=BB6_6467 Depth=2
	v_bfrev_b32_e32 v16, 1
	s_mov_b32 s27, exec_lo
	v_cmpx_ne_u16_e32 0x80, v18
	s_cbranch_execz .LBB6_6626
; %bb.6621:                             ;   in Loop: Header=BB6_6467 Depth=2
	v_and_b32_e32 v19, 0x7f, v49
	v_mov_b32_e32 v16, 0x7f800001
	s_mov_b32 s28, exec_lo
	s_delay_alu instid0(VALU_DEP_2)
	v_cmpx_ne_u32_e32 0x7f, v19
	s_cbranch_execz .LBB6_6625
; %bb.6622:                             ;   in Loop: Header=BB6_6467 Depth=2
	v_dual_lshrrev_b32 v16, 3, v19 :: v_dual_bitop2_b32 v86, 7, v18 bitop3:0x40
	s_mov_b32 s29, exec_lo
	v_cmpx_gt_u32_e32 8, v19
; %bb.6623:                             ;   in Loop: Header=BB6_6467 Depth=2
	s_delay_alu instid0(VALU_DEP_2) | instskip(NEXT) | instid1(VALU_DEP_1)
	v_clz_i32_u32_e32 v16, v86
	v_min_u32_e32 v16, 32, v16
	s_delay_alu instid0(VALU_DEP_1) | instskip(NEXT) | instid1(VALU_DEP_1)
	v_subrev_nc_u32_e32 v18, 28, v16
	v_lshlrev_b64_e32 v[18:19], v18, v[86:87]
	s_delay_alu instid0(VALU_DEP_1)
	v_dual_sub_nc_u32 v16, 29, v16 :: v_dual_bitop2_b32 v86, 7, v18 bitop3:0x40
; %bb.6624:                             ;   in Loop: Header=BB6_6467 Depth=2
	s_or_b32 exec_lo, exec_lo, s29
	s_delay_alu instid0(VALU_DEP_1) | instskip(NEXT) | instid1(VALU_DEP_2)
	v_dual_lshlrev_b32 v18, 24, v49 :: v_dual_lshlrev_b32 v19, 20, v86
	v_lshl_add_u32 v16, v16, 23, 0x3c000000
	s_delay_alu instid0(VALU_DEP_2) | instskip(NEXT) | instid1(VALU_DEP_1)
	v_and_b32_e32 v18, 0x80000000, v18
	v_or3_b32 v16, v19, v18, v16
.LBB6_6625:                             ;   in Loop: Header=BB6_6467 Depth=2
	s_or_b32 exec_lo, exec_lo, s28
.LBB6_6626:                             ;   in Loop: Header=BB6_6467 Depth=2
	s_delay_alu instid0(SALU_CYCLE_1)
	s_or_b32 exec_lo, exec_lo, s27
.LBB6_6627:                             ;   in Loop: Header=BB6_6467 Depth=2
	s_delay_alu instid0(SALU_CYCLE_1) | instskip(NEXT) | instid1(VALU_DEP_1)
	s_or_b32 exec_lo, exec_lo, s7
	v_mul_f32_e32 v16, v17, v16
                                        ; implicit-def: $vgpr49
	s_mov_b32 s7, exec_lo
	s_delay_alu instid0(VALU_DEP_1) | instskip(SKIP_1) | instid1(VALU_DEP_2)
	v_and_b32_e32 v86, 0x7f800000, v16
	v_lshrrev_b32_e32 v17, 24, v16
	v_cmpx_ne_u64_e32 0x7f800000, v[86:87]
	s_xor_b32 s27, exec_lo, s7
	s_cbranch_execz .LBB6_6645
; %bb.6628:                             ;   in Loop: Header=BB6_6467 Depth=2
	v_and_b32_e32 v86, 0x7fffffff, v16
	v_and_b32_e32 v31, 0x80, v17
                                        ; implicit-def: $vgpr49
	s_mov_b32 s7, exec_lo
	s_delay_alu instid0(VALU_DEP_2)
	v_cmpx_gt_u64_e32 0x43e00001, v[86:87]
	s_xor_b32 s28, exec_lo, s7
	s_cbranch_execz .LBB6_6642
; %bb.6629:                             ;   in Loop: Header=BB6_6467 Depth=2
	v_mov_b32_e32 v49, 0
	s_mov_b32 s29, exec_lo
	v_cmpx_ne_u32_e32 0, v16
	s_cbranch_execz .LBB6_6641
; %bb.6630:                             ;   in Loop: Header=BB6_6467 Depth=2
	v_bfe_u32 v49, v16, 23, 8
	v_and_b32_e32 v17, 0x7fffff, v16
	s_delay_alu instid0(VALU_DEP_2) | instskip(SKIP_2) | instid1(VALU_DEP_4)
	v_cmp_gt_u32_e64 s7, 0x7a, v49
	v_sub_nc_u32_e32 v16, 0x79, v49
	v_cmp_eq_u32_e32 vcc_lo, 0, v49
	v_or_b32_e32 v18, 0x800000, v17
	s_delay_alu instid0(VALU_DEP_1) | instskip(NEXT) | instid1(VALU_DEP_1)
	v_dual_cndmask_b32 v16, 0, v16, s7 :: v_dual_cndmask_b32 v86, v18, v17, vcc_lo
	v_cndmask_b32_e64 v54, v16, 0x78, vcc_lo
	s_delay_alu instid0(VALU_DEP_1) | instskip(NEXT) | instid1(VALU_DEP_1)
	v_dual_add_nc_u32 v16, 20, v54 :: v_dual_add_nc_u32 v18, 19, v54
	v_lshlrev_b64_e64 v[16:17], v16, -1
	s_delay_alu instid0(VALU_DEP_2) | instskip(NEXT) | instid1(VALU_DEP_2)
	v_lshlrev_b64_e64 v[18:19], v18, 1
	v_bfi_b32 v17, v17, 0, 0
	s_delay_alu instid0(VALU_DEP_3) | instskip(NEXT) | instid1(VALU_DEP_1)
	v_bfi_b32 v16, v16, 0, v86
	v_cmp_eq_u64_e64 s7, v[16:17], v[18:19]
	v_lshrrev_b64 v[16:17], v54, v[86:87]
	s_delay_alu instid0(VALU_DEP_1)
	v_mov_b64_e32 v[18:19], v[16:17]
	s_and_saveexec_b32 s40, s7
; %bb.6631:                             ;   in Loop: Header=BB6_6467 Depth=2
	v_bfe_u32 v86, v16, 20, 1
	s_delay_alu instid0(VALU_DEP_1) | instskip(NEXT) | instid1(VALU_DEP_1)
	v_add_nc_u64_e32 v[18:19], v[16:17], v[86:87]
	v_add_nc_u64_e32 v[18:19], -1, v[18:19]
; %bb.6632:                             ;   in Loop: Header=BB6_6467 Depth=2
	s_or_b32 exec_lo, exec_lo, s40
	v_add_nc_u32_e32 v17, 0xffffff81, v49
	v_lshrrev_b32_e32 v19, 23, v16
	s_mov_b32 s7, exec_lo
	s_delay_alu instid0(VALU_DEP_2) | instskip(NEXT) | instid1(VALU_DEP_1)
	v_cndmask_b32_e64 v17, v17, 0xffffff82, vcc_lo
	v_add3_u32 v19, v54, v17, v19
	v_and_b32_e32 v17, 0xfffff, v18
                                        ; implicit-def: $vgpr18
	s_delay_alu instid0(VALU_DEP_1) | instskip(NEXT) | instid1(VALU_DEP_1)
	v_dual_add_nc_u32 v49, 6, v19 :: v_dual_add_nc_u32 v86, v17, v16
                                        ; implicit-def: $vgpr16_vgpr17
	v_cmpx_ne_u32_e32 0, v49
	s_xor_b32 s7, exec_lo, s7
; %bb.6633:                             ;   in Loop: Header=BB6_6467 Depth=2
	s_delay_alu instid0(VALU_DEP_2) | instskip(SKIP_1) | instid1(VALU_DEP_1)
	v_cmp_lt_u64_e32 vcc_lo, 0xffffff, v[86:87]
	v_add_nc_u32_e32 v16, 7, v19
	v_cndmask_b32_e32 v18, v49, v16, vcc_lo
	v_cndmask_b32_e64 v16, 0, 1, vcc_lo
	s_delay_alu instid0(VALU_DEP_1)
	v_lshrrev_b64 v[16:17], v16, v[86:87]
; %bb.6634:                             ;   in Loop: Header=BB6_6467 Depth=2
	s_and_not1_saveexec_b32 s7, s7
; %bb.6635:                             ;   in Loop: Header=BB6_6467 Depth=2
	v_mov_b64_e32 v[16:17], v[86:87]
	v_bfe_u32 v18, v86, 23, 1
; %bb.6636:                             ;   in Loop: Header=BB6_6467 Depth=2
	s_or_b32 exec_lo, exec_lo, s7
	s_delay_alu instid0(VALU_DEP_2) | instskip(NEXT) | instid1(VALU_DEP_2)
	v_lshrrev_b64 v[16:17], 20, v[16:17]
	v_cmp_gt_i32_e32 vcc_lo, 16, v18
	v_cmp_ne_u32_e64 s7, 0, v18
                                        ; implicit-def: $vgpr49
	s_delay_alu instid0(VALU_DEP_3) | instskip(NEXT) | instid1(VALU_DEP_1)
	v_dual_cndmask_b32 v17, 0, v17 :: v_dual_cndmask_b32 v16, 7, v16
	v_cmp_ne_u64_e32 vcc_lo, 0, v[16:17]
	s_or_b32 s7, s7, vcc_lo
	s_delay_alu instid0(SALU_CYCLE_1) | instskip(NEXT) | instid1(SALU_CYCLE_1)
	s_and_saveexec_b32 s40, s7
	s_xor_b32 s7, exec_lo, s40
; %bb.6637:                             ;   in Loop: Header=BB6_6467 Depth=2
	v_min_i32_e32 v17, 15, v18
	s_delay_alu instid0(VALU_DEP_1) | instskip(NEXT) | instid1(VALU_DEP_1)
	v_lshl_or_b32 v17, v17, 3, v31
                                        ; implicit-def: $vgpr31
	v_and_or_b32 v49, v16, 7, v17
; %bb.6638:                             ;   in Loop: Header=BB6_6467 Depth=2
	s_and_not1_saveexec_b32 s7, s7
; %bb.6639:                             ;   in Loop: Header=BB6_6467 Depth=2
	v_mov_b32_e32 v49, v31
; %bb.6640:                             ;   in Loop: Header=BB6_6467 Depth=2
	s_or_b32 exec_lo, exec_lo, s7
.LBB6_6641:                             ;   in Loop: Header=BB6_6467 Depth=2
	s_delay_alu instid0(SALU_CYCLE_1)
	s_or_b32 exec_lo, exec_lo, s29
                                        ; implicit-def: $vgpr31
.LBB6_6642:                             ;   in Loop: Header=BB6_6467 Depth=2
	s_and_not1_saveexec_b32 s7, s28
; %bb.6643:                             ;   in Loop: Header=BB6_6467 Depth=2
	v_or_b32_e32 v49, 0x7e, v31
; %bb.6644:                             ;   in Loop: Header=BB6_6467 Depth=2
	s_or_b32 exec_lo, exec_lo, s7
                                        ; implicit-def: $vgpr17
.LBB6_6645:                             ;   in Loop: Header=BB6_6467 Depth=2
	s_and_not1_saveexec_b32 s7, s27
; %bb.6646:                             ;   in Loop: Header=BB6_6467 Depth=2
	v_or_b32_e32 v49, 0x7f, v17
; %bb.6647:                             ;   in Loop: Header=BB6_6467 Depth=2
	s_or_b32 exec_lo, exec_lo, s7
	v_and_b32_e32 v18, 0xff, v72
	v_dual_mov_b32 v16, 0 :: v_dual_mov_b32 v17, 0
	s_mov_b32 s7, exec_lo
	s_delay_alu instid0(VALU_DEP_2)
	v_cmpx_ne_u16_e32 0, v18
	s_cbranch_execz .LBB6_6655
; %bb.6648:                             ;   in Loop: Header=BB6_6467 Depth=2
	v_bfrev_b32_e32 v17, 1
	s_mov_b32 s27, exec_lo
	v_cmpx_ne_u16_e32 0x80, v18
	s_cbranch_execz .LBB6_6654
; %bb.6649:                             ;   in Loop: Header=BB6_6467 Depth=2
	v_and_b32_e32 v19, 0x7f, v72
	v_mov_b32_e32 v17, 0x7f800001
	s_mov_b32 s28, exec_lo
	s_delay_alu instid0(VALU_DEP_2)
	v_cmpx_ne_u32_e32 0x7f, v19
	s_cbranch_execz .LBB6_6653
; %bb.6650:                             ;   in Loop: Header=BB6_6467 Depth=2
	v_dual_lshrrev_b32 v17, 3, v19 :: v_dual_bitop2_b32 v86, 7, v18 bitop3:0x40
	s_mov_b32 s29, exec_lo
	v_cmpx_gt_u32_e32 8, v19
; %bb.6651:                             ;   in Loop: Header=BB6_6467 Depth=2
	s_delay_alu instid0(VALU_DEP_2) | instskip(NEXT) | instid1(VALU_DEP_1)
	v_clz_i32_u32_e32 v17, v86
	v_min_u32_e32 v17, 32, v17
	s_delay_alu instid0(VALU_DEP_1) | instskip(NEXT) | instid1(VALU_DEP_1)
	v_subrev_nc_u32_e32 v18, 28, v17
	v_lshlrev_b64_e32 v[18:19], v18, v[86:87]
	s_delay_alu instid0(VALU_DEP_1)
	v_dual_sub_nc_u32 v17, 29, v17 :: v_dual_bitop2_b32 v86, 7, v18 bitop3:0x40
; %bb.6652:                             ;   in Loop: Header=BB6_6467 Depth=2
	s_or_b32 exec_lo, exec_lo, s29
	s_delay_alu instid0(VALU_DEP_1) | instskip(NEXT) | instid1(VALU_DEP_2)
	v_dual_lshlrev_b32 v18, 24, v72 :: v_dual_lshlrev_b32 v19, 20, v86
	v_lshl_add_u32 v17, v17, 23, 0x3c000000
	s_delay_alu instid0(VALU_DEP_2) | instskip(NEXT) | instid1(VALU_DEP_1)
	v_and_b32_e32 v18, 0x80000000, v18
	v_or3_b32 v17, v19, v18, v17
.LBB6_6653:                             ;   in Loop: Header=BB6_6467 Depth=2
	s_or_b32 exec_lo, exec_lo, s28
.LBB6_6654:                             ;   in Loop: Header=BB6_6467 Depth=2
	s_delay_alu instid0(SALU_CYCLE_1)
	s_or_b32 exec_lo, exec_lo, s27
.LBB6_6655:                             ;   in Loop: Header=BB6_6467 Depth=2
	s_delay_alu instid0(SALU_CYCLE_1) | instskip(SKIP_3) | instid1(VALU_DEP_1)
	s_or_b32 exec_lo, exec_lo, s7
	s_wait_loadcnt_dscnt 0x1a1a
	v_and_b32_e32 v18, 0xff, v118
	s_mov_b32 s7, exec_lo
	v_cmpx_ne_u16_e32 0, v18
	s_cbranch_execz .LBB6_6663
; %bb.6656:                             ;   in Loop: Header=BB6_6467 Depth=2
	v_bfrev_b32_e32 v16, 1
	s_mov_b32 s27, exec_lo
	v_cmpx_ne_u16_e32 0x80, v18
	s_cbranch_execz .LBB6_6662
; %bb.6657:                             ;   in Loop: Header=BB6_6467 Depth=2
	v_and_b32_e32 v19, 0x7f, v118
	v_mov_b32_e32 v16, 0x7f800001
	s_mov_b32 s28, exec_lo
	s_delay_alu instid0(VALU_DEP_2)
	v_cmpx_ne_u32_e32 0x7f, v19
	s_cbranch_execz .LBB6_6661
; %bb.6658:                             ;   in Loop: Header=BB6_6467 Depth=2
	v_dual_lshrrev_b32 v16, 3, v19 :: v_dual_bitop2_b32 v86, 7, v18 bitop3:0x40
	s_mov_b32 s29, exec_lo
	v_cmpx_gt_u32_e32 8, v19
; %bb.6659:                             ;   in Loop: Header=BB6_6467 Depth=2
	s_delay_alu instid0(VALU_DEP_2) | instskip(NEXT) | instid1(VALU_DEP_1)
	v_clz_i32_u32_e32 v16, v86
	v_min_u32_e32 v16, 32, v16
	s_delay_alu instid0(VALU_DEP_1) | instskip(NEXT) | instid1(VALU_DEP_1)
	v_subrev_nc_u32_e32 v18, 28, v16
	v_lshlrev_b64_e32 v[18:19], v18, v[86:87]
	s_delay_alu instid0(VALU_DEP_1)
	v_dual_sub_nc_u32 v16, 29, v16 :: v_dual_bitop2_b32 v86, 7, v18 bitop3:0x40
; %bb.6660:                             ;   in Loop: Header=BB6_6467 Depth=2
	s_or_b32 exec_lo, exec_lo, s29
	v_lshlrev_b32_e32 v18, 24, v118
	s_delay_alu instid0(VALU_DEP_2) | instskip(NEXT) | instid1(VALU_DEP_3)
	v_lshlrev_b32_e32 v19, 20, v86
	v_lshl_add_u32 v16, v16, 23, 0x3c000000
	s_delay_alu instid0(VALU_DEP_3) | instskip(NEXT) | instid1(VALU_DEP_1)
	v_and_b32_e32 v18, 0x80000000, v18
	v_or3_b32 v16, v19, v18, v16
.LBB6_6661:                             ;   in Loop: Header=BB6_6467 Depth=2
	s_or_b32 exec_lo, exec_lo, s28
.LBB6_6662:                             ;   in Loop: Header=BB6_6467 Depth=2
	s_delay_alu instid0(SALU_CYCLE_1)
	s_or_b32 exec_lo, exec_lo, s27
.LBB6_6663:                             ;   in Loop: Header=BB6_6467 Depth=2
	s_delay_alu instid0(SALU_CYCLE_1) | instskip(NEXT) | instid1(VALU_DEP_1)
	s_or_b32 exec_lo, exec_lo, s7
	v_mul_f32_e32 v16, v17, v16
                                        ; implicit-def: $vgpr118
	s_mov_b32 s7, exec_lo
	s_delay_alu instid0(VALU_DEP_1) | instskip(SKIP_1) | instid1(VALU_DEP_2)
	v_and_b32_e32 v86, 0x7f800000, v16
	v_lshrrev_b32_e32 v17, 24, v16
	v_cmpx_ne_u64_e32 0x7f800000, v[86:87]
	s_xor_b32 s27, exec_lo, s7
	s_cbranch_execz .LBB6_6681
; %bb.6664:                             ;   in Loop: Header=BB6_6467 Depth=2
	v_and_b32_e32 v86, 0x7fffffff, v16
	v_and_b32_e32 v31, 0x80, v17
                                        ; implicit-def: $vgpr118
	s_mov_b32 s7, exec_lo
	s_delay_alu instid0(VALU_DEP_2)
	v_cmpx_gt_u64_e32 0x43e00001, v[86:87]
	s_xor_b32 s28, exec_lo, s7
	s_cbranch_execz .LBB6_6678
; %bb.6665:                             ;   in Loop: Header=BB6_6467 Depth=2
	v_mov_b32_e32 v118, 0
	s_mov_b32 s29, exec_lo
	v_cmpx_ne_u32_e32 0, v16
	s_cbranch_execz .LBB6_6677
; %bb.6666:                             ;   in Loop: Header=BB6_6467 Depth=2
	v_bfe_u32 v54, v16, 23, 8
	v_and_b32_e32 v17, 0x7fffff, v16
	s_delay_alu instid0(VALU_DEP_2) | instskip(SKIP_2) | instid1(VALU_DEP_4)
	v_cmp_gt_u32_e64 s7, 0x7a, v54
	v_sub_nc_u32_e32 v16, 0x79, v54
	v_cmp_eq_u32_e32 vcc_lo, 0, v54
	v_or_b32_e32 v18, 0x800000, v17
	s_delay_alu instid0(VALU_DEP_1) | instskip(NEXT) | instid1(VALU_DEP_1)
	v_dual_cndmask_b32 v16, 0, v16, s7 :: v_dual_cndmask_b32 v86, v18, v17, vcc_lo
	v_cndmask_b32_e64 v55, v16, 0x78, vcc_lo
	s_delay_alu instid0(VALU_DEP_1) | instskip(NEXT) | instid1(VALU_DEP_1)
	v_dual_add_nc_u32 v16, 20, v55 :: v_dual_add_nc_u32 v18, 19, v55
	v_lshlrev_b64_e64 v[16:17], v16, -1
	s_delay_alu instid0(VALU_DEP_2) | instskip(NEXT) | instid1(VALU_DEP_2)
	v_lshlrev_b64_e64 v[18:19], v18, 1
	v_bfi_b32 v17, v17, 0, 0
	s_delay_alu instid0(VALU_DEP_3) | instskip(NEXT) | instid1(VALU_DEP_1)
	v_bfi_b32 v16, v16, 0, v86
	v_cmp_eq_u64_e64 s7, v[16:17], v[18:19]
	v_lshrrev_b64 v[16:17], v55, v[86:87]
	s_delay_alu instid0(VALU_DEP_1)
	v_mov_b64_e32 v[18:19], v[16:17]
	s_and_saveexec_b32 s40, s7
; %bb.6667:                             ;   in Loop: Header=BB6_6467 Depth=2
	v_bfe_u32 v86, v16, 20, 1
	s_delay_alu instid0(VALU_DEP_1) | instskip(NEXT) | instid1(VALU_DEP_1)
	v_add_nc_u64_e32 v[18:19], v[16:17], v[86:87]
	v_add_nc_u64_e32 v[18:19], -1, v[18:19]
; %bb.6668:                             ;   in Loop: Header=BB6_6467 Depth=2
	s_or_b32 exec_lo, exec_lo, s40
	v_add_nc_u32_e32 v17, 0xffffff81, v54
	v_lshrrev_b32_e32 v19, 23, v16
	s_mov_b32 s7, exec_lo
	s_delay_alu instid0(VALU_DEP_2) | instskip(NEXT) | instid1(VALU_DEP_1)
	v_cndmask_b32_e64 v17, v17, 0xffffff82, vcc_lo
	v_add3_u32 v19, v55, v17, v19
	v_and_b32_e32 v17, 0xfffff, v18
                                        ; implicit-def: $vgpr18
	s_delay_alu instid0(VALU_DEP_1) | instskip(NEXT) | instid1(VALU_DEP_1)
	v_dual_add_nc_u32 v54, 6, v19 :: v_dual_add_nc_u32 v86, v17, v16
                                        ; implicit-def: $vgpr16_vgpr17
	v_cmpx_ne_u32_e32 0, v54
	s_xor_b32 s7, exec_lo, s7
; %bb.6669:                             ;   in Loop: Header=BB6_6467 Depth=2
	s_delay_alu instid0(VALU_DEP_2) | instskip(SKIP_1) | instid1(VALU_DEP_1)
	v_cmp_lt_u64_e32 vcc_lo, 0xffffff, v[86:87]
	v_add_nc_u32_e32 v16, 7, v19
	v_cndmask_b32_e32 v18, v54, v16, vcc_lo
	v_cndmask_b32_e64 v16, 0, 1, vcc_lo
	s_delay_alu instid0(VALU_DEP_1)
	v_lshrrev_b64 v[16:17], v16, v[86:87]
; %bb.6670:                             ;   in Loop: Header=BB6_6467 Depth=2
	s_and_not1_saveexec_b32 s7, s7
; %bb.6671:                             ;   in Loop: Header=BB6_6467 Depth=2
	v_mov_b64_e32 v[16:17], v[86:87]
	v_bfe_u32 v18, v86, 23, 1
; %bb.6672:                             ;   in Loop: Header=BB6_6467 Depth=2
	s_or_b32 exec_lo, exec_lo, s7
	s_delay_alu instid0(VALU_DEP_2) | instskip(NEXT) | instid1(VALU_DEP_2)
	v_lshrrev_b64 v[16:17], 20, v[16:17]
	v_cmp_gt_i32_e32 vcc_lo, 16, v18
	v_cmp_ne_u32_e64 s7, 0, v18
                                        ; implicit-def: $vgpr118
	s_delay_alu instid0(VALU_DEP_3) | instskip(NEXT) | instid1(VALU_DEP_1)
	v_dual_cndmask_b32 v17, 0, v17 :: v_dual_cndmask_b32 v16, 7, v16
	v_cmp_ne_u64_e32 vcc_lo, 0, v[16:17]
	s_or_b32 s7, s7, vcc_lo
	s_delay_alu instid0(SALU_CYCLE_1) | instskip(NEXT) | instid1(SALU_CYCLE_1)
	s_and_saveexec_b32 s40, s7
	s_xor_b32 s7, exec_lo, s40
; %bb.6673:                             ;   in Loop: Header=BB6_6467 Depth=2
	v_min_i32_e32 v17, 15, v18
	s_delay_alu instid0(VALU_DEP_1) | instskip(NEXT) | instid1(VALU_DEP_1)
	v_lshl_or_b32 v17, v17, 3, v31
                                        ; implicit-def: $vgpr31
	v_and_or_b32 v118, v16, 7, v17
; %bb.6674:                             ;   in Loop: Header=BB6_6467 Depth=2
	s_and_not1_saveexec_b32 s7, s7
; %bb.6675:                             ;   in Loop: Header=BB6_6467 Depth=2
	v_mov_b32_e32 v118, v31
; %bb.6676:                             ;   in Loop: Header=BB6_6467 Depth=2
	s_or_b32 exec_lo, exec_lo, s7
.LBB6_6677:                             ;   in Loop: Header=BB6_6467 Depth=2
	s_delay_alu instid0(SALU_CYCLE_1)
	s_or_b32 exec_lo, exec_lo, s29
                                        ; implicit-def: $vgpr31
.LBB6_6678:                             ;   in Loop: Header=BB6_6467 Depth=2
	s_and_not1_saveexec_b32 s7, s28
; %bb.6679:                             ;   in Loop: Header=BB6_6467 Depth=2
	v_or_b32_e32 v118, 0x7e, v31
; %bb.6680:                             ;   in Loop: Header=BB6_6467 Depth=2
	s_or_b32 exec_lo, exec_lo, s7
                                        ; implicit-def: $vgpr17
.LBB6_6681:                             ;   in Loop: Header=BB6_6467 Depth=2
	s_and_not1_saveexec_b32 s7, s27
; %bb.6682:                             ;   in Loop: Header=BB6_6467 Depth=2
	v_or_b32_e32 v118, 0x7f, v17
; %bb.6683:                             ;   in Loop: Header=BB6_6467 Depth=2
	s_or_b32 exec_lo, exec_lo, s7
	v_and_b32_e32 v18, 0xff, v122
	v_dual_mov_b32 v16, 0 :: v_dual_mov_b32 v17, 0
	s_mov_b32 s7, exec_lo
	s_delay_alu instid0(VALU_DEP_2)
	v_cmpx_ne_u16_e32 0, v18
	s_cbranch_execz .LBB6_6691
; %bb.6684:                             ;   in Loop: Header=BB6_6467 Depth=2
	v_bfrev_b32_e32 v17, 1
	s_mov_b32 s27, exec_lo
	v_cmpx_ne_u16_e32 0x80, v18
	s_cbranch_execz .LBB6_6690
; %bb.6685:                             ;   in Loop: Header=BB6_6467 Depth=2
	v_and_b32_e32 v19, 0x7f, v122
	v_mov_b32_e32 v17, 0x7f800001
	s_mov_b32 s28, exec_lo
	s_delay_alu instid0(VALU_DEP_2)
	v_cmpx_ne_u32_e32 0x7f, v19
	s_cbranch_execz .LBB6_6689
; %bb.6686:                             ;   in Loop: Header=BB6_6467 Depth=2
	v_dual_lshrrev_b32 v17, 3, v19 :: v_dual_bitop2_b32 v86, 7, v18 bitop3:0x40
	s_mov_b32 s29, exec_lo
	v_cmpx_gt_u32_e32 8, v19
; %bb.6687:                             ;   in Loop: Header=BB6_6467 Depth=2
	s_delay_alu instid0(VALU_DEP_2) | instskip(NEXT) | instid1(VALU_DEP_1)
	v_clz_i32_u32_e32 v17, v86
	v_min_u32_e32 v17, 32, v17
	s_delay_alu instid0(VALU_DEP_1) | instskip(NEXT) | instid1(VALU_DEP_1)
	v_subrev_nc_u32_e32 v18, 28, v17
	v_lshlrev_b64_e32 v[18:19], v18, v[86:87]
	s_delay_alu instid0(VALU_DEP_1)
	v_dual_sub_nc_u32 v17, 29, v17 :: v_dual_bitop2_b32 v86, 7, v18 bitop3:0x40
; %bb.6688:                             ;   in Loop: Header=BB6_6467 Depth=2
	s_or_b32 exec_lo, exec_lo, s29
	v_lshlrev_b32_e32 v18, 24, v122
	s_delay_alu instid0(VALU_DEP_2) | instskip(NEXT) | instid1(VALU_DEP_3)
	v_lshlrev_b32_e32 v19, 20, v86
	v_lshl_add_u32 v17, v17, 23, 0x3c000000
	s_delay_alu instid0(VALU_DEP_3) | instskip(NEXT) | instid1(VALU_DEP_1)
	v_and_b32_e32 v18, 0x80000000, v18
	v_or3_b32 v17, v19, v18, v17
.LBB6_6689:                             ;   in Loop: Header=BB6_6467 Depth=2
	s_or_b32 exec_lo, exec_lo, s28
.LBB6_6690:                             ;   in Loop: Header=BB6_6467 Depth=2
	s_delay_alu instid0(SALU_CYCLE_1)
	s_or_b32 exec_lo, exec_lo, s27
.LBB6_6691:                             ;   in Loop: Header=BB6_6467 Depth=2
	s_delay_alu instid0(SALU_CYCLE_1) | instskip(SKIP_3) | instid1(VALU_DEP_1)
	s_or_b32 exec_lo, exec_lo, s7
	s_wait_loadcnt_dscnt 0x1919
	v_and_b32_e32 v18, 0xff, v41
	s_mov_b32 s7, exec_lo
	v_cmpx_ne_u16_e32 0, v18
	s_cbranch_execz .LBB6_6699
; %bb.6692:                             ;   in Loop: Header=BB6_6467 Depth=2
	v_bfrev_b32_e32 v16, 1
	s_mov_b32 s27, exec_lo
	v_cmpx_ne_u16_e32 0x80, v18
	s_cbranch_execz .LBB6_6698
; %bb.6693:                             ;   in Loop: Header=BB6_6467 Depth=2
	v_and_b32_e32 v19, 0x7f, v41
	v_mov_b32_e32 v16, 0x7f800001
	s_mov_b32 s28, exec_lo
	s_delay_alu instid0(VALU_DEP_2)
	v_cmpx_ne_u32_e32 0x7f, v19
	s_cbranch_execz .LBB6_6697
; %bb.6694:                             ;   in Loop: Header=BB6_6467 Depth=2
	v_dual_lshrrev_b32 v16, 3, v19 :: v_dual_bitop2_b32 v86, 7, v18 bitop3:0x40
	s_mov_b32 s29, exec_lo
	v_cmpx_gt_u32_e32 8, v19
; %bb.6695:                             ;   in Loop: Header=BB6_6467 Depth=2
	s_delay_alu instid0(VALU_DEP_2) | instskip(NEXT) | instid1(VALU_DEP_1)
	v_clz_i32_u32_e32 v16, v86
	v_min_u32_e32 v16, 32, v16
	s_delay_alu instid0(VALU_DEP_1) | instskip(NEXT) | instid1(VALU_DEP_1)
	v_subrev_nc_u32_e32 v18, 28, v16
	v_lshlrev_b64_e32 v[18:19], v18, v[86:87]
	s_delay_alu instid0(VALU_DEP_1)
	v_dual_sub_nc_u32 v16, 29, v16 :: v_dual_bitop2_b32 v86, 7, v18 bitop3:0x40
; %bb.6696:                             ;   in Loop: Header=BB6_6467 Depth=2
	s_or_b32 exec_lo, exec_lo, s29
	s_delay_alu instid0(VALU_DEP_1) | instskip(NEXT) | instid1(VALU_DEP_2)
	v_dual_lshlrev_b32 v18, 24, v41 :: v_dual_lshlrev_b32 v19, 20, v86
	v_lshl_add_u32 v16, v16, 23, 0x3c000000
	s_delay_alu instid0(VALU_DEP_2) | instskip(NEXT) | instid1(VALU_DEP_1)
	v_and_b32_e32 v18, 0x80000000, v18
	v_or3_b32 v16, v19, v18, v16
.LBB6_6697:                             ;   in Loop: Header=BB6_6467 Depth=2
	s_or_b32 exec_lo, exec_lo, s28
.LBB6_6698:                             ;   in Loop: Header=BB6_6467 Depth=2
	s_delay_alu instid0(SALU_CYCLE_1)
	s_or_b32 exec_lo, exec_lo, s27
.LBB6_6699:                             ;   in Loop: Header=BB6_6467 Depth=2
	s_delay_alu instid0(SALU_CYCLE_1) | instskip(NEXT) | instid1(VALU_DEP_1)
	s_or_b32 exec_lo, exec_lo, s7
	v_mul_f32_e32 v16, v17, v16
                                        ; implicit-def: $vgpr41
	s_mov_b32 s7, exec_lo
	s_delay_alu instid0(VALU_DEP_1) | instskip(SKIP_1) | instid1(VALU_DEP_2)
	v_and_b32_e32 v86, 0x7f800000, v16
	v_lshrrev_b32_e32 v17, 24, v16
	v_cmpx_ne_u64_e32 0x7f800000, v[86:87]
	s_xor_b32 s27, exec_lo, s7
	s_cbranch_execz .LBB6_6717
; %bb.6700:                             ;   in Loop: Header=BB6_6467 Depth=2
	v_and_b32_e32 v86, 0x7fffffff, v16
	v_and_b32_e32 v31, 0x80, v17
                                        ; implicit-def: $vgpr41
	s_mov_b32 s7, exec_lo
	s_delay_alu instid0(VALU_DEP_2)
	v_cmpx_gt_u64_e32 0x43e00001, v[86:87]
	s_xor_b32 s28, exec_lo, s7
	s_cbranch_execz .LBB6_6714
; %bb.6701:                             ;   in Loop: Header=BB6_6467 Depth=2
	v_mov_b32_e32 v41, 0
	s_mov_b32 s29, exec_lo
	v_cmpx_ne_u32_e32 0, v16
	s_cbranch_execz .LBB6_6713
; %bb.6702:                             ;   in Loop: Header=BB6_6467 Depth=2
	v_bfe_u32 v54, v16, 23, 8
	v_and_b32_e32 v18, 0x7fffff, v16
	s_delay_alu instid0(VALU_DEP_2) | instskip(SKIP_1) | instid1(VALU_DEP_3)
	v_sub_nc_u32_e32 v17, 0x79, v54
	v_cmp_gt_u32_e32 vcc_lo, 0x7a, v54
	v_or_b32_e32 v19, 0x800000, v18
	s_delay_alu instid0(VALU_DEP_3) | instskip(SKIP_1) | instid1(VALU_DEP_2)
	v_cndmask_b32_e32 v17, 0, v17, vcc_lo
	v_cmp_eq_u32_e32 vcc_lo, 0, v54
	v_cndmask_b32_e64 v55, v17, 0x78, vcc_lo
	s_delay_alu instid0(VALU_DEP_1) | instskip(SKIP_1) | instid1(VALU_DEP_2)
	v_dual_cndmask_b32 v86, v19, v18, vcc_lo :: v_dual_add_nc_u32 v66, 19, v55
	v_add_nc_u32_e32 v16, 20, v55
	v_lshlrev_b64_e64 v[18:19], v66, 1
	s_delay_alu instid0(VALU_DEP_2) | instskip(NEXT) | instid1(VALU_DEP_1)
	v_lshlrev_b64_e64 v[16:17], v16, -1
	v_bfi_b32 v103, v17, 0, 0
	s_delay_alu instid0(VALU_DEP_2) | instskip(SKIP_1) | instid1(VALU_DEP_2)
	v_bfi_b32 v102, v16, 0, v86
	v_lshrrev_b64 v[16:17], v55, v[86:87]
	v_cmp_eq_u64_e64 s7, v[102:103], v[18:19]
	s_delay_alu instid0(VALU_DEP_2)
	v_mov_b64_e32 v[18:19], v[16:17]
	s_and_saveexec_b32 s40, s7
; %bb.6703:                             ;   in Loop: Header=BB6_6467 Depth=2
	v_bfe_u32 v86, v16, 20, 1
	s_delay_alu instid0(VALU_DEP_1) | instskip(NEXT) | instid1(VALU_DEP_1)
	v_add_nc_u64_e32 v[18:19], v[16:17], v[86:87]
	v_add_nc_u64_e32 v[18:19], -1, v[18:19]
; %bb.6704:                             ;   in Loop: Header=BB6_6467 Depth=2
	s_or_b32 exec_lo, exec_lo, s40
	v_add_nc_u32_e32 v17, 0xffffff81, v54
	v_lshrrev_b32_e32 v19, 23, v16
	s_mov_b32 s7, exec_lo
	s_delay_alu instid0(VALU_DEP_2) | instskip(NEXT) | instid1(VALU_DEP_1)
	v_cndmask_b32_e64 v17, v17, 0xffffff82, vcc_lo
	v_add3_u32 v19, v55, v17, v19
	v_and_b32_e32 v17, 0xfffff, v18
                                        ; implicit-def: $vgpr18
	s_delay_alu instid0(VALU_DEP_1) | instskip(NEXT) | instid1(VALU_DEP_1)
	v_dual_add_nc_u32 v54, 6, v19 :: v_dual_add_nc_u32 v86, v17, v16
                                        ; implicit-def: $vgpr16_vgpr17
	v_cmpx_ne_u32_e32 0, v54
	s_xor_b32 s7, exec_lo, s7
; %bb.6705:                             ;   in Loop: Header=BB6_6467 Depth=2
	s_delay_alu instid0(VALU_DEP_2) | instskip(SKIP_1) | instid1(VALU_DEP_1)
	v_cmp_lt_u64_e32 vcc_lo, 0xffffff, v[86:87]
	v_add_nc_u32_e32 v16, 7, v19
	v_cndmask_b32_e32 v18, v54, v16, vcc_lo
	v_cndmask_b32_e64 v16, 0, 1, vcc_lo
	s_delay_alu instid0(VALU_DEP_1)
	v_lshrrev_b64 v[16:17], v16, v[86:87]
; %bb.6706:                             ;   in Loop: Header=BB6_6467 Depth=2
	s_and_not1_saveexec_b32 s7, s7
; %bb.6707:                             ;   in Loop: Header=BB6_6467 Depth=2
	v_mov_b64_e32 v[16:17], v[86:87]
	v_bfe_u32 v18, v86, 23, 1
; %bb.6708:                             ;   in Loop: Header=BB6_6467 Depth=2
	s_or_b32 exec_lo, exec_lo, s7
	s_delay_alu instid0(VALU_DEP_2) | instskip(NEXT) | instid1(VALU_DEP_2)
	v_lshrrev_b64 v[16:17], 20, v[16:17]
	v_cmp_gt_i32_e32 vcc_lo, 16, v18
	v_cmp_ne_u32_e64 s7, 0, v18
                                        ; implicit-def: $vgpr41
	s_delay_alu instid0(VALU_DEP_3) | instskip(NEXT) | instid1(VALU_DEP_1)
	v_dual_cndmask_b32 v17, 0, v17 :: v_dual_cndmask_b32 v16, 7, v16
	v_cmp_ne_u64_e32 vcc_lo, 0, v[16:17]
	s_or_b32 s7, s7, vcc_lo
	s_delay_alu instid0(SALU_CYCLE_1) | instskip(NEXT) | instid1(SALU_CYCLE_1)
	s_and_saveexec_b32 s40, s7
	s_xor_b32 s7, exec_lo, s40
; %bb.6709:                             ;   in Loop: Header=BB6_6467 Depth=2
	v_min_i32_e32 v17, 15, v18
	s_delay_alu instid0(VALU_DEP_1) | instskip(NEXT) | instid1(VALU_DEP_1)
	v_lshl_or_b32 v17, v17, 3, v31
                                        ; implicit-def: $vgpr31
	v_and_or_b32 v41, v16, 7, v17
; %bb.6710:                             ;   in Loop: Header=BB6_6467 Depth=2
	s_and_not1_saveexec_b32 s7, s7
; %bb.6711:                             ;   in Loop: Header=BB6_6467 Depth=2
	v_mov_b32_e32 v41, v31
; %bb.6712:                             ;   in Loop: Header=BB6_6467 Depth=2
	s_or_b32 exec_lo, exec_lo, s7
.LBB6_6713:                             ;   in Loop: Header=BB6_6467 Depth=2
	s_delay_alu instid0(SALU_CYCLE_1)
	s_or_b32 exec_lo, exec_lo, s29
                                        ; implicit-def: $vgpr31
.LBB6_6714:                             ;   in Loop: Header=BB6_6467 Depth=2
	s_and_not1_saveexec_b32 s7, s28
; %bb.6715:                             ;   in Loop: Header=BB6_6467 Depth=2
	v_or_b32_e32 v41, 0x7e, v31
; %bb.6716:                             ;   in Loop: Header=BB6_6467 Depth=2
	s_or_b32 exec_lo, exec_lo, s7
                                        ; implicit-def: $vgpr17
.LBB6_6717:                             ;   in Loop: Header=BB6_6467 Depth=2
	s_and_not1_saveexec_b32 s7, s27
; %bb.6718:                             ;   in Loop: Header=BB6_6467 Depth=2
	v_or_b32_e32 v41, 0x7f, v17
; %bb.6719:                             ;   in Loop: Header=BB6_6467 Depth=2
	s_or_b32 exec_lo, exec_lo, s7
	v_and_b32_e32 v18, 0xff, v121
	v_dual_mov_b32 v16, 0 :: v_dual_mov_b32 v17, 0
	s_mov_b32 s7, exec_lo
	s_delay_alu instid0(VALU_DEP_2)
	v_cmpx_ne_u16_e32 0, v18
	s_cbranch_execz .LBB6_6727
; %bb.6720:                             ;   in Loop: Header=BB6_6467 Depth=2
	v_bfrev_b32_e32 v17, 1
	s_mov_b32 s27, exec_lo
	v_cmpx_ne_u16_e32 0x80, v18
	s_cbranch_execz .LBB6_6726
; %bb.6721:                             ;   in Loop: Header=BB6_6467 Depth=2
	v_and_b32_e32 v19, 0x7f, v121
	v_mov_b32_e32 v17, 0x7f800001
	s_mov_b32 s28, exec_lo
	s_delay_alu instid0(VALU_DEP_2)
	v_cmpx_ne_u32_e32 0x7f, v19
	s_cbranch_execz .LBB6_6725
; %bb.6722:                             ;   in Loop: Header=BB6_6467 Depth=2
	v_dual_lshrrev_b32 v17, 3, v19 :: v_dual_bitop2_b32 v86, 7, v18 bitop3:0x40
	s_mov_b32 s29, exec_lo
	v_cmpx_gt_u32_e32 8, v19
; %bb.6723:                             ;   in Loop: Header=BB6_6467 Depth=2
	s_delay_alu instid0(VALU_DEP_2) | instskip(NEXT) | instid1(VALU_DEP_1)
	v_clz_i32_u32_e32 v17, v86
	v_min_u32_e32 v17, 32, v17
	s_delay_alu instid0(VALU_DEP_1) | instskip(NEXT) | instid1(VALU_DEP_1)
	v_subrev_nc_u32_e32 v18, 28, v17
	v_lshlrev_b64_e32 v[18:19], v18, v[86:87]
	s_delay_alu instid0(VALU_DEP_1)
	v_dual_sub_nc_u32 v17, 29, v17 :: v_dual_bitop2_b32 v86, 7, v18 bitop3:0x40
; %bb.6724:                             ;   in Loop: Header=BB6_6467 Depth=2
	s_or_b32 exec_lo, exec_lo, s29
	s_delay_alu instid0(VALU_DEP_1) | instskip(NEXT) | instid1(VALU_DEP_2)
	v_dual_lshlrev_b32 v18, 24, v121 :: v_dual_lshlrev_b32 v19, 20, v86
	v_lshl_add_u32 v17, v17, 23, 0x3c000000
	s_delay_alu instid0(VALU_DEP_2) | instskip(NEXT) | instid1(VALU_DEP_1)
	v_and_b32_e32 v18, 0x80000000, v18
	v_or3_b32 v17, v19, v18, v17
.LBB6_6725:                             ;   in Loop: Header=BB6_6467 Depth=2
	s_or_b32 exec_lo, exec_lo, s28
.LBB6_6726:                             ;   in Loop: Header=BB6_6467 Depth=2
	s_delay_alu instid0(SALU_CYCLE_1)
	s_or_b32 exec_lo, exec_lo, s27
.LBB6_6727:                             ;   in Loop: Header=BB6_6467 Depth=2
	s_delay_alu instid0(SALU_CYCLE_1) | instskip(SKIP_3) | instid1(VALU_DEP_1)
	s_or_b32 exec_lo, exec_lo, s7
	s_wait_loadcnt_dscnt 0x1818
	v_and_b32_e32 v18, 0xff, v44
	s_mov_b32 s7, exec_lo
	v_cmpx_ne_u16_e32 0, v18
	s_cbranch_execz .LBB6_6735
; %bb.6728:                             ;   in Loop: Header=BB6_6467 Depth=2
	v_bfrev_b32_e32 v16, 1
	s_mov_b32 s27, exec_lo
	v_cmpx_ne_u16_e32 0x80, v18
	s_cbranch_execz .LBB6_6734
; %bb.6729:                             ;   in Loop: Header=BB6_6467 Depth=2
	v_and_b32_e32 v19, 0x7f, v44
	v_mov_b32_e32 v16, 0x7f800001
	s_mov_b32 s28, exec_lo
	s_delay_alu instid0(VALU_DEP_2)
	v_cmpx_ne_u32_e32 0x7f, v19
	s_cbranch_execz .LBB6_6733
; %bb.6730:                             ;   in Loop: Header=BB6_6467 Depth=2
	v_dual_lshrrev_b32 v16, 3, v19 :: v_dual_bitop2_b32 v86, 7, v18 bitop3:0x40
	s_mov_b32 s29, exec_lo
	v_cmpx_gt_u32_e32 8, v19
; %bb.6731:                             ;   in Loop: Header=BB6_6467 Depth=2
	s_delay_alu instid0(VALU_DEP_2) | instskip(NEXT) | instid1(VALU_DEP_1)
	v_clz_i32_u32_e32 v16, v86
	v_min_u32_e32 v16, 32, v16
	s_delay_alu instid0(VALU_DEP_1) | instskip(NEXT) | instid1(VALU_DEP_1)
	v_subrev_nc_u32_e32 v18, 28, v16
	v_lshlrev_b64_e32 v[18:19], v18, v[86:87]
	s_delay_alu instid0(VALU_DEP_1)
	v_dual_sub_nc_u32 v16, 29, v16 :: v_dual_bitop2_b32 v86, 7, v18 bitop3:0x40
; %bb.6732:                             ;   in Loop: Header=BB6_6467 Depth=2
	s_or_b32 exec_lo, exec_lo, s29
	s_delay_alu instid0(VALU_DEP_1) | instskip(NEXT) | instid1(VALU_DEP_2)
	v_dual_lshlrev_b32 v18, 24, v44 :: v_dual_lshlrev_b32 v19, 20, v86
	v_lshl_add_u32 v16, v16, 23, 0x3c000000
	s_delay_alu instid0(VALU_DEP_2) | instskip(NEXT) | instid1(VALU_DEP_1)
	v_and_b32_e32 v18, 0x80000000, v18
	v_or3_b32 v16, v19, v18, v16
.LBB6_6733:                             ;   in Loop: Header=BB6_6467 Depth=2
	s_or_b32 exec_lo, exec_lo, s28
.LBB6_6734:                             ;   in Loop: Header=BB6_6467 Depth=2
	s_delay_alu instid0(SALU_CYCLE_1)
	s_or_b32 exec_lo, exec_lo, s27
.LBB6_6735:                             ;   in Loop: Header=BB6_6467 Depth=2
	s_delay_alu instid0(SALU_CYCLE_1) | instskip(NEXT) | instid1(VALU_DEP_1)
	s_or_b32 exec_lo, exec_lo, s7
	v_mul_f32_e32 v16, v17, v16
                                        ; implicit-def: $vgpr44
	s_mov_b32 s7, exec_lo
	s_delay_alu instid0(VALU_DEP_1) | instskip(SKIP_1) | instid1(VALU_DEP_2)
	v_and_b32_e32 v86, 0x7f800000, v16
	v_lshrrev_b32_e32 v17, 24, v16
	v_cmpx_ne_u64_e32 0x7f800000, v[86:87]
	s_xor_b32 s27, exec_lo, s7
	s_cbranch_execz .LBB6_6753
; %bb.6736:                             ;   in Loop: Header=BB6_6467 Depth=2
	v_and_b32_e32 v86, 0x7fffffff, v16
	v_and_b32_e32 v31, 0x80, v17
                                        ; implicit-def: $vgpr44
	s_mov_b32 s7, exec_lo
	s_delay_alu instid0(VALU_DEP_2)
	v_cmpx_gt_u64_e32 0x43e00001, v[86:87]
	s_xor_b32 s28, exec_lo, s7
	s_cbranch_execz .LBB6_6750
; %bb.6737:                             ;   in Loop: Header=BB6_6467 Depth=2
	v_mov_b32_e32 v44, 0
	s_mov_b32 s29, exec_lo
	v_cmpx_ne_u32_e32 0, v16
	s_cbranch_execz .LBB6_6749
; %bb.6738:                             ;   in Loop: Header=BB6_6467 Depth=2
	v_bfe_u32 v54, v16, 23, 8
	v_and_b32_e32 v18, 0x7fffff, v16
	s_delay_alu instid0(VALU_DEP_2) | instskip(SKIP_1) | instid1(VALU_DEP_3)
	v_sub_nc_u32_e32 v17, 0x79, v54
	v_cmp_gt_u32_e32 vcc_lo, 0x7a, v54
	v_or_b32_e32 v19, 0x800000, v18
	s_delay_alu instid0(VALU_DEP_3) | instskip(SKIP_1) | instid1(VALU_DEP_2)
	v_cndmask_b32_e32 v17, 0, v17, vcc_lo
	v_cmp_eq_u32_e32 vcc_lo, 0, v54
	v_cndmask_b32_e64 v55, v17, 0x78, vcc_lo
	s_delay_alu instid0(VALU_DEP_1) | instskip(SKIP_1) | instid1(VALU_DEP_2)
	v_dual_cndmask_b32 v86, v19, v18, vcc_lo :: v_dual_add_nc_u32 v66, 19, v55
	v_add_nc_u32_e32 v16, 20, v55
	v_lshlrev_b64_e64 v[18:19], v66, 1
	s_delay_alu instid0(VALU_DEP_2) | instskip(NEXT) | instid1(VALU_DEP_1)
	v_lshlrev_b64_e64 v[16:17], v16, -1
	v_bfi_b32 v103, v17, 0, 0
	s_delay_alu instid0(VALU_DEP_2) | instskip(SKIP_1) | instid1(VALU_DEP_2)
	v_bfi_b32 v102, v16, 0, v86
	v_lshrrev_b64 v[16:17], v55, v[86:87]
	v_cmp_eq_u64_e64 s7, v[102:103], v[18:19]
	s_delay_alu instid0(VALU_DEP_2)
	v_mov_b64_e32 v[18:19], v[16:17]
	s_and_saveexec_b32 s40, s7
; %bb.6739:                             ;   in Loop: Header=BB6_6467 Depth=2
	v_bfe_u32 v86, v16, 20, 1
	s_delay_alu instid0(VALU_DEP_1) | instskip(NEXT) | instid1(VALU_DEP_1)
	v_add_nc_u64_e32 v[18:19], v[16:17], v[86:87]
	v_add_nc_u64_e32 v[18:19], -1, v[18:19]
; %bb.6740:                             ;   in Loop: Header=BB6_6467 Depth=2
	s_or_b32 exec_lo, exec_lo, s40
	v_add_nc_u32_e32 v17, 0xffffff81, v54
	v_lshrrev_b32_e32 v19, 23, v16
	s_mov_b32 s7, exec_lo
	s_delay_alu instid0(VALU_DEP_2) | instskip(NEXT) | instid1(VALU_DEP_1)
	v_cndmask_b32_e64 v17, v17, 0xffffff82, vcc_lo
	v_add3_u32 v19, v55, v17, v19
	v_and_b32_e32 v17, 0xfffff, v18
                                        ; implicit-def: $vgpr18
	s_delay_alu instid0(VALU_DEP_1) | instskip(NEXT) | instid1(VALU_DEP_1)
	v_dual_add_nc_u32 v54, 6, v19 :: v_dual_add_nc_u32 v86, v17, v16
                                        ; implicit-def: $vgpr16_vgpr17
	v_cmpx_ne_u32_e32 0, v54
	s_xor_b32 s7, exec_lo, s7
; %bb.6741:                             ;   in Loop: Header=BB6_6467 Depth=2
	s_delay_alu instid0(VALU_DEP_2) | instskip(SKIP_1) | instid1(VALU_DEP_1)
	v_cmp_lt_u64_e32 vcc_lo, 0xffffff, v[86:87]
	v_add_nc_u32_e32 v16, 7, v19
	v_cndmask_b32_e32 v18, v54, v16, vcc_lo
	v_cndmask_b32_e64 v16, 0, 1, vcc_lo
	s_delay_alu instid0(VALU_DEP_1)
	v_lshrrev_b64 v[16:17], v16, v[86:87]
; %bb.6742:                             ;   in Loop: Header=BB6_6467 Depth=2
	s_and_not1_saveexec_b32 s7, s7
; %bb.6743:                             ;   in Loop: Header=BB6_6467 Depth=2
	v_mov_b64_e32 v[16:17], v[86:87]
	v_bfe_u32 v18, v86, 23, 1
; %bb.6744:                             ;   in Loop: Header=BB6_6467 Depth=2
	s_or_b32 exec_lo, exec_lo, s7
	s_delay_alu instid0(VALU_DEP_2) | instskip(NEXT) | instid1(VALU_DEP_2)
	v_lshrrev_b64 v[16:17], 20, v[16:17]
	v_cmp_gt_i32_e32 vcc_lo, 16, v18
	v_cmp_ne_u32_e64 s7, 0, v18
                                        ; implicit-def: $vgpr44
	s_delay_alu instid0(VALU_DEP_3) | instskip(NEXT) | instid1(VALU_DEP_1)
	v_dual_cndmask_b32 v17, 0, v17 :: v_dual_cndmask_b32 v16, 7, v16
	v_cmp_ne_u64_e32 vcc_lo, 0, v[16:17]
	s_or_b32 s7, s7, vcc_lo
	s_delay_alu instid0(SALU_CYCLE_1) | instskip(NEXT) | instid1(SALU_CYCLE_1)
	s_and_saveexec_b32 s40, s7
	s_xor_b32 s7, exec_lo, s40
; %bb.6745:                             ;   in Loop: Header=BB6_6467 Depth=2
	v_min_i32_e32 v17, 15, v18
	s_delay_alu instid0(VALU_DEP_1) | instskip(NEXT) | instid1(VALU_DEP_1)
	v_lshl_or_b32 v17, v17, 3, v31
                                        ; implicit-def: $vgpr31
	v_and_or_b32 v44, v16, 7, v17
; %bb.6746:                             ;   in Loop: Header=BB6_6467 Depth=2
	s_and_not1_saveexec_b32 s7, s7
; %bb.6747:                             ;   in Loop: Header=BB6_6467 Depth=2
	v_mov_b32_e32 v44, v31
; %bb.6748:                             ;   in Loop: Header=BB6_6467 Depth=2
	s_or_b32 exec_lo, exec_lo, s7
.LBB6_6749:                             ;   in Loop: Header=BB6_6467 Depth=2
	s_delay_alu instid0(SALU_CYCLE_1)
	s_or_b32 exec_lo, exec_lo, s29
                                        ; implicit-def: $vgpr31
.LBB6_6750:                             ;   in Loop: Header=BB6_6467 Depth=2
	s_and_not1_saveexec_b32 s7, s28
; %bb.6751:                             ;   in Loop: Header=BB6_6467 Depth=2
	v_or_b32_e32 v44, 0x7e, v31
; %bb.6752:                             ;   in Loop: Header=BB6_6467 Depth=2
	s_or_b32 exec_lo, exec_lo, s7
                                        ; implicit-def: $vgpr17
.LBB6_6753:                             ;   in Loop: Header=BB6_6467 Depth=2
	s_and_not1_saveexec_b32 s7, s27
; %bb.6754:                             ;   in Loop: Header=BB6_6467 Depth=2
	v_or_b32_e32 v44, 0x7f, v17
; %bb.6755:                             ;   in Loop: Header=BB6_6467 Depth=2
	s_or_b32 exec_lo, exec_lo, s7
	v_and_b32_e32 v18, 0xff, v120
	v_dual_mov_b32 v16, 0 :: v_dual_mov_b32 v17, 0
	s_mov_b32 s7, exec_lo
	s_delay_alu instid0(VALU_DEP_2)
	v_cmpx_ne_u16_e32 0, v18
	s_cbranch_execz .LBB6_6763
; %bb.6756:                             ;   in Loop: Header=BB6_6467 Depth=2
	v_bfrev_b32_e32 v17, 1
	s_mov_b32 s27, exec_lo
	v_cmpx_ne_u16_e32 0x80, v18
	s_cbranch_execz .LBB6_6762
; %bb.6757:                             ;   in Loop: Header=BB6_6467 Depth=2
	v_and_b32_e32 v19, 0x7f, v120
	v_mov_b32_e32 v17, 0x7f800001
	s_mov_b32 s28, exec_lo
	s_delay_alu instid0(VALU_DEP_2)
	v_cmpx_ne_u32_e32 0x7f, v19
	s_cbranch_execz .LBB6_6761
; %bb.6758:                             ;   in Loop: Header=BB6_6467 Depth=2
	v_dual_lshrrev_b32 v17, 3, v19 :: v_dual_bitop2_b32 v86, 7, v18 bitop3:0x40
	s_mov_b32 s29, exec_lo
	v_cmpx_gt_u32_e32 8, v19
; %bb.6759:                             ;   in Loop: Header=BB6_6467 Depth=2
	s_delay_alu instid0(VALU_DEP_2) | instskip(NEXT) | instid1(VALU_DEP_1)
	v_clz_i32_u32_e32 v17, v86
	v_min_u32_e32 v17, 32, v17
	s_delay_alu instid0(VALU_DEP_1) | instskip(NEXT) | instid1(VALU_DEP_1)
	v_subrev_nc_u32_e32 v18, 28, v17
	v_lshlrev_b64_e32 v[18:19], v18, v[86:87]
	s_delay_alu instid0(VALU_DEP_1)
	v_dual_sub_nc_u32 v17, 29, v17 :: v_dual_bitop2_b32 v86, 7, v18 bitop3:0x40
; %bb.6760:                             ;   in Loop: Header=BB6_6467 Depth=2
	s_or_b32 exec_lo, exec_lo, s29
	s_delay_alu instid0(VALU_DEP_1) | instskip(NEXT) | instid1(VALU_DEP_2)
	v_dual_lshlrev_b32 v18, 24, v120 :: v_dual_lshlrev_b32 v19, 20, v86
	v_lshl_add_u32 v17, v17, 23, 0x3c000000
	s_delay_alu instid0(VALU_DEP_2) | instskip(NEXT) | instid1(VALU_DEP_1)
	v_and_b32_e32 v18, 0x80000000, v18
	v_or3_b32 v17, v19, v18, v17
.LBB6_6761:                             ;   in Loop: Header=BB6_6467 Depth=2
	s_or_b32 exec_lo, exec_lo, s28
.LBB6_6762:                             ;   in Loop: Header=BB6_6467 Depth=2
	s_delay_alu instid0(SALU_CYCLE_1)
	s_or_b32 exec_lo, exec_lo, s27
.LBB6_6763:                             ;   in Loop: Header=BB6_6467 Depth=2
	s_delay_alu instid0(SALU_CYCLE_1) | instskip(SKIP_3) | instid1(VALU_DEP_1)
	s_or_b32 exec_lo, exec_lo, s7
	s_wait_loadcnt_dscnt 0x1717
	v_and_b32_e32 v18, 0xff, v47
	s_mov_b32 s7, exec_lo
	v_cmpx_ne_u16_e32 0, v18
	s_cbranch_execz .LBB6_6771
; %bb.6764:                             ;   in Loop: Header=BB6_6467 Depth=2
	v_bfrev_b32_e32 v16, 1
	s_mov_b32 s27, exec_lo
	v_cmpx_ne_u16_e32 0x80, v18
	s_cbranch_execz .LBB6_6770
; %bb.6765:                             ;   in Loop: Header=BB6_6467 Depth=2
	v_and_b32_e32 v19, 0x7f, v47
	v_mov_b32_e32 v16, 0x7f800001
	s_mov_b32 s28, exec_lo
	s_delay_alu instid0(VALU_DEP_2)
	v_cmpx_ne_u32_e32 0x7f, v19
	s_cbranch_execz .LBB6_6769
; %bb.6766:                             ;   in Loop: Header=BB6_6467 Depth=2
	v_dual_lshrrev_b32 v16, 3, v19 :: v_dual_bitop2_b32 v86, 7, v18 bitop3:0x40
	s_mov_b32 s29, exec_lo
	v_cmpx_gt_u32_e32 8, v19
; %bb.6767:                             ;   in Loop: Header=BB6_6467 Depth=2
	s_delay_alu instid0(VALU_DEP_2) | instskip(NEXT) | instid1(VALU_DEP_1)
	v_clz_i32_u32_e32 v16, v86
	v_min_u32_e32 v16, 32, v16
	s_delay_alu instid0(VALU_DEP_1) | instskip(NEXT) | instid1(VALU_DEP_1)
	v_subrev_nc_u32_e32 v18, 28, v16
	v_lshlrev_b64_e32 v[18:19], v18, v[86:87]
	s_delay_alu instid0(VALU_DEP_1)
	v_dual_sub_nc_u32 v16, 29, v16 :: v_dual_bitop2_b32 v86, 7, v18 bitop3:0x40
; %bb.6768:                             ;   in Loop: Header=BB6_6467 Depth=2
	s_or_b32 exec_lo, exec_lo, s29
	s_delay_alu instid0(VALU_DEP_1) | instskip(NEXT) | instid1(VALU_DEP_2)
	v_dual_lshlrev_b32 v18, 24, v47 :: v_dual_lshlrev_b32 v19, 20, v86
	v_lshl_add_u32 v16, v16, 23, 0x3c000000
	s_delay_alu instid0(VALU_DEP_2) | instskip(NEXT) | instid1(VALU_DEP_1)
	v_and_b32_e32 v18, 0x80000000, v18
	v_or3_b32 v16, v19, v18, v16
.LBB6_6769:                             ;   in Loop: Header=BB6_6467 Depth=2
	s_or_b32 exec_lo, exec_lo, s28
.LBB6_6770:                             ;   in Loop: Header=BB6_6467 Depth=2
	s_delay_alu instid0(SALU_CYCLE_1)
	s_or_b32 exec_lo, exec_lo, s27
.LBB6_6771:                             ;   in Loop: Header=BB6_6467 Depth=2
	s_delay_alu instid0(SALU_CYCLE_1) | instskip(NEXT) | instid1(VALU_DEP_1)
	s_or_b32 exec_lo, exec_lo, s7
	v_mul_f32_e32 v16, v17, v16
                                        ; implicit-def: $vgpr47
	s_mov_b32 s7, exec_lo
	s_delay_alu instid0(VALU_DEP_1) | instskip(SKIP_1) | instid1(VALU_DEP_2)
	v_and_b32_e32 v86, 0x7f800000, v16
	v_lshrrev_b32_e32 v17, 24, v16
	v_cmpx_ne_u64_e32 0x7f800000, v[86:87]
	s_xor_b32 s27, exec_lo, s7
	s_cbranch_execz .LBB6_6789
; %bb.6772:                             ;   in Loop: Header=BB6_6467 Depth=2
	v_and_b32_e32 v86, 0x7fffffff, v16
	v_and_b32_e32 v31, 0x80, v17
                                        ; implicit-def: $vgpr47
	s_mov_b32 s7, exec_lo
	s_delay_alu instid0(VALU_DEP_2)
	v_cmpx_gt_u64_e32 0x43e00001, v[86:87]
	s_xor_b32 s28, exec_lo, s7
	s_cbranch_execz .LBB6_6786
; %bb.6773:                             ;   in Loop: Header=BB6_6467 Depth=2
	v_mov_b32_e32 v47, 0
	s_mov_b32 s29, exec_lo
	v_cmpx_ne_u32_e32 0, v16
	s_cbranch_execz .LBB6_6785
; %bb.6774:                             ;   in Loop: Header=BB6_6467 Depth=2
	v_bfe_u32 v54, v16, 23, 8
	v_and_b32_e32 v18, 0x7fffff, v16
	s_delay_alu instid0(VALU_DEP_2) | instskip(SKIP_1) | instid1(VALU_DEP_3)
	v_sub_nc_u32_e32 v17, 0x79, v54
	v_cmp_gt_u32_e32 vcc_lo, 0x7a, v54
	v_or_b32_e32 v19, 0x800000, v18
	s_delay_alu instid0(VALU_DEP_3) | instskip(SKIP_1) | instid1(VALU_DEP_2)
	v_cndmask_b32_e32 v17, 0, v17, vcc_lo
	v_cmp_eq_u32_e32 vcc_lo, 0, v54
	v_cndmask_b32_e64 v55, v17, 0x78, vcc_lo
	s_delay_alu instid0(VALU_DEP_1) | instskip(SKIP_1) | instid1(VALU_DEP_2)
	v_dual_cndmask_b32 v86, v19, v18, vcc_lo :: v_dual_add_nc_u32 v66, 19, v55
	v_add_nc_u32_e32 v16, 20, v55
	v_lshlrev_b64_e64 v[18:19], v66, 1
	s_delay_alu instid0(VALU_DEP_2) | instskip(NEXT) | instid1(VALU_DEP_1)
	v_lshlrev_b64_e64 v[16:17], v16, -1
	v_bfi_b32 v103, v17, 0, 0
	s_delay_alu instid0(VALU_DEP_2) | instskip(SKIP_1) | instid1(VALU_DEP_2)
	v_bfi_b32 v102, v16, 0, v86
	v_lshrrev_b64 v[16:17], v55, v[86:87]
	v_cmp_eq_u64_e64 s7, v[102:103], v[18:19]
	s_delay_alu instid0(VALU_DEP_2)
	v_mov_b64_e32 v[18:19], v[16:17]
	s_and_saveexec_b32 s40, s7
; %bb.6775:                             ;   in Loop: Header=BB6_6467 Depth=2
	v_bfe_u32 v86, v16, 20, 1
	s_delay_alu instid0(VALU_DEP_1) | instskip(NEXT) | instid1(VALU_DEP_1)
	v_add_nc_u64_e32 v[18:19], v[16:17], v[86:87]
	v_add_nc_u64_e32 v[18:19], -1, v[18:19]
; %bb.6776:                             ;   in Loop: Header=BB6_6467 Depth=2
	s_or_b32 exec_lo, exec_lo, s40
	v_add_nc_u32_e32 v17, 0xffffff81, v54
	v_lshrrev_b32_e32 v19, 23, v16
	s_mov_b32 s7, exec_lo
	s_delay_alu instid0(VALU_DEP_2) | instskip(NEXT) | instid1(VALU_DEP_1)
	v_cndmask_b32_e64 v17, v17, 0xffffff82, vcc_lo
	v_add3_u32 v19, v55, v17, v19
	v_and_b32_e32 v17, 0xfffff, v18
                                        ; implicit-def: $vgpr18
	s_delay_alu instid0(VALU_DEP_1) | instskip(NEXT) | instid1(VALU_DEP_1)
	v_dual_add_nc_u32 v54, 6, v19 :: v_dual_add_nc_u32 v86, v17, v16
                                        ; implicit-def: $vgpr16_vgpr17
	v_cmpx_ne_u32_e32 0, v54
	s_xor_b32 s7, exec_lo, s7
; %bb.6777:                             ;   in Loop: Header=BB6_6467 Depth=2
	s_delay_alu instid0(VALU_DEP_2) | instskip(SKIP_1) | instid1(VALU_DEP_1)
	v_cmp_lt_u64_e32 vcc_lo, 0xffffff, v[86:87]
	v_add_nc_u32_e32 v16, 7, v19
	v_cndmask_b32_e32 v18, v54, v16, vcc_lo
	v_cndmask_b32_e64 v16, 0, 1, vcc_lo
	s_delay_alu instid0(VALU_DEP_1)
	v_lshrrev_b64 v[16:17], v16, v[86:87]
; %bb.6778:                             ;   in Loop: Header=BB6_6467 Depth=2
	s_and_not1_saveexec_b32 s7, s7
; %bb.6779:                             ;   in Loop: Header=BB6_6467 Depth=2
	v_mov_b64_e32 v[16:17], v[86:87]
	v_bfe_u32 v18, v86, 23, 1
; %bb.6780:                             ;   in Loop: Header=BB6_6467 Depth=2
	s_or_b32 exec_lo, exec_lo, s7
	s_delay_alu instid0(VALU_DEP_2) | instskip(NEXT) | instid1(VALU_DEP_2)
	v_lshrrev_b64 v[16:17], 20, v[16:17]
	v_cmp_gt_i32_e32 vcc_lo, 16, v18
	v_cmp_ne_u32_e64 s7, 0, v18
                                        ; implicit-def: $vgpr47
	s_delay_alu instid0(VALU_DEP_3) | instskip(NEXT) | instid1(VALU_DEP_1)
	v_dual_cndmask_b32 v17, 0, v17 :: v_dual_cndmask_b32 v16, 7, v16
	v_cmp_ne_u64_e32 vcc_lo, 0, v[16:17]
	s_or_b32 s7, s7, vcc_lo
	s_delay_alu instid0(SALU_CYCLE_1) | instskip(NEXT) | instid1(SALU_CYCLE_1)
	s_and_saveexec_b32 s40, s7
	s_xor_b32 s7, exec_lo, s40
; %bb.6781:                             ;   in Loop: Header=BB6_6467 Depth=2
	v_min_i32_e32 v17, 15, v18
	s_delay_alu instid0(VALU_DEP_1) | instskip(NEXT) | instid1(VALU_DEP_1)
	v_lshl_or_b32 v17, v17, 3, v31
                                        ; implicit-def: $vgpr31
	v_and_or_b32 v47, v16, 7, v17
; %bb.6782:                             ;   in Loop: Header=BB6_6467 Depth=2
	s_and_not1_saveexec_b32 s7, s7
; %bb.6783:                             ;   in Loop: Header=BB6_6467 Depth=2
	v_mov_b32_e32 v47, v31
; %bb.6784:                             ;   in Loop: Header=BB6_6467 Depth=2
	s_or_b32 exec_lo, exec_lo, s7
.LBB6_6785:                             ;   in Loop: Header=BB6_6467 Depth=2
	s_delay_alu instid0(SALU_CYCLE_1)
	s_or_b32 exec_lo, exec_lo, s29
                                        ; implicit-def: $vgpr31
.LBB6_6786:                             ;   in Loop: Header=BB6_6467 Depth=2
	s_and_not1_saveexec_b32 s7, s28
; %bb.6787:                             ;   in Loop: Header=BB6_6467 Depth=2
	v_or_b32_e32 v47, 0x7e, v31
; %bb.6788:                             ;   in Loop: Header=BB6_6467 Depth=2
	s_or_b32 exec_lo, exec_lo, s7
                                        ; implicit-def: $vgpr17
.LBB6_6789:                             ;   in Loop: Header=BB6_6467 Depth=2
	s_and_not1_saveexec_b32 s7, s27
; %bb.6790:                             ;   in Loop: Header=BB6_6467 Depth=2
	v_or_b32_e32 v47, 0x7f, v17
; %bb.6791:                             ;   in Loop: Header=BB6_6467 Depth=2
	s_or_b32 exec_lo, exec_lo, s7
	v_and_b32_e32 v18, 0xff, v111
	v_dual_mov_b32 v16, 0 :: v_dual_mov_b32 v17, 0
	s_mov_b32 s7, exec_lo
	s_delay_alu instid0(VALU_DEP_2)
	v_cmpx_ne_u16_e32 0, v18
	s_cbranch_execz .LBB6_6799
; %bb.6792:                             ;   in Loop: Header=BB6_6467 Depth=2
	v_bfrev_b32_e32 v17, 1
	s_mov_b32 s27, exec_lo
	v_cmpx_ne_u16_e32 0x80, v18
	s_cbranch_execz .LBB6_6798
; %bb.6793:                             ;   in Loop: Header=BB6_6467 Depth=2
	v_and_b32_e32 v19, 0x7f, v111
	v_mov_b32_e32 v17, 0x7f800001
	s_mov_b32 s28, exec_lo
	s_delay_alu instid0(VALU_DEP_2)
	v_cmpx_ne_u32_e32 0x7f, v19
	s_cbranch_execz .LBB6_6797
; %bb.6794:                             ;   in Loop: Header=BB6_6467 Depth=2
	v_dual_lshrrev_b32 v17, 3, v19 :: v_dual_bitop2_b32 v86, 7, v18 bitop3:0x40
	s_mov_b32 s29, exec_lo
	v_cmpx_gt_u32_e32 8, v19
; %bb.6795:                             ;   in Loop: Header=BB6_6467 Depth=2
	s_delay_alu instid0(VALU_DEP_2) | instskip(NEXT) | instid1(VALU_DEP_1)
	v_clz_i32_u32_e32 v17, v86
	v_min_u32_e32 v17, 32, v17
	s_delay_alu instid0(VALU_DEP_1) | instskip(NEXT) | instid1(VALU_DEP_1)
	v_subrev_nc_u32_e32 v18, 28, v17
	v_lshlrev_b64_e32 v[18:19], v18, v[86:87]
	s_delay_alu instid0(VALU_DEP_1)
	v_dual_sub_nc_u32 v17, 29, v17 :: v_dual_bitop2_b32 v86, 7, v18 bitop3:0x40
; %bb.6796:                             ;   in Loop: Header=BB6_6467 Depth=2
	s_or_b32 exec_lo, exec_lo, s29
	s_delay_alu instid0(VALU_DEP_1) | instskip(NEXT) | instid1(VALU_DEP_2)
	v_dual_lshlrev_b32 v18, 24, v111 :: v_dual_lshlrev_b32 v19, 20, v86
	v_lshl_add_u32 v17, v17, 23, 0x3c000000
	s_delay_alu instid0(VALU_DEP_2) | instskip(NEXT) | instid1(VALU_DEP_1)
	v_and_b32_e32 v18, 0x80000000, v18
	v_or3_b32 v17, v19, v18, v17
.LBB6_6797:                             ;   in Loop: Header=BB6_6467 Depth=2
	s_or_b32 exec_lo, exec_lo, s28
.LBB6_6798:                             ;   in Loop: Header=BB6_6467 Depth=2
	s_delay_alu instid0(SALU_CYCLE_1)
	s_or_b32 exec_lo, exec_lo, s27
.LBB6_6799:                             ;   in Loop: Header=BB6_6467 Depth=2
	s_delay_alu instid0(SALU_CYCLE_1) | instskip(SKIP_3) | instid1(VALU_DEP_1)
	s_or_b32 exec_lo, exec_lo, s7
	s_wait_loadcnt_dscnt 0x1616
	v_and_b32_e32 v18, 0xff, v58
	s_mov_b32 s7, exec_lo
	v_cmpx_ne_u16_e32 0, v18
	s_cbranch_execz .LBB6_6807
; %bb.6800:                             ;   in Loop: Header=BB6_6467 Depth=2
	v_bfrev_b32_e32 v16, 1
	s_mov_b32 s27, exec_lo
	v_cmpx_ne_u16_e32 0x80, v18
	s_cbranch_execz .LBB6_6806
; %bb.6801:                             ;   in Loop: Header=BB6_6467 Depth=2
	v_and_b32_e32 v19, 0x7f, v58
	v_mov_b32_e32 v16, 0x7f800001
	s_mov_b32 s28, exec_lo
	s_delay_alu instid0(VALU_DEP_2)
	v_cmpx_ne_u32_e32 0x7f, v19
	s_cbranch_execz .LBB6_6805
; %bb.6802:                             ;   in Loop: Header=BB6_6467 Depth=2
	v_dual_lshrrev_b32 v16, 3, v19 :: v_dual_bitop2_b32 v86, 7, v18 bitop3:0x40
	s_mov_b32 s29, exec_lo
	v_cmpx_gt_u32_e32 8, v19
; %bb.6803:                             ;   in Loop: Header=BB6_6467 Depth=2
	s_delay_alu instid0(VALU_DEP_2) | instskip(NEXT) | instid1(VALU_DEP_1)
	v_clz_i32_u32_e32 v16, v86
	v_min_u32_e32 v16, 32, v16
	s_delay_alu instid0(VALU_DEP_1) | instskip(NEXT) | instid1(VALU_DEP_1)
	v_subrev_nc_u32_e32 v18, 28, v16
	v_lshlrev_b64_e32 v[18:19], v18, v[86:87]
	s_delay_alu instid0(VALU_DEP_1)
	v_dual_sub_nc_u32 v16, 29, v16 :: v_dual_bitop2_b32 v86, 7, v18 bitop3:0x40
; %bb.6804:                             ;   in Loop: Header=BB6_6467 Depth=2
	s_or_b32 exec_lo, exec_lo, s29
	v_lshlrev_b32_e32 v18, 24, v58
	s_delay_alu instid0(VALU_DEP_2) | instskip(NEXT) | instid1(VALU_DEP_3)
	v_lshlrev_b32_e32 v19, 20, v86
	v_lshl_add_u32 v16, v16, 23, 0x3c000000
	s_delay_alu instid0(VALU_DEP_3) | instskip(NEXT) | instid1(VALU_DEP_1)
	v_and_b32_e32 v18, 0x80000000, v18
	v_or3_b32 v16, v19, v18, v16
.LBB6_6805:                             ;   in Loop: Header=BB6_6467 Depth=2
	s_or_b32 exec_lo, exec_lo, s28
.LBB6_6806:                             ;   in Loop: Header=BB6_6467 Depth=2
	s_delay_alu instid0(SALU_CYCLE_1)
	s_or_b32 exec_lo, exec_lo, s27
.LBB6_6807:                             ;   in Loop: Header=BB6_6467 Depth=2
	s_delay_alu instid0(SALU_CYCLE_1) | instskip(NEXT) | instid1(VALU_DEP_1)
	s_or_b32 exec_lo, exec_lo, s7
	v_mul_f32_e32 v16, v17, v16
                                        ; implicit-def: $vgpr58
	s_mov_b32 s7, exec_lo
	s_delay_alu instid0(VALU_DEP_1) | instskip(SKIP_1) | instid1(VALU_DEP_2)
	v_and_b32_e32 v86, 0x7f800000, v16
	v_lshrrev_b32_e32 v17, 24, v16
	v_cmpx_ne_u64_e32 0x7f800000, v[86:87]
	s_xor_b32 s27, exec_lo, s7
	s_cbranch_execz .LBB6_6825
; %bb.6808:                             ;   in Loop: Header=BB6_6467 Depth=2
	v_and_b32_e32 v86, 0x7fffffff, v16
	v_and_b32_e32 v31, 0x80, v17
                                        ; implicit-def: $vgpr58
	s_mov_b32 s7, exec_lo
	s_delay_alu instid0(VALU_DEP_2)
	v_cmpx_gt_u64_e32 0x43e00001, v[86:87]
	s_xor_b32 s28, exec_lo, s7
	s_cbranch_execz .LBB6_6822
; %bb.6809:                             ;   in Loop: Header=BB6_6467 Depth=2
	v_mov_b32_e32 v58, 0
	s_mov_b32 s29, exec_lo
	v_cmpx_ne_u32_e32 0, v16
	s_cbranch_execz .LBB6_6821
; %bb.6810:                             ;   in Loop: Header=BB6_6467 Depth=2
	v_bfe_u32 v54, v16, 23, 8
	v_and_b32_e32 v18, 0x7fffff, v16
	s_delay_alu instid0(VALU_DEP_2) | instskip(SKIP_1) | instid1(VALU_DEP_3)
	v_sub_nc_u32_e32 v17, 0x79, v54
	v_cmp_gt_u32_e32 vcc_lo, 0x7a, v54
	v_or_b32_e32 v19, 0x800000, v18
	s_delay_alu instid0(VALU_DEP_3) | instskip(SKIP_1) | instid1(VALU_DEP_2)
	v_cndmask_b32_e32 v17, 0, v17, vcc_lo
	v_cmp_eq_u32_e32 vcc_lo, 0, v54
	v_cndmask_b32_e64 v55, v17, 0x78, vcc_lo
	s_delay_alu instid0(VALU_DEP_1) | instskip(SKIP_1) | instid1(VALU_DEP_2)
	v_dual_cndmask_b32 v86, v19, v18, vcc_lo :: v_dual_add_nc_u32 v66, 19, v55
	v_add_nc_u32_e32 v16, 20, v55
	v_lshlrev_b64_e64 v[18:19], v66, 1
	s_delay_alu instid0(VALU_DEP_2) | instskip(NEXT) | instid1(VALU_DEP_1)
	v_lshlrev_b64_e64 v[16:17], v16, -1
	v_bfi_b32 v103, v17, 0, 0
	s_delay_alu instid0(VALU_DEP_2) | instskip(SKIP_1) | instid1(VALU_DEP_2)
	v_bfi_b32 v102, v16, 0, v86
	v_lshrrev_b64 v[16:17], v55, v[86:87]
	v_cmp_eq_u64_e64 s7, v[102:103], v[18:19]
	s_delay_alu instid0(VALU_DEP_2)
	v_mov_b64_e32 v[18:19], v[16:17]
	s_and_saveexec_b32 s40, s7
; %bb.6811:                             ;   in Loop: Header=BB6_6467 Depth=2
	v_bfe_u32 v86, v16, 20, 1
	s_delay_alu instid0(VALU_DEP_1) | instskip(NEXT) | instid1(VALU_DEP_1)
	v_add_nc_u64_e32 v[18:19], v[16:17], v[86:87]
	v_add_nc_u64_e32 v[18:19], -1, v[18:19]
; %bb.6812:                             ;   in Loop: Header=BB6_6467 Depth=2
	s_or_b32 exec_lo, exec_lo, s40
	v_add_nc_u32_e32 v17, 0xffffff81, v54
	v_lshrrev_b32_e32 v19, 23, v16
	s_mov_b32 s7, exec_lo
	s_delay_alu instid0(VALU_DEP_2) | instskip(NEXT) | instid1(VALU_DEP_1)
	v_cndmask_b32_e64 v17, v17, 0xffffff82, vcc_lo
	v_add3_u32 v19, v55, v17, v19
	v_and_b32_e32 v17, 0xfffff, v18
                                        ; implicit-def: $vgpr18
	s_delay_alu instid0(VALU_DEP_1) | instskip(NEXT) | instid1(VALU_DEP_1)
	v_dual_add_nc_u32 v54, 6, v19 :: v_dual_add_nc_u32 v86, v17, v16
                                        ; implicit-def: $vgpr16_vgpr17
	v_cmpx_ne_u32_e32 0, v54
	s_xor_b32 s7, exec_lo, s7
; %bb.6813:                             ;   in Loop: Header=BB6_6467 Depth=2
	s_delay_alu instid0(VALU_DEP_2) | instskip(SKIP_1) | instid1(VALU_DEP_1)
	v_cmp_lt_u64_e32 vcc_lo, 0xffffff, v[86:87]
	v_add_nc_u32_e32 v16, 7, v19
	v_cndmask_b32_e32 v18, v54, v16, vcc_lo
	v_cndmask_b32_e64 v16, 0, 1, vcc_lo
	s_delay_alu instid0(VALU_DEP_1)
	v_lshrrev_b64 v[16:17], v16, v[86:87]
; %bb.6814:                             ;   in Loop: Header=BB6_6467 Depth=2
	s_and_not1_saveexec_b32 s7, s7
; %bb.6815:                             ;   in Loop: Header=BB6_6467 Depth=2
	v_mov_b64_e32 v[16:17], v[86:87]
	v_bfe_u32 v18, v86, 23, 1
; %bb.6816:                             ;   in Loop: Header=BB6_6467 Depth=2
	s_or_b32 exec_lo, exec_lo, s7
	s_delay_alu instid0(VALU_DEP_2) | instskip(NEXT) | instid1(VALU_DEP_2)
	v_lshrrev_b64 v[16:17], 20, v[16:17]
	v_cmp_gt_i32_e32 vcc_lo, 16, v18
	v_cmp_ne_u32_e64 s7, 0, v18
                                        ; implicit-def: $vgpr58
	s_delay_alu instid0(VALU_DEP_3) | instskip(NEXT) | instid1(VALU_DEP_1)
	v_dual_cndmask_b32 v17, 0, v17 :: v_dual_cndmask_b32 v16, 7, v16
	v_cmp_ne_u64_e32 vcc_lo, 0, v[16:17]
	s_or_b32 s7, s7, vcc_lo
	s_delay_alu instid0(SALU_CYCLE_1) | instskip(NEXT) | instid1(SALU_CYCLE_1)
	s_and_saveexec_b32 s40, s7
	s_xor_b32 s7, exec_lo, s40
; %bb.6817:                             ;   in Loop: Header=BB6_6467 Depth=2
	v_min_i32_e32 v17, 15, v18
	s_delay_alu instid0(VALU_DEP_1) | instskip(NEXT) | instid1(VALU_DEP_1)
	v_lshl_or_b32 v17, v17, 3, v31
                                        ; implicit-def: $vgpr31
	v_and_or_b32 v58, v16, 7, v17
; %bb.6818:                             ;   in Loop: Header=BB6_6467 Depth=2
	s_and_not1_saveexec_b32 s7, s7
; %bb.6819:                             ;   in Loop: Header=BB6_6467 Depth=2
	v_mov_b32_e32 v58, v31
; %bb.6820:                             ;   in Loop: Header=BB6_6467 Depth=2
	s_or_b32 exec_lo, exec_lo, s7
.LBB6_6821:                             ;   in Loop: Header=BB6_6467 Depth=2
	s_delay_alu instid0(SALU_CYCLE_1)
	s_or_b32 exec_lo, exec_lo, s29
                                        ; implicit-def: $vgpr31
.LBB6_6822:                             ;   in Loop: Header=BB6_6467 Depth=2
	s_and_not1_saveexec_b32 s7, s28
; %bb.6823:                             ;   in Loop: Header=BB6_6467 Depth=2
	v_or_b32_e32 v58, 0x7e, v31
; %bb.6824:                             ;   in Loop: Header=BB6_6467 Depth=2
	s_or_b32 exec_lo, exec_lo, s7
                                        ; implicit-def: $vgpr17
.LBB6_6825:                             ;   in Loop: Header=BB6_6467 Depth=2
	s_and_not1_saveexec_b32 s7, s27
; %bb.6826:                             ;   in Loop: Header=BB6_6467 Depth=2
	v_or_b32_e32 v58, 0x7f, v17
; %bb.6827:                             ;   in Loop: Header=BB6_6467 Depth=2
	s_or_b32 exec_lo, exec_lo, s7
	v_and_b32_e32 v18, 0xff, v110
	v_dual_mov_b32 v16, 0 :: v_dual_mov_b32 v17, 0
	s_mov_b32 s7, exec_lo
	s_delay_alu instid0(VALU_DEP_2)
	v_cmpx_ne_u16_e32 0, v18
	s_cbranch_execz .LBB6_6835
; %bb.6828:                             ;   in Loop: Header=BB6_6467 Depth=2
	v_bfrev_b32_e32 v17, 1
	s_mov_b32 s27, exec_lo
	v_cmpx_ne_u16_e32 0x80, v18
	s_cbranch_execz .LBB6_6834
; %bb.6829:                             ;   in Loop: Header=BB6_6467 Depth=2
	v_and_b32_e32 v19, 0x7f, v110
	v_mov_b32_e32 v17, 0x7f800001
	s_mov_b32 s28, exec_lo
	s_delay_alu instid0(VALU_DEP_2)
	v_cmpx_ne_u32_e32 0x7f, v19
	s_cbranch_execz .LBB6_6833
; %bb.6830:                             ;   in Loop: Header=BB6_6467 Depth=2
	v_dual_lshrrev_b32 v17, 3, v19 :: v_dual_bitop2_b32 v86, 7, v18 bitop3:0x40
	s_mov_b32 s29, exec_lo
	v_cmpx_gt_u32_e32 8, v19
; %bb.6831:                             ;   in Loop: Header=BB6_6467 Depth=2
	s_delay_alu instid0(VALU_DEP_2) | instskip(NEXT) | instid1(VALU_DEP_1)
	v_clz_i32_u32_e32 v17, v86
	v_min_u32_e32 v17, 32, v17
	s_delay_alu instid0(VALU_DEP_1) | instskip(NEXT) | instid1(VALU_DEP_1)
	v_subrev_nc_u32_e32 v18, 28, v17
	v_lshlrev_b64_e32 v[18:19], v18, v[86:87]
	s_delay_alu instid0(VALU_DEP_1)
	v_dual_sub_nc_u32 v17, 29, v17 :: v_dual_bitop2_b32 v86, 7, v18 bitop3:0x40
; %bb.6832:                             ;   in Loop: Header=BB6_6467 Depth=2
	s_or_b32 exec_lo, exec_lo, s29
	v_lshlrev_b32_e32 v18, 24, v110
	s_delay_alu instid0(VALU_DEP_2) | instskip(NEXT) | instid1(VALU_DEP_3)
	v_lshlrev_b32_e32 v19, 20, v86
	v_lshl_add_u32 v17, v17, 23, 0x3c000000
	s_delay_alu instid0(VALU_DEP_3) | instskip(NEXT) | instid1(VALU_DEP_1)
	v_and_b32_e32 v18, 0x80000000, v18
	v_or3_b32 v17, v19, v18, v17
.LBB6_6833:                             ;   in Loop: Header=BB6_6467 Depth=2
	s_or_b32 exec_lo, exec_lo, s28
.LBB6_6834:                             ;   in Loop: Header=BB6_6467 Depth=2
	s_delay_alu instid0(SALU_CYCLE_1)
	s_or_b32 exec_lo, exec_lo, s27
.LBB6_6835:                             ;   in Loop: Header=BB6_6467 Depth=2
	s_delay_alu instid0(SALU_CYCLE_1) | instskip(SKIP_3) | instid1(VALU_DEP_1)
	s_or_b32 exec_lo, exec_lo, s7
	s_wait_loadcnt_dscnt 0x1515
	v_and_b32_e32 v18, 0xff, v75
	s_mov_b32 s7, exec_lo
	v_cmpx_ne_u16_e32 0, v18
	s_cbranch_execz .LBB6_6843
; %bb.6836:                             ;   in Loop: Header=BB6_6467 Depth=2
	v_bfrev_b32_e32 v16, 1
	s_mov_b32 s27, exec_lo
	v_cmpx_ne_u16_e32 0x80, v18
	s_cbranch_execz .LBB6_6842
; %bb.6837:                             ;   in Loop: Header=BB6_6467 Depth=2
	v_and_b32_e32 v19, 0x7f, v75
	v_mov_b32_e32 v16, 0x7f800001
	s_mov_b32 s28, exec_lo
	s_delay_alu instid0(VALU_DEP_2)
	v_cmpx_ne_u32_e32 0x7f, v19
	s_cbranch_execz .LBB6_6841
; %bb.6838:                             ;   in Loop: Header=BB6_6467 Depth=2
	v_dual_lshrrev_b32 v16, 3, v19 :: v_dual_bitop2_b32 v86, 7, v18 bitop3:0x40
	s_mov_b32 s29, exec_lo
	v_cmpx_gt_u32_e32 8, v19
; %bb.6839:                             ;   in Loop: Header=BB6_6467 Depth=2
	s_delay_alu instid0(VALU_DEP_2) | instskip(NEXT) | instid1(VALU_DEP_1)
	v_clz_i32_u32_e32 v16, v86
	v_min_u32_e32 v16, 32, v16
	s_delay_alu instid0(VALU_DEP_1) | instskip(NEXT) | instid1(VALU_DEP_1)
	v_subrev_nc_u32_e32 v18, 28, v16
	v_lshlrev_b64_e32 v[18:19], v18, v[86:87]
	s_delay_alu instid0(VALU_DEP_1)
	v_dual_sub_nc_u32 v16, 29, v16 :: v_dual_bitop2_b32 v86, 7, v18 bitop3:0x40
; %bb.6840:                             ;   in Loop: Header=BB6_6467 Depth=2
	s_or_b32 exec_lo, exec_lo, s29
	s_delay_alu instid0(VALU_DEP_1) | instskip(NEXT) | instid1(VALU_DEP_2)
	v_dual_lshlrev_b32 v18, 24, v75 :: v_dual_lshlrev_b32 v19, 20, v86
	v_lshl_add_u32 v16, v16, 23, 0x3c000000
	s_delay_alu instid0(VALU_DEP_2) | instskip(NEXT) | instid1(VALU_DEP_1)
	v_and_b32_e32 v18, 0x80000000, v18
	v_or3_b32 v16, v19, v18, v16
.LBB6_6841:                             ;   in Loop: Header=BB6_6467 Depth=2
	s_or_b32 exec_lo, exec_lo, s28
.LBB6_6842:                             ;   in Loop: Header=BB6_6467 Depth=2
	s_delay_alu instid0(SALU_CYCLE_1)
	s_or_b32 exec_lo, exec_lo, s27
.LBB6_6843:                             ;   in Loop: Header=BB6_6467 Depth=2
	s_delay_alu instid0(SALU_CYCLE_1) | instskip(NEXT) | instid1(VALU_DEP_1)
	s_or_b32 exec_lo, exec_lo, s7
	v_mul_f32_e32 v16, v17, v16
                                        ; implicit-def: $vgpr75
	s_mov_b32 s7, exec_lo
	s_delay_alu instid0(VALU_DEP_1) | instskip(SKIP_1) | instid1(VALU_DEP_2)
	v_and_b32_e32 v86, 0x7f800000, v16
	v_lshrrev_b32_e32 v17, 24, v16
	v_cmpx_ne_u64_e32 0x7f800000, v[86:87]
	s_xor_b32 s27, exec_lo, s7
	s_cbranch_execz .LBB6_6861
; %bb.6844:                             ;   in Loop: Header=BB6_6467 Depth=2
	v_and_b32_e32 v86, 0x7fffffff, v16
	v_and_b32_e32 v31, 0x80, v17
                                        ; implicit-def: $vgpr75
	s_mov_b32 s7, exec_lo
	s_delay_alu instid0(VALU_DEP_2)
	v_cmpx_gt_u64_e32 0x43e00001, v[86:87]
	s_xor_b32 s28, exec_lo, s7
	s_cbranch_execz .LBB6_6858
; %bb.6845:                             ;   in Loop: Header=BB6_6467 Depth=2
	v_mov_b32_e32 v75, 0
	s_mov_b32 s29, exec_lo
	v_cmpx_ne_u32_e32 0, v16
	s_cbranch_execz .LBB6_6857
; %bb.6846:                             ;   in Loop: Header=BB6_6467 Depth=2
	v_bfe_u32 v54, v16, 23, 8
	v_and_b32_e32 v18, 0x7fffff, v16
	s_delay_alu instid0(VALU_DEP_2) | instskip(SKIP_1) | instid1(VALU_DEP_3)
	v_sub_nc_u32_e32 v17, 0x79, v54
	v_cmp_gt_u32_e32 vcc_lo, 0x7a, v54
	v_or_b32_e32 v19, 0x800000, v18
	s_delay_alu instid0(VALU_DEP_3) | instskip(SKIP_1) | instid1(VALU_DEP_2)
	v_cndmask_b32_e32 v17, 0, v17, vcc_lo
	v_cmp_eq_u32_e32 vcc_lo, 0, v54
	v_cndmask_b32_e64 v55, v17, 0x78, vcc_lo
	s_delay_alu instid0(VALU_DEP_1) | instskip(SKIP_1) | instid1(VALU_DEP_2)
	v_dual_cndmask_b32 v86, v19, v18, vcc_lo :: v_dual_add_nc_u32 v66, 19, v55
	v_add_nc_u32_e32 v16, 20, v55
	v_lshlrev_b64_e64 v[18:19], v66, 1
	s_delay_alu instid0(VALU_DEP_2) | instskip(NEXT) | instid1(VALU_DEP_1)
	v_lshlrev_b64_e64 v[16:17], v16, -1
	v_bfi_b32 v103, v17, 0, 0
	s_delay_alu instid0(VALU_DEP_2) | instskip(SKIP_1) | instid1(VALU_DEP_2)
	v_bfi_b32 v102, v16, 0, v86
	v_lshrrev_b64 v[16:17], v55, v[86:87]
	v_cmp_eq_u64_e64 s7, v[102:103], v[18:19]
	s_delay_alu instid0(VALU_DEP_2)
	v_mov_b64_e32 v[18:19], v[16:17]
	s_and_saveexec_b32 s40, s7
; %bb.6847:                             ;   in Loop: Header=BB6_6467 Depth=2
	v_bfe_u32 v86, v16, 20, 1
	s_delay_alu instid0(VALU_DEP_1) | instskip(NEXT) | instid1(VALU_DEP_1)
	v_add_nc_u64_e32 v[18:19], v[16:17], v[86:87]
	v_add_nc_u64_e32 v[18:19], -1, v[18:19]
; %bb.6848:                             ;   in Loop: Header=BB6_6467 Depth=2
	s_or_b32 exec_lo, exec_lo, s40
	v_add_nc_u32_e32 v17, 0xffffff81, v54
	v_lshrrev_b32_e32 v19, 23, v16
	s_mov_b32 s7, exec_lo
	s_delay_alu instid0(VALU_DEP_2) | instskip(NEXT) | instid1(VALU_DEP_1)
	v_cndmask_b32_e64 v17, v17, 0xffffff82, vcc_lo
	v_add3_u32 v19, v55, v17, v19
	v_and_b32_e32 v17, 0xfffff, v18
                                        ; implicit-def: $vgpr18
	s_delay_alu instid0(VALU_DEP_1) | instskip(NEXT) | instid1(VALU_DEP_1)
	v_dual_add_nc_u32 v54, 6, v19 :: v_dual_add_nc_u32 v86, v17, v16
                                        ; implicit-def: $vgpr16_vgpr17
	v_cmpx_ne_u32_e32 0, v54
	s_xor_b32 s7, exec_lo, s7
; %bb.6849:                             ;   in Loop: Header=BB6_6467 Depth=2
	s_delay_alu instid0(VALU_DEP_2) | instskip(SKIP_1) | instid1(VALU_DEP_1)
	v_cmp_lt_u64_e32 vcc_lo, 0xffffff, v[86:87]
	v_add_nc_u32_e32 v16, 7, v19
	v_cndmask_b32_e32 v18, v54, v16, vcc_lo
	v_cndmask_b32_e64 v16, 0, 1, vcc_lo
	s_delay_alu instid0(VALU_DEP_1)
	v_lshrrev_b64 v[16:17], v16, v[86:87]
; %bb.6850:                             ;   in Loop: Header=BB6_6467 Depth=2
	s_and_not1_saveexec_b32 s7, s7
; %bb.6851:                             ;   in Loop: Header=BB6_6467 Depth=2
	v_mov_b64_e32 v[16:17], v[86:87]
	v_bfe_u32 v18, v86, 23, 1
; %bb.6852:                             ;   in Loop: Header=BB6_6467 Depth=2
	s_or_b32 exec_lo, exec_lo, s7
	s_delay_alu instid0(VALU_DEP_2) | instskip(NEXT) | instid1(VALU_DEP_2)
	v_lshrrev_b64 v[16:17], 20, v[16:17]
	v_cmp_gt_i32_e32 vcc_lo, 16, v18
	v_cmp_ne_u32_e64 s7, 0, v18
                                        ; implicit-def: $vgpr75
	s_delay_alu instid0(VALU_DEP_3) | instskip(NEXT) | instid1(VALU_DEP_1)
	v_dual_cndmask_b32 v17, 0, v17 :: v_dual_cndmask_b32 v16, 7, v16
	v_cmp_ne_u64_e32 vcc_lo, 0, v[16:17]
	s_or_b32 s7, s7, vcc_lo
	s_delay_alu instid0(SALU_CYCLE_1) | instskip(NEXT) | instid1(SALU_CYCLE_1)
	s_and_saveexec_b32 s40, s7
	s_xor_b32 s7, exec_lo, s40
; %bb.6853:                             ;   in Loop: Header=BB6_6467 Depth=2
	v_min_i32_e32 v17, 15, v18
	s_delay_alu instid0(VALU_DEP_1) | instskip(NEXT) | instid1(VALU_DEP_1)
	v_lshl_or_b32 v17, v17, 3, v31
                                        ; implicit-def: $vgpr31
	v_and_or_b32 v75, v16, 7, v17
; %bb.6854:                             ;   in Loop: Header=BB6_6467 Depth=2
	s_and_not1_saveexec_b32 s7, s7
; %bb.6855:                             ;   in Loop: Header=BB6_6467 Depth=2
	v_mov_b32_e32 v75, v31
; %bb.6856:                             ;   in Loop: Header=BB6_6467 Depth=2
	s_or_b32 exec_lo, exec_lo, s7
.LBB6_6857:                             ;   in Loop: Header=BB6_6467 Depth=2
	s_delay_alu instid0(SALU_CYCLE_1)
	s_or_b32 exec_lo, exec_lo, s29
                                        ; implicit-def: $vgpr31
.LBB6_6858:                             ;   in Loop: Header=BB6_6467 Depth=2
	s_and_not1_saveexec_b32 s7, s28
; %bb.6859:                             ;   in Loop: Header=BB6_6467 Depth=2
	v_or_b32_e32 v75, 0x7e, v31
; %bb.6860:                             ;   in Loop: Header=BB6_6467 Depth=2
	s_or_b32 exec_lo, exec_lo, s7
                                        ; implicit-def: $vgpr17
.LBB6_6861:                             ;   in Loop: Header=BB6_6467 Depth=2
	s_and_not1_saveexec_b32 s7, s27
; %bb.6862:                             ;   in Loop: Header=BB6_6467 Depth=2
	v_or_b32_e32 v75, 0x7f, v17
; %bb.6863:                             ;   in Loop: Header=BB6_6467 Depth=2
	s_or_b32 exec_lo, exec_lo, s7
	v_and_b32_e32 v18, 0xff, v109
	v_dual_mov_b32 v16, 0 :: v_dual_mov_b32 v17, 0
	s_mov_b32 s7, exec_lo
	s_delay_alu instid0(VALU_DEP_2)
	v_cmpx_ne_u16_e32 0, v18
	s_cbranch_execz .LBB6_6871
; %bb.6864:                             ;   in Loop: Header=BB6_6467 Depth=2
	v_bfrev_b32_e32 v17, 1
	s_mov_b32 s27, exec_lo
	v_cmpx_ne_u16_e32 0x80, v18
	s_cbranch_execz .LBB6_6870
; %bb.6865:                             ;   in Loop: Header=BB6_6467 Depth=2
	v_and_b32_e32 v19, 0x7f, v109
	v_mov_b32_e32 v17, 0x7f800001
	s_mov_b32 s28, exec_lo
	s_delay_alu instid0(VALU_DEP_2)
	v_cmpx_ne_u32_e32 0x7f, v19
	s_cbranch_execz .LBB6_6869
; %bb.6866:                             ;   in Loop: Header=BB6_6467 Depth=2
	v_dual_lshrrev_b32 v17, 3, v19 :: v_dual_bitop2_b32 v86, 7, v18 bitop3:0x40
	s_mov_b32 s29, exec_lo
	v_cmpx_gt_u32_e32 8, v19
; %bb.6867:                             ;   in Loop: Header=BB6_6467 Depth=2
	s_delay_alu instid0(VALU_DEP_2) | instskip(NEXT) | instid1(VALU_DEP_1)
	v_clz_i32_u32_e32 v17, v86
	v_min_u32_e32 v17, 32, v17
	s_delay_alu instid0(VALU_DEP_1) | instskip(NEXT) | instid1(VALU_DEP_1)
	v_subrev_nc_u32_e32 v18, 28, v17
	v_lshlrev_b64_e32 v[18:19], v18, v[86:87]
	s_delay_alu instid0(VALU_DEP_1)
	v_dual_sub_nc_u32 v17, 29, v17 :: v_dual_bitop2_b32 v86, 7, v18 bitop3:0x40
; %bb.6868:                             ;   in Loop: Header=BB6_6467 Depth=2
	s_or_b32 exec_lo, exec_lo, s29
	s_delay_alu instid0(VALU_DEP_1) | instskip(NEXT) | instid1(VALU_DEP_2)
	v_dual_lshlrev_b32 v18, 24, v109 :: v_dual_lshlrev_b32 v19, 20, v86
	v_lshl_add_u32 v17, v17, 23, 0x3c000000
	s_delay_alu instid0(VALU_DEP_2) | instskip(NEXT) | instid1(VALU_DEP_1)
	v_and_b32_e32 v18, 0x80000000, v18
	v_or3_b32 v17, v19, v18, v17
.LBB6_6869:                             ;   in Loop: Header=BB6_6467 Depth=2
	s_or_b32 exec_lo, exec_lo, s28
.LBB6_6870:                             ;   in Loop: Header=BB6_6467 Depth=2
	s_delay_alu instid0(SALU_CYCLE_1)
	s_or_b32 exec_lo, exec_lo, s27
.LBB6_6871:                             ;   in Loop: Header=BB6_6467 Depth=2
	s_delay_alu instid0(SALU_CYCLE_1) | instskip(SKIP_3) | instid1(VALU_DEP_1)
	s_or_b32 exec_lo, exec_lo, s7
	s_wait_loadcnt_dscnt 0x1414
	v_and_b32_e32 v18, 0xff, v2
	s_mov_b32 s7, exec_lo
	v_cmpx_ne_u16_e32 0, v18
	s_cbranch_execz .LBB6_6879
; %bb.6872:                             ;   in Loop: Header=BB6_6467 Depth=2
	v_bfrev_b32_e32 v16, 1
	s_mov_b32 s27, exec_lo
	v_cmpx_ne_u16_e32 0x80, v18
	s_cbranch_execz .LBB6_6878
; %bb.6873:                             ;   in Loop: Header=BB6_6467 Depth=2
	v_and_b32_e32 v19, 0x7f, v2
	v_mov_b32_e32 v16, 0x7f800001
	s_mov_b32 s28, exec_lo
	s_delay_alu instid0(VALU_DEP_2)
	v_cmpx_ne_u32_e32 0x7f, v19
	s_cbranch_execz .LBB6_6877
; %bb.6874:                             ;   in Loop: Header=BB6_6467 Depth=2
	v_dual_lshrrev_b32 v16, 3, v19 :: v_dual_bitop2_b32 v86, 7, v18 bitop3:0x40
	s_mov_b32 s29, exec_lo
	v_cmpx_gt_u32_e32 8, v19
; %bb.6875:                             ;   in Loop: Header=BB6_6467 Depth=2
	s_delay_alu instid0(VALU_DEP_2) | instskip(NEXT) | instid1(VALU_DEP_1)
	v_clz_i32_u32_e32 v16, v86
	v_min_u32_e32 v16, 32, v16
	s_delay_alu instid0(VALU_DEP_1) | instskip(NEXT) | instid1(VALU_DEP_1)
	v_subrev_nc_u32_e32 v18, 28, v16
	v_lshlrev_b64_e32 v[18:19], v18, v[86:87]
	s_delay_alu instid0(VALU_DEP_1)
	v_dual_sub_nc_u32 v16, 29, v16 :: v_dual_bitop2_b32 v86, 7, v18 bitop3:0x40
; %bb.6876:                             ;   in Loop: Header=BB6_6467 Depth=2
	s_or_b32 exec_lo, exec_lo, s29
	v_lshlrev_b32_e32 v2, 24, v2
	s_delay_alu instid0(VALU_DEP_2) | instskip(NEXT) | instid1(VALU_DEP_3)
	v_lshlrev_b32_e32 v18, 20, v86
	v_lshl_add_u32 v16, v16, 23, 0x3c000000
	s_delay_alu instid0(VALU_DEP_3) | instskip(NEXT) | instid1(VALU_DEP_1)
	v_and_b32_e32 v2, 0x80000000, v2
	v_or3_b32 v16, v18, v2, v16
.LBB6_6877:                             ;   in Loop: Header=BB6_6467 Depth=2
	s_or_b32 exec_lo, exec_lo, s28
.LBB6_6878:                             ;   in Loop: Header=BB6_6467 Depth=2
	s_delay_alu instid0(SALU_CYCLE_1)
	s_or_b32 exec_lo, exec_lo, s27
.LBB6_6879:                             ;   in Loop: Header=BB6_6467 Depth=2
	s_delay_alu instid0(SALU_CYCLE_1) | instskip(NEXT) | instid1(VALU_DEP_1)
	s_or_b32 exec_lo, exec_lo, s7
	v_mul_f32_e32 v16, v17, v16
                                        ; implicit-def: $vgpr2
	s_mov_b32 s7, exec_lo
	s_delay_alu instid0(VALU_DEP_1) | instskip(SKIP_1) | instid1(VALU_DEP_2)
	v_and_b32_e32 v86, 0x7f800000, v16
	v_lshrrev_b32_e32 v17, 24, v16
	v_cmpx_ne_u64_e32 0x7f800000, v[86:87]
	s_xor_b32 s27, exec_lo, s7
	s_cbranch_execz .LBB6_6897
; %bb.6880:                             ;   in Loop: Header=BB6_6467 Depth=2
	v_and_b32_e32 v86, 0x7fffffff, v16
	v_and_b32_e32 v31, 0x80, v17
                                        ; implicit-def: $vgpr2
	s_mov_b32 s7, exec_lo
	s_delay_alu instid0(VALU_DEP_2)
	v_cmpx_gt_u64_e32 0x43e00001, v[86:87]
	s_xor_b32 s28, exec_lo, s7
	s_cbranch_execz .LBB6_6894
; %bb.6881:                             ;   in Loop: Header=BB6_6467 Depth=2
	v_mov_b32_e32 v2, 0
	s_mov_b32 s29, exec_lo
	v_cmpx_ne_u32_e32 0, v16
	s_cbranch_execz .LBB6_6893
; %bb.6882:                             ;   in Loop: Header=BB6_6467 Depth=2
	v_bfe_u32 v2, v16, 23, 8
	v_and_b32_e32 v18, 0x7fffff, v16
	s_delay_alu instid0(VALU_DEP_2) | instskip(SKIP_1) | instid1(VALU_DEP_3)
	v_sub_nc_u32_e32 v17, 0x79, v2
	v_cmp_gt_u32_e32 vcc_lo, 0x7a, v2
	v_or_b32_e32 v19, 0x800000, v18
	s_delay_alu instid0(VALU_DEP_3) | instskip(SKIP_1) | instid1(VALU_DEP_2)
	v_cndmask_b32_e32 v17, 0, v17, vcc_lo
	v_cmp_eq_u32_e32 vcc_lo, 0, v2
	v_cndmask_b32_e64 v54, v17, 0x78, vcc_lo
	s_delay_alu instid0(VALU_DEP_4) | instskip(NEXT) | instid1(VALU_DEP_2)
	v_cndmask_b32_e32 v86, v19, v18, vcc_lo
	v_dual_add_nc_u32 v16, 20, v54 :: v_dual_add_nc_u32 v55, 19, v54
	s_delay_alu instid0(VALU_DEP_1) | instskip(NEXT) | instid1(VALU_DEP_2)
	v_lshlrev_b64_e64 v[16:17], v16, -1
	v_lshlrev_b64_e64 v[18:19], v55, 1
	s_delay_alu instid0(VALU_DEP_2) | instskip(NEXT) | instid1(VALU_DEP_3)
	v_bfi_b32 v103, v17, 0, 0
	v_bfi_b32 v102, v16, 0, v86
	v_lshrrev_b64 v[16:17], v54, v[86:87]
	s_delay_alu instid0(VALU_DEP_2) | instskip(NEXT) | instid1(VALU_DEP_2)
	v_cmp_eq_u64_e64 s7, v[102:103], v[18:19]
	v_mov_b64_e32 v[18:19], v[16:17]
	s_and_saveexec_b32 s40, s7
; %bb.6883:                             ;   in Loop: Header=BB6_6467 Depth=2
	v_bfe_u32 v86, v16, 20, 1
	s_delay_alu instid0(VALU_DEP_1) | instskip(NEXT) | instid1(VALU_DEP_1)
	v_add_nc_u64_e32 v[18:19], v[16:17], v[86:87]
	v_add_nc_u64_e32 v[18:19], -1, v[18:19]
; %bb.6884:                             ;   in Loop: Header=BB6_6467 Depth=2
	s_or_b32 exec_lo, exec_lo, s40
	v_add_nc_u32_e32 v2, 0xffffff81, v2
	v_lshrrev_b32_e32 v17, 23, v16
	s_mov_b32 s7, exec_lo
	s_delay_alu instid0(VALU_DEP_2) | instskip(NEXT) | instid1(VALU_DEP_1)
	v_cndmask_b32_e64 v2, v2, 0xffffff82, vcc_lo
	v_add3_u32 v2, v54, v2, v17
	v_and_b32_e32 v17, 0xfffff, v18
                                        ; implicit-def: $vgpr18
	s_delay_alu instid0(VALU_DEP_1) | instskip(NEXT) | instid1(VALU_DEP_1)
	v_dual_add_nc_u32 v19, 6, v2 :: v_dual_add_nc_u32 v86, v17, v16
                                        ; implicit-def: $vgpr16_vgpr17
	v_cmpx_ne_u32_e32 0, v19
	s_xor_b32 s7, exec_lo, s7
; %bb.6885:                             ;   in Loop: Header=BB6_6467 Depth=2
	s_delay_alu instid0(VALU_DEP_2) | instskip(SKIP_1) | instid1(VALU_DEP_1)
	v_cmp_lt_u64_e32 vcc_lo, 0xffffff, v[86:87]
	v_add_nc_u32_e32 v2, 7, v2
	v_cndmask_b32_e32 v18, v19, v2, vcc_lo
	v_cndmask_b32_e64 v2, 0, 1, vcc_lo
	s_delay_alu instid0(VALU_DEP_1)
	v_lshrrev_b64 v[16:17], v2, v[86:87]
; %bb.6886:                             ;   in Loop: Header=BB6_6467 Depth=2
	s_and_not1_saveexec_b32 s7, s7
; %bb.6887:                             ;   in Loop: Header=BB6_6467 Depth=2
	v_mov_b64_e32 v[16:17], v[86:87]
	v_bfe_u32 v18, v86, 23, 1
; %bb.6888:                             ;   in Loop: Header=BB6_6467 Depth=2
	s_or_b32 exec_lo, exec_lo, s7
	s_delay_alu instid0(VALU_DEP_2) | instskip(NEXT) | instid1(VALU_DEP_2)
	v_lshrrev_b64 v[16:17], 20, v[16:17]
	v_cmp_gt_i32_e32 vcc_lo, 16, v18
	v_cmp_ne_u32_e64 s7, 0, v18
                                        ; implicit-def: $vgpr2
	s_delay_alu instid0(VALU_DEP_3) | instskip(NEXT) | instid1(VALU_DEP_1)
	v_dual_cndmask_b32 v17, 0, v17 :: v_dual_cndmask_b32 v16, 7, v16
	v_cmp_ne_u64_e32 vcc_lo, 0, v[16:17]
	s_or_b32 s7, s7, vcc_lo
	s_delay_alu instid0(SALU_CYCLE_1) | instskip(NEXT) | instid1(SALU_CYCLE_1)
	s_and_saveexec_b32 s40, s7
	s_xor_b32 s7, exec_lo, s40
; %bb.6889:                             ;   in Loop: Header=BB6_6467 Depth=2
	v_min_i32_e32 v2, 15, v18
	s_delay_alu instid0(VALU_DEP_1) | instskip(NEXT) | instid1(VALU_DEP_1)
	v_lshl_or_b32 v2, v2, 3, v31
                                        ; implicit-def: $vgpr31
	v_and_or_b32 v2, v16, 7, v2
; %bb.6890:                             ;   in Loop: Header=BB6_6467 Depth=2
	s_and_not1_saveexec_b32 s7, s7
; %bb.6891:                             ;   in Loop: Header=BB6_6467 Depth=2
	v_mov_b32_e32 v2, v31
; %bb.6892:                             ;   in Loop: Header=BB6_6467 Depth=2
	s_or_b32 exec_lo, exec_lo, s7
.LBB6_6893:                             ;   in Loop: Header=BB6_6467 Depth=2
	s_delay_alu instid0(SALU_CYCLE_1)
	s_or_b32 exec_lo, exec_lo, s29
                                        ; implicit-def: $vgpr31
.LBB6_6894:                             ;   in Loop: Header=BB6_6467 Depth=2
	s_and_not1_saveexec_b32 s7, s28
; %bb.6895:                             ;   in Loop: Header=BB6_6467 Depth=2
	v_or_b32_e32 v2, 0x7e, v31
; %bb.6896:                             ;   in Loop: Header=BB6_6467 Depth=2
	s_or_b32 exec_lo, exec_lo, s7
                                        ; implicit-def: $vgpr17
.LBB6_6897:                             ;   in Loop: Header=BB6_6467 Depth=2
	s_and_not1_saveexec_b32 s7, s27
; %bb.6898:                             ;   in Loop: Header=BB6_6467 Depth=2
	v_or_b32_e32 v2, 0x7f, v17
; %bb.6899:                             ;   in Loop: Header=BB6_6467 Depth=2
	s_or_b32 exec_lo, exec_lo, s7
	v_and_b32_e32 v18, 0xff, v108
	v_dual_mov_b32 v16, 0 :: v_dual_mov_b32 v17, 0
	s_mov_b32 s7, exec_lo
	s_delay_alu instid0(VALU_DEP_2)
	v_cmpx_ne_u16_e32 0, v18
	s_cbranch_execz .LBB6_6907
; %bb.6900:                             ;   in Loop: Header=BB6_6467 Depth=2
	v_bfrev_b32_e32 v17, 1
	s_mov_b32 s27, exec_lo
	v_cmpx_ne_u16_e32 0x80, v18
	s_cbranch_execz .LBB6_6906
; %bb.6901:                             ;   in Loop: Header=BB6_6467 Depth=2
	v_and_b32_e32 v19, 0x7f, v108
	v_mov_b32_e32 v17, 0x7f800001
	s_mov_b32 s28, exec_lo
	s_delay_alu instid0(VALU_DEP_2)
	v_cmpx_ne_u32_e32 0x7f, v19
	s_cbranch_execz .LBB6_6905
; %bb.6902:                             ;   in Loop: Header=BB6_6467 Depth=2
	v_dual_lshrrev_b32 v17, 3, v19 :: v_dual_bitop2_b32 v86, 7, v18 bitop3:0x40
	s_mov_b32 s29, exec_lo
	v_cmpx_gt_u32_e32 8, v19
; %bb.6903:                             ;   in Loop: Header=BB6_6467 Depth=2
	s_delay_alu instid0(VALU_DEP_2) | instskip(NEXT) | instid1(VALU_DEP_1)
	v_clz_i32_u32_e32 v17, v86
	v_min_u32_e32 v17, 32, v17
	s_delay_alu instid0(VALU_DEP_1) | instskip(NEXT) | instid1(VALU_DEP_1)
	v_subrev_nc_u32_e32 v18, 28, v17
	v_lshlrev_b64_e32 v[18:19], v18, v[86:87]
	s_delay_alu instid0(VALU_DEP_1)
	v_dual_sub_nc_u32 v17, 29, v17 :: v_dual_bitop2_b32 v86, 7, v18 bitop3:0x40
; %bb.6904:                             ;   in Loop: Header=BB6_6467 Depth=2
	s_or_b32 exec_lo, exec_lo, s29
	s_delay_alu instid0(VALU_DEP_1) | instskip(NEXT) | instid1(VALU_DEP_2)
	v_dual_lshlrev_b32 v18, 24, v108 :: v_dual_lshlrev_b32 v19, 20, v86
	v_lshl_add_u32 v17, v17, 23, 0x3c000000
	s_delay_alu instid0(VALU_DEP_2) | instskip(NEXT) | instid1(VALU_DEP_1)
	v_and_b32_e32 v18, 0x80000000, v18
	v_or3_b32 v17, v19, v18, v17
.LBB6_6905:                             ;   in Loop: Header=BB6_6467 Depth=2
	s_or_b32 exec_lo, exec_lo, s28
.LBB6_6906:                             ;   in Loop: Header=BB6_6467 Depth=2
	s_delay_alu instid0(SALU_CYCLE_1)
	s_or_b32 exec_lo, exec_lo, s27
.LBB6_6907:                             ;   in Loop: Header=BB6_6467 Depth=2
	s_delay_alu instid0(SALU_CYCLE_1) | instskip(SKIP_3) | instid1(VALU_DEP_1)
	s_or_b32 exec_lo, exec_lo, s7
	s_wait_loadcnt_dscnt 0x1313
	v_and_b32_e32 v18, 0xff, v79
	s_mov_b32 s7, exec_lo
	v_cmpx_ne_u16_e32 0, v18
	s_cbranch_execz .LBB6_6915
; %bb.6908:                             ;   in Loop: Header=BB6_6467 Depth=2
	v_bfrev_b32_e32 v16, 1
	s_mov_b32 s27, exec_lo
	v_cmpx_ne_u16_e32 0x80, v18
	s_cbranch_execz .LBB6_6914
; %bb.6909:                             ;   in Loop: Header=BB6_6467 Depth=2
	v_and_b32_e32 v19, 0x7f, v79
	v_mov_b32_e32 v16, 0x7f800001
	s_mov_b32 s28, exec_lo
	s_delay_alu instid0(VALU_DEP_2)
	v_cmpx_ne_u32_e32 0x7f, v19
	s_cbranch_execz .LBB6_6913
; %bb.6910:                             ;   in Loop: Header=BB6_6467 Depth=2
	v_dual_lshrrev_b32 v16, 3, v19 :: v_dual_bitop2_b32 v86, 7, v18 bitop3:0x40
	s_mov_b32 s29, exec_lo
	v_cmpx_gt_u32_e32 8, v19
; %bb.6911:                             ;   in Loop: Header=BB6_6467 Depth=2
	s_delay_alu instid0(VALU_DEP_2) | instskip(NEXT) | instid1(VALU_DEP_1)
	v_clz_i32_u32_e32 v16, v86
	v_min_u32_e32 v16, 32, v16
	s_delay_alu instid0(VALU_DEP_1) | instskip(NEXT) | instid1(VALU_DEP_1)
	v_subrev_nc_u32_e32 v18, 28, v16
	v_lshlrev_b64_e32 v[18:19], v18, v[86:87]
	s_delay_alu instid0(VALU_DEP_1)
	v_dual_sub_nc_u32 v16, 29, v16 :: v_dual_bitop2_b32 v86, 7, v18 bitop3:0x40
; %bb.6912:                             ;   in Loop: Header=BB6_6467 Depth=2
	s_or_b32 exec_lo, exec_lo, s29
	s_delay_alu instid0(VALU_DEP_1) | instskip(NEXT) | instid1(VALU_DEP_2)
	v_dual_lshlrev_b32 v18, 24, v79 :: v_dual_lshlrev_b32 v19, 20, v86
	v_lshl_add_u32 v16, v16, 23, 0x3c000000
	s_delay_alu instid0(VALU_DEP_2) | instskip(NEXT) | instid1(VALU_DEP_1)
	v_and_b32_e32 v18, 0x80000000, v18
	v_or3_b32 v16, v19, v18, v16
.LBB6_6913:                             ;   in Loop: Header=BB6_6467 Depth=2
	s_or_b32 exec_lo, exec_lo, s28
.LBB6_6914:                             ;   in Loop: Header=BB6_6467 Depth=2
	s_delay_alu instid0(SALU_CYCLE_1)
	s_or_b32 exec_lo, exec_lo, s27
.LBB6_6915:                             ;   in Loop: Header=BB6_6467 Depth=2
	s_delay_alu instid0(SALU_CYCLE_1) | instskip(NEXT) | instid1(VALU_DEP_1)
	s_or_b32 exec_lo, exec_lo, s7
	v_mul_f32_e32 v16, v17, v16
                                        ; implicit-def: $vgpr79
	s_mov_b32 s7, exec_lo
	s_delay_alu instid0(VALU_DEP_1) | instskip(SKIP_1) | instid1(VALU_DEP_2)
	v_and_b32_e32 v86, 0x7f800000, v16
	v_lshrrev_b32_e32 v17, 24, v16
	v_cmpx_ne_u64_e32 0x7f800000, v[86:87]
	s_xor_b32 s27, exec_lo, s7
	s_cbranch_execz .LBB6_6933
; %bb.6916:                             ;   in Loop: Header=BB6_6467 Depth=2
	v_and_b32_e32 v86, 0x7fffffff, v16
	v_and_b32_e32 v31, 0x80, v17
                                        ; implicit-def: $vgpr79
	s_mov_b32 s7, exec_lo
	s_delay_alu instid0(VALU_DEP_2)
	v_cmpx_gt_u64_e32 0x43e00001, v[86:87]
	s_xor_b32 s28, exec_lo, s7
	s_cbranch_execz .LBB6_6930
; %bb.6917:                             ;   in Loop: Header=BB6_6467 Depth=2
	v_mov_b32_e32 v79, 0
	s_mov_b32 s29, exec_lo
	v_cmpx_ne_u32_e32 0, v16
	s_cbranch_execz .LBB6_6929
; %bb.6918:                             ;   in Loop: Header=BB6_6467 Depth=2
	v_bfe_u32 v54, v16, 23, 8
	v_and_b32_e32 v18, 0x7fffff, v16
	s_delay_alu instid0(VALU_DEP_2) | instskip(SKIP_1) | instid1(VALU_DEP_3)
	v_sub_nc_u32_e32 v17, 0x79, v54
	v_cmp_gt_u32_e32 vcc_lo, 0x7a, v54
	v_or_b32_e32 v19, 0x800000, v18
	s_delay_alu instid0(VALU_DEP_3) | instskip(SKIP_1) | instid1(VALU_DEP_2)
	v_cndmask_b32_e32 v17, 0, v17, vcc_lo
	v_cmp_eq_u32_e32 vcc_lo, 0, v54
	v_cndmask_b32_e64 v55, v17, 0x78, vcc_lo
	s_delay_alu instid0(VALU_DEP_1) | instskip(SKIP_1) | instid1(VALU_DEP_2)
	v_dual_cndmask_b32 v86, v19, v18, vcc_lo :: v_dual_add_nc_u32 v66, 19, v55
	v_add_nc_u32_e32 v16, 20, v55
	v_lshlrev_b64_e64 v[18:19], v66, 1
	s_delay_alu instid0(VALU_DEP_2) | instskip(NEXT) | instid1(VALU_DEP_1)
	v_lshlrev_b64_e64 v[16:17], v16, -1
	v_bfi_b32 v103, v17, 0, 0
	s_delay_alu instid0(VALU_DEP_2) | instskip(SKIP_1) | instid1(VALU_DEP_2)
	v_bfi_b32 v102, v16, 0, v86
	v_lshrrev_b64 v[16:17], v55, v[86:87]
	v_cmp_eq_u64_e64 s7, v[102:103], v[18:19]
	s_delay_alu instid0(VALU_DEP_2)
	v_mov_b64_e32 v[18:19], v[16:17]
	s_and_saveexec_b32 s40, s7
; %bb.6919:                             ;   in Loop: Header=BB6_6467 Depth=2
	v_bfe_u32 v86, v16, 20, 1
	s_delay_alu instid0(VALU_DEP_1) | instskip(NEXT) | instid1(VALU_DEP_1)
	v_add_nc_u64_e32 v[18:19], v[16:17], v[86:87]
	v_add_nc_u64_e32 v[18:19], -1, v[18:19]
; %bb.6920:                             ;   in Loop: Header=BB6_6467 Depth=2
	s_or_b32 exec_lo, exec_lo, s40
	v_add_nc_u32_e32 v17, 0xffffff81, v54
	v_lshrrev_b32_e32 v19, 23, v16
	s_mov_b32 s7, exec_lo
	s_delay_alu instid0(VALU_DEP_2) | instskip(NEXT) | instid1(VALU_DEP_1)
	v_cndmask_b32_e64 v17, v17, 0xffffff82, vcc_lo
	v_add3_u32 v19, v55, v17, v19
	v_and_b32_e32 v17, 0xfffff, v18
                                        ; implicit-def: $vgpr18
	s_delay_alu instid0(VALU_DEP_1) | instskip(NEXT) | instid1(VALU_DEP_1)
	v_dual_add_nc_u32 v54, 6, v19 :: v_dual_add_nc_u32 v86, v17, v16
                                        ; implicit-def: $vgpr16_vgpr17
	v_cmpx_ne_u32_e32 0, v54
	s_xor_b32 s7, exec_lo, s7
; %bb.6921:                             ;   in Loop: Header=BB6_6467 Depth=2
	s_delay_alu instid0(VALU_DEP_2) | instskip(SKIP_1) | instid1(VALU_DEP_1)
	v_cmp_lt_u64_e32 vcc_lo, 0xffffff, v[86:87]
	v_add_nc_u32_e32 v16, 7, v19
	v_cndmask_b32_e32 v18, v54, v16, vcc_lo
	v_cndmask_b32_e64 v16, 0, 1, vcc_lo
	s_delay_alu instid0(VALU_DEP_1)
	v_lshrrev_b64 v[16:17], v16, v[86:87]
; %bb.6922:                             ;   in Loop: Header=BB6_6467 Depth=2
	s_and_not1_saveexec_b32 s7, s7
; %bb.6923:                             ;   in Loop: Header=BB6_6467 Depth=2
	v_mov_b64_e32 v[16:17], v[86:87]
	v_bfe_u32 v18, v86, 23, 1
; %bb.6924:                             ;   in Loop: Header=BB6_6467 Depth=2
	s_or_b32 exec_lo, exec_lo, s7
	s_delay_alu instid0(VALU_DEP_2) | instskip(NEXT) | instid1(VALU_DEP_2)
	v_lshrrev_b64 v[16:17], 20, v[16:17]
	v_cmp_gt_i32_e32 vcc_lo, 16, v18
	v_cmp_ne_u32_e64 s7, 0, v18
                                        ; implicit-def: $vgpr79
	s_delay_alu instid0(VALU_DEP_3) | instskip(NEXT) | instid1(VALU_DEP_1)
	v_dual_cndmask_b32 v17, 0, v17 :: v_dual_cndmask_b32 v16, 7, v16
	v_cmp_ne_u64_e32 vcc_lo, 0, v[16:17]
	s_or_b32 s7, s7, vcc_lo
	s_delay_alu instid0(SALU_CYCLE_1) | instskip(NEXT) | instid1(SALU_CYCLE_1)
	s_and_saveexec_b32 s40, s7
	s_xor_b32 s7, exec_lo, s40
; %bb.6925:                             ;   in Loop: Header=BB6_6467 Depth=2
	v_min_i32_e32 v17, 15, v18
	s_delay_alu instid0(VALU_DEP_1) | instskip(NEXT) | instid1(VALU_DEP_1)
	v_lshl_or_b32 v17, v17, 3, v31
                                        ; implicit-def: $vgpr31
	v_and_or_b32 v79, v16, 7, v17
; %bb.6926:                             ;   in Loop: Header=BB6_6467 Depth=2
	s_and_not1_saveexec_b32 s7, s7
; %bb.6927:                             ;   in Loop: Header=BB6_6467 Depth=2
	v_mov_b32_e32 v79, v31
; %bb.6928:                             ;   in Loop: Header=BB6_6467 Depth=2
	s_or_b32 exec_lo, exec_lo, s7
.LBB6_6929:                             ;   in Loop: Header=BB6_6467 Depth=2
	s_delay_alu instid0(SALU_CYCLE_1)
	s_or_b32 exec_lo, exec_lo, s29
                                        ; implicit-def: $vgpr31
.LBB6_6930:                             ;   in Loop: Header=BB6_6467 Depth=2
	s_and_not1_saveexec_b32 s7, s28
; %bb.6931:                             ;   in Loop: Header=BB6_6467 Depth=2
	v_or_b32_e32 v79, 0x7e, v31
; %bb.6932:                             ;   in Loop: Header=BB6_6467 Depth=2
	s_or_b32 exec_lo, exec_lo, s7
                                        ; implicit-def: $vgpr17
.LBB6_6933:                             ;   in Loop: Header=BB6_6467 Depth=2
	s_and_not1_saveexec_b32 s7, s27
; %bb.6934:                             ;   in Loop: Header=BB6_6467 Depth=2
	v_or_b32_e32 v79, 0x7f, v17
; %bb.6935:                             ;   in Loop: Header=BB6_6467 Depth=2
	s_or_b32 exec_lo, exec_lo, s7
	v_and_b32_e32 v18, 0xff, v107
	v_dual_mov_b32 v16, 0 :: v_dual_mov_b32 v17, 0
	s_mov_b32 s7, exec_lo
	s_delay_alu instid0(VALU_DEP_2)
	v_cmpx_ne_u16_e32 0, v18
	s_cbranch_execz .LBB6_6943
; %bb.6936:                             ;   in Loop: Header=BB6_6467 Depth=2
	v_bfrev_b32_e32 v17, 1
	s_mov_b32 s27, exec_lo
	v_cmpx_ne_u16_e32 0x80, v18
	s_cbranch_execz .LBB6_6942
; %bb.6937:                             ;   in Loop: Header=BB6_6467 Depth=2
	v_and_b32_e32 v19, 0x7f, v107
	v_mov_b32_e32 v17, 0x7f800001
	s_mov_b32 s28, exec_lo
	s_delay_alu instid0(VALU_DEP_2)
	v_cmpx_ne_u32_e32 0x7f, v19
	s_cbranch_execz .LBB6_6941
; %bb.6938:                             ;   in Loop: Header=BB6_6467 Depth=2
	v_dual_lshrrev_b32 v17, 3, v19 :: v_dual_bitop2_b32 v86, 7, v18 bitop3:0x40
	s_mov_b32 s29, exec_lo
	v_cmpx_gt_u32_e32 8, v19
; %bb.6939:                             ;   in Loop: Header=BB6_6467 Depth=2
	s_delay_alu instid0(VALU_DEP_2) | instskip(NEXT) | instid1(VALU_DEP_1)
	v_clz_i32_u32_e32 v17, v86
	v_min_u32_e32 v17, 32, v17
	s_delay_alu instid0(VALU_DEP_1) | instskip(NEXT) | instid1(VALU_DEP_1)
	v_subrev_nc_u32_e32 v18, 28, v17
	v_lshlrev_b64_e32 v[18:19], v18, v[86:87]
	s_delay_alu instid0(VALU_DEP_1)
	v_dual_sub_nc_u32 v17, 29, v17 :: v_dual_bitop2_b32 v86, 7, v18 bitop3:0x40
; %bb.6940:                             ;   in Loop: Header=BB6_6467 Depth=2
	s_or_b32 exec_lo, exec_lo, s29
	s_delay_alu instid0(VALU_DEP_1) | instskip(NEXT) | instid1(VALU_DEP_2)
	v_dual_lshlrev_b32 v18, 24, v107 :: v_dual_lshlrev_b32 v19, 20, v86
	v_lshl_add_u32 v17, v17, 23, 0x3c000000
	s_delay_alu instid0(VALU_DEP_2) | instskip(NEXT) | instid1(VALU_DEP_1)
	v_and_b32_e32 v18, 0x80000000, v18
	v_or3_b32 v17, v19, v18, v17
.LBB6_6941:                             ;   in Loop: Header=BB6_6467 Depth=2
	s_or_b32 exec_lo, exec_lo, s28
.LBB6_6942:                             ;   in Loop: Header=BB6_6467 Depth=2
	s_delay_alu instid0(SALU_CYCLE_1)
	s_or_b32 exec_lo, exec_lo, s27
.LBB6_6943:                             ;   in Loop: Header=BB6_6467 Depth=2
	s_delay_alu instid0(SALU_CYCLE_1) | instskip(SKIP_3) | instid1(VALU_DEP_1)
	s_or_b32 exec_lo, exec_lo, s7
	s_wait_loadcnt_dscnt 0x1212
	v_and_b32_e32 v18, 0xff, v90
	s_mov_b32 s7, exec_lo
	v_cmpx_ne_u16_e32 0, v18
	s_cbranch_execz .LBB6_6951
; %bb.6944:                             ;   in Loop: Header=BB6_6467 Depth=2
	v_bfrev_b32_e32 v16, 1
	s_mov_b32 s27, exec_lo
	v_cmpx_ne_u16_e32 0x80, v18
	s_cbranch_execz .LBB6_6950
; %bb.6945:                             ;   in Loop: Header=BB6_6467 Depth=2
	v_and_b32_e32 v19, 0x7f, v90
	v_mov_b32_e32 v16, 0x7f800001
	s_mov_b32 s28, exec_lo
	s_delay_alu instid0(VALU_DEP_2)
	v_cmpx_ne_u32_e32 0x7f, v19
	s_cbranch_execz .LBB6_6949
; %bb.6946:                             ;   in Loop: Header=BB6_6467 Depth=2
	v_dual_lshrrev_b32 v16, 3, v19 :: v_dual_bitop2_b32 v86, 7, v18 bitop3:0x40
	s_mov_b32 s29, exec_lo
	v_cmpx_gt_u32_e32 8, v19
; %bb.6947:                             ;   in Loop: Header=BB6_6467 Depth=2
	s_delay_alu instid0(VALU_DEP_2) | instskip(NEXT) | instid1(VALU_DEP_1)
	v_clz_i32_u32_e32 v16, v86
	v_min_u32_e32 v16, 32, v16
	s_delay_alu instid0(VALU_DEP_1) | instskip(NEXT) | instid1(VALU_DEP_1)
	v_subrev_nc_u32_e32 v18, 28, v16
	v_lshlrev_b64_e32 v[18:19], v18, v[86:87]
	s_delay_alu instid0(VALU_DEP_1)
	v_dual_sub_nc_u32 v16, 29, v16 :: v_dual_bitop2_b32 v86, 7, v18 bitop3:0x40
; %bb.6948:                             ;   in Loop: Header=BB6_6467 Depth=2
	s_or_b32 exec_lo, exec_lo, s29
	v_lshlrev_b32_e32 v18, 24, v90
	s_delay_alu instid0(VALU_DEP_2) | instskip(NEXT) | instid1(VALU_DEP_3)
	v_lshlrev_b32_e32 v19, 20, v86
	v_lshl_add_u32 v16, v16, 23, 0x3c000000
	s_delay_alu instid0(VALU_DEP_3) | instskip(NEXT) | instid1(VALU_DEP_1)
	v_and_b32_e32 v18, 0x80000000, v18
	v_or3_b32 v16, v19, v18, v16
.LBB6_6949:                             ;   in Loop: Header=BB6_6467 Depth=2
	s_or_b32 exec_lo, exec_lo, s28
.LBB6_6950:                             ;   in Loop: Header=BB6_6467 Depth=2
	s_delay_alu instid0(SALU_CYCLE_1)
	s_or_b32 exec_lo, exec_lo, s27
.LBB6_6951:                             ;   in Loop: Header=BB6_6467 Depth=2
	s_delay_alu instid0(SALU_CYCLE_1) | instskip(NEXT) | instid1(VALU_DEP_1)
	s_or_b32 exec_lo, exec_lo, s7
	v_mul_f32_e32 v16, v17, v16
                                        ; implicit-def: $vgpr90
	s_mov_b32 s7, exec_lo
	s_delay_alu instid0(VALU_DEP_1) | instskip(SKIP_1) | instid1(VALU_DEP_2)
	v_and_b32_e32 v86, 0x7f800000, v16
	v_lshrrev_b32_e32 v17, 24, v16
	v_cmpx_ne_u64_e32 0x7f800000, v[86:87]
	s_xor_b32 s27, exec_lo, s7
	s_cbranch_execz .LBB6_6969
; %bb.6952:                             ;   in Loop: Header=BB6_6467 Depth=2
	v_and_b32_e32 v86, 0x7fffffff, v16
	v_and_b32_e32 v31, 0x80, v17
                                        ; implicit-def: $vgpr90
	s_mov_b32 s7, exec_lo
	s_delay_alu instid0(VALU_DEP_2)
	v_cmpx_gt_u64_e32 0x43e00001, v[86:87]
	s_xor_b32 s28, exec_lo, s7
	s_cbranch_execz .LBB6_6966
; %bb.6953:                             ;   in Loop: Header=BB6_6467 Depth=2
	v_mov_b32_e32 v90, 0
	s_mov_b32 s29, exec_lo
	v_cmpx_ne_u32_e32 0, v16
	s_cbranch_execz .LBB6_6965
; %bb.6954:                             ;   in Loop: Header=BB6_6467 Depth=2
	v_bfe_u32 v54, v16, 23, 8
	v_and_b32_e32 v18, 0x7fffff, v16
	s_delay_alu instid0(VALU_DEP_2) | instskip(SKIP_1) | instid1(VALU_DEP_3)
	v_sub_nc_u32_e32 v17, 0x79, v54
	v_cmp_gt_u32_e32 vcc_lo, 0x7a, v54
	v_or_b32_e32 v19, 0x800000, v18
	s_delay_alu instid0(VALU_DEP_3) | instskip(SKIP_1) | instid1(VALU_DEP_2)
	v_cndmask_b32_e32 v17, 0, v17, vcc_lo
	v_cmp_eq_u32_e32 vcc_lo, 0, v54
	v_cndmask_b32_e64 v55, v17, 0x78, vcc_lo
	s_delay_alu instid0(VALU_DEP_1) | instskip(SKIP_1) | instid1(VALU_DEP_2)
	v_dual_cndmask_b32 v86, v19, v18, vcc_lo :: v_dual_add_nc_u32 v66, 19, v55
	v_add_nc_u32_e32 v16, 20, v55
	v_lshlrev_b64_e64 v[18:19], v66, 1
	s_delay_alu instid0(VALU_DEP_2) | instskip(NEXT) | instid1(VALU_DEP_1)
	v_lshlrev_b64_e64 v[16:17], v16, -1
	v_bfi_b32 v103, v17, 0, 0
	s_delay_alu instid0(VALU_DEP_2) | instskip(SKIP_1) | instid1(VALU_DEP_2)
	v_bfi_b32 v102, v16, 0, v86
	v_lshrrev_b64 v[16:17], v55, v[86:87]
	v_cmp_eq_u64_e64 s7, v[102:103], v[18:19]
	s_delay_alu instid0(VALU_DEP_2)
	v_mov_b64_e32 v[18:19], v[16:17]
	s_and_saveexec_b32 s40, s7
; %bb.6955:                             ;   in Loop: Header=BB6_6467 Depth=2
	v_bfe_u32 v86, v16, 20, 1
	s_delay_alu instid0(VALU_DEP_1) | instskip(NEXT) | instid1(VALU_DEP_1)
	v_add_nc_u64_e32 v[18:19], v[16:17], v[86:87]
	v_add_nc_u64_e32 v[18:19], -1, v[18:19]
; %bb.6956:                             ;   in Loop: Header=BB6_6467 Depth=2
	s_or_b32 exec_lo, exec_lo, s40
	v_add_nc_u32_e32 v17, 0xffffff81, v54
	v_lshrrev_b32_e32 v19, 23, v16
	s_mov_b32 s7, exec_lo
	s_delay_alu instid0(VALU_DEP_2) | instskip(NEXT) | instid1(VALU_DEP_1)
	v_cndmask_b32_e64 v17, v17, 0xffffff82, vcc_lo
	v_add3_u32 v19, v55, v17, v19
	v_and_b32_e32 v17, 0xfffff, v18
                                        ; implicit-def: $vgpr18
	s_delay_alu instid0(VALU_DEP_1) | instskip(NEXT) | instid1(VALU_DEP_1)
	v_dual_add_nc_u32 v54, 6, v19 :: v_dual_add_nc_u32 v86, v17, v16
                                        ; implicit-def: $vgpr16_vgpr17
	v_cmpx_ne_u32_e32 0, v54
	s_xor_b32 s7, exec_lo, s7
; %bb.6957:                             ;   in Loop: Header=BB6_6467 Depth=2
	s_delay_alu instid0(VALU_DEP_2) | instskip(SKIP_1) | instid1(VALU_DEP_1)
	v_cmp_lt_u64_e32 vcc_lo, 0xffffff, v[86:87]
	v_add_nc_u32_e32 v16, 7, v19
	v_cndmask_b32_e32 v18, v54, v16, vcc_lo
	v_cndmask_b32_e64 v16, 0, 1, vcc_lo
	s_delay_alu instid0(VALU_DEP_1)
	v_lshrrev_b64 v[16:17], v16, v[86:87]
; %bb.6958:                             ;   in Loop: Header=BB6_6467 Depth=2
	s_and_not1_saveexec_b32 s7, s7
; %bb.6959:                             ;   in Loop: Header=BB6_6467 Depth=2
	v_mov_b64_e32 v[16:17], v[86:87]
	v_bfe_u32 v18, v86, 23, 1
; %bb.6960:                             ;   in Loop: Header=BB6_6467 Depth=2
	s_or_b32 exec_lo, exec_lo, s7
	s_delay_alu instid0(VALU_DEP_2) | instskip(NEXT) | instid1(VALU_DEP_2)
	v_lshrrev_b64 v[16:17], 20, v[16:17]
	v_cmp_gt_i32_e32 vcc_lo, 16, v18
	v_cmp_ne_u32_e64 s7, 0, v18
                                        ; implicit-def: $vgpr90
	s_delay_alu instid0(VALU_DEP_3) | instskip(NEXT) | instid1(VALU_DEP_1)
	v_dual_cndmask_b32 v17, 0, v17 :: v_dual_cndmask_b32 v16, 7, v16
	v_cmp_ne_u64_e32 vcc_lo, 0, v[16:17]
	s_or_b32 s7, s7, vcc_lo
	s_delay_alu instid0(SALU_CYCLE_1) | instskip(NEXT) | instid1(SALU_CYCLE_1)
	s_and_saveexec_b32 s40, s7
	s_xor_b32 s7, exec_lo, s40
; %bb.6961:                             ;   in Loop: Header=BB6_6467 Depth=2
	v_min_i32_e32 v17, 15, v18
	s_delay_alu instid0(VALU_DEP_1) | instskip(NEXT) | instid1(VALU_DEP_1)
	v_lshl_or_b32 v17, v17, 3, v31
                                        ; implicit-def: $vgpr31
	v_and_or_b32 v90, v16, 7, v17
; %bb.6962:                             ;   in Loop: Header=BB6_6467 Depth=2
	s_and_not1_saveexec_b32 s7, s7
; %bb.6963:                             ;   in Loop: Header=BB6_6467 Depth=2
	v_mov_b32_e32 v90, v31
; %bb.6964:                             ;   in Loop: Header=BB6_6467 Depth=2
	s_or_b32 exec_lo, exec_lo, s7
.LBB6_6965:                             ;   in Loop: Header=BB6_6467 Depth=2
	s_delay_alu instid0(SALU_CYCLE_1)
	s_or_b32 exec_lo, exec_lo, s29
                                        ; implicit-def: $vgpr31
.LBB6_6966:                             ;   in Loop: Header=BB6_6467 Depth=2
	s_and_not1_saveexec_b32 s7, s28
; %bb.6967:                             ;   in Loop: Header=BB6_6467 Depth=2
	v_or_b32_e32 v90, 0x7e, v31
; %bb.6968:                             ;   in Loop: Header=BB6_6467 Depth=2
	s_or_b32 exec_lo, exec_lo, s7
                                        ; implicit-def: $vgpr17
.LBB6_6969:                             ;   in Loop: Header=BB6_6467 Depth=2
	s_and_not1_saveexec_b32 s7, s27
; %bb.6970:                             ;   in Loop: Header=BB6_6467 Depth=2
	v_or_b32_e32 v90, 0x7f, v17
; %bb.6971:                             ;   in Loop: Header=BB6_6467 Depth=2
	s_or_b32 exec_lo, exec_lo, s7
	v_and_b32_e32 v18, 0xff, v106
	v_dual_mov_b32 v16, 0 :: v_dual_mov_b32 v17, 0
	s_mov_b32 s7, exec_lo
	s_delay_alu instid0(VALU_DEP_2)
	v_cmpx_ne_u16_e32 0, v18
	s_cbranch_execz .LBB6_6979
; %bb.6972:                             ;   in Loop: Header=BB6_6467 Depth=2
	v_bfrev_b32_e32 v17, 1
	s_mov_b32 s27, exec_lo
	v_cmpx_ne_u16_e32 0x80, v18
	s_cbranch_execz .LBB6_6978
; %bb.6973:                             ;   in Loop: Header=BB6_6467 Depth=2
	v_and_b32_e32 v19, 0x7f, v106
	v_mov_b32_e32 v17, 0x7f800001
	s_mov_b32 s28, exec_lo
	s_delay_alu instid0(VALU_DEP_2)
	v_cmpx_ne_u32_e32 0x7f, v19
	s_cbranch_execz .LBB6_6977
; %bb.6974:                             ;   in Loop: Header=BB6_6467 Depth=2
	v_dual_lshrrev_b32 v17, 3, v19 :: v_dual_bitop2_b32 v86, 7, v18 bitop3:0x40
	s_mov_b32 s29, exec_lo
	v_cmpx_gt_u32_e32 8, v19
; %bb.6975:                             ;   in Loop: Header=BB6_6467 Depth=2
	s_delay_alu instid0(VALU_DEP_2) | instskip(NEXT) | instid1(VALU_DEP_1)
	v_clz_i32_u32_e32 v17, v86
	v_min_u32_e32 v17, 32, v17
	s_delay_alu instid0(VALU_DEP_1) | instskip(NEXT) | instid1(VALU_DEP_1)
	v_subrev_nc_u32_e32 v18, 28, v17
	v_lshlrev_b64_e32 v[18:19], v18, v[86:87]
	s_delay_alu instid0(VALU_DEP_1)
	v_dual_sub_nc_u32 v17, 29, v17 :: v_dual_bitop2_b32 v86, 7, v18 bitop3:0x40
; %bb.6976:                             ;   in Loop: Header=BB6_6467 Depth=2
	s_or_b32 exec_lo, exec_lo, s29
	v_lshlrev_b32_e32 v18, 24, v106
	s_delay_alu instid0(VALU_DEP_2) | instskip(NEXT) | instid1(VALU_DEP_3)
	v_lshlrev_b32_e32 v19, 20, v86
	v_lshl_add_u32 v17, v17, 23, 0x3c000000
	s_delay_alu instid0(VALU_DEP_3) | instskip(NEXT) | instid1(VALU_DEP_1)
	v_and_b32_e32 v18, 0x80000000, v18
	v_or3_b32 v17, v19, v18, v17
.LBB6_6977:                             ;   in Loop: Header=BB6_6467 Depth=2
	s_or_b32 exec_lo, exec_lo, s28
.LBB6_6978:                             ;   in Loop: Header=BB6_6467 Depth=2
	s_delay_alu instid0(SALU_CYCLE_1)
	s_or_b32 exec_lo, exec_lo, s27
.LBB6_6979:                             ;   in Loop: Header=BB6_6467 Depth=2
	s_delay_alu instid0(SALU_CYCLE_1) | instskip(SKIP_3) | instid1(VALU_DEP_1)
	s_or_b32 exec_lo, exec_lo, s7
	s_wait_loadcnt_dscnt 0x1111
	v_and_b32_e32 v18, 0xff, v93
	s_mov_b32 s7, exec_lo
	v_cmpx_ne_u16_e32 0, v18
	s_cbranch_execz .LBB6_6987
; %bb.6980:                             ;   in Loop: Header=BB6_6467 Depth=2
	v_bfrev_b32_e32 v16, 1
	s_mov_b32 s27, exec_lo
	v_cmpx_ne_u16_e32 0x80, v18
	s_cbranch_execz .LBB6_6986
; %bb.6981:                             ;   in Loop: Header=BB6_6467 Depth=2
	v_and_b32_e32 v19, 0x7f, v93
	v_mov_b32_e32 v16, 0x7f800001
	s_mov_b32 s28, exec_lo
	s_delay_alu instid0(VALU_DEP_2)
	v_cmpx_ne_u32_e32 0x7f, v19
	s_cbranch_execz .LBB6_6985
; %bb.6982:                             ;   in Loop: Header=BB6_6467 Depth=2
	v_dual_lshrrev_b32 v16, 3, v19 :: v_dual_bitop2_b32 v86, 7, v18 bitop3:0x40
	s_mov_b32 s29, exec_lo
	v_cmpx_gt_u32_e32 8, v19
; %bb.6983:                             ;   in Loop: Header=BB6_6467 Depth=2
	s_delay_alu instid0(VALU_DEP_2) | instskip(NEXT) | instid1(VALU_DEP_1)
	v_clz_i32_u32_e32 v16, v86
	v_min_u32_e32 v16, 32, v16
	s_delay_alu instid0(VALU_DEP_1) | instskip(NEXT) | instid1(VALU_DEP_1)
	v_subrev_nc_u32_e32 v18, 28, v16
	v_lshlrev_b64_e32 v[18:19], v18, v[86:87]
	s_delay_alu instid0(VALU_DEP_1)
	v_dual_sub_nc_u32 v16, 29, v16 :: v_dual_bitop2_b32 v86, 7, v18 bitop3:0x40
; %bb.6984:                             ;   in Loop: Header=BB6_6467 Depth=2
	s_or_b32 exec_lo, exec_lo, s29
	s_delay_alu instid0(VALU_DEP_1) | instskip(NEXT) | instid1(VALU_DEP_2)
	v_dual_lshlrev_b32 v18, 24, v93 :: v_dual_lshlrev_b32 v19, 20, v86
	v_lshl_add_u32 v16, v16, 23, 0x3c000000
	s_delay_alu instid0(VALU_DEP_2) | instskip(NEXT) | instid1(VALU_DEP_1)
	v_and_b32_e32 v18, 0x80000000, v18
	v_or3_b32 v16, v19, v18, v16
.LBB6_6985:                             ;   in Loop: Header=BB6_6467 Depth=2
	s_or_b32 exec_lo, exec_lo, s28
.LBB6_6986:                             ;   in Loop: Header=BB6_6467 Depth=2
	s_delay_alu instid0(SALU_CYCLE_1)
	s_or_b32 exec_lo, exec_lo, s27
.LBB6_6987:                             ;   in Loop: Header=BB6_6467 Depth=2
	s_delay_alu instid0(SALU_CYCLE_1) | instskip(NEXT) | instid1(VALU_DEP_1)
	s_or_b32 exec_lo, exec_lo, s7
	v_mul_f32_e32 v16, v17, v16
                                        ; implicit-def: $vgpr93
	s_mov_b32 s7, exec_lo
	s_delay_alu instid0(VALU_DEP_1) | instskip(SKIP_1) | instid1(VALU_DEP_2)
	v_and_b32_e32 v86, 0x7f800000, v16
	v_lshrrev_b32_e32 v17, 24, v16
	v_cmpx_ne_u64_e32 0x7f800000, v[86:87]
	s_xor_b32 s27, exec_lo, s7
	s_cbranch_execz .LBB6_7005
; %bb.6988:                             ;   in Loop: Header=BB6_6467 Depth=2
	v_and_b32_e32 v86, 0x7fffffff, v16
	v_and_b32_e32 v31, 0x80, v17
                                        ; implicit-def: $vgpr93
	s_mov_b32 s7, exec_lo
	s_delay_alu instid0(VALU_DEP_2)
	v_cmpx_gt_u64_e32 0x43e00001, v[86:87]
	s_xor_b32 s28, exec_lo, s7
	s_cbranch_execz .LBB6_7002
; %bb.6989:                             ;   in Loop: Header=BB6_6467 Depth=2
	v_mov_b32_e32 v93, 0
	s_mov_b32 s29, exec_lo
	v_cmpx_ne_u32_e32 0, v16
	s_cbranch_execz .LBB6_7001
; %bb.6990:                             ;   in Loop: Header=BB6_6467 Depth=2
	v_bfe_u32 v54, v16, 23, 8
	v_and_b32_e32 v18, 0x7fffff, v16
	s_delay_alu instid0(VALU_DEP_2) | instskip(SKIP_1) | instid1(VALU_DEP_3)
	v_sub_nc_u32_e32 v17, 0x79, v54
	v_cmp_gt_u32_e32 vcc_lo, 0x7a, v54
	v_or_b32_e32 v19, 0x800000, v18
	s_delay_alu instid0(VALU_DEP_3) | instskip(SKIP_1) | instid1(VALU_DEP_2)
	v_cndmask_b32_e32 v17, 0, v17, vcc_lo
	v_cmp_eq_u32_e32 vcc_lo, 0, v54
	v_cndmask_b32_e64 v55, v17, 0x78, vcc_lo
	s_delay_alu instid0(VALU_DEP_1) | instskip(SKIP_1) | instid1(VALU_DEP_2)
	v_dual_cndmask_b32 v86, v19, v18, vcc_lo :: v_dual_add_nc_u32 v66, 19, v55
	v_add_nc_u32_e32 v16, 20, v55
	v_lshlrev_b64_e64 v[18:19], v66, 1
	s_delay_alu instid0(VALU_DEP_2) | instskip(NEXT) | instid1(VALU_DEP_1)
	v_lshlrev_b64_e64 v[16:17], v16, -1
	v_bfi_b32 v103, v17, 0, 0
	s_delay_alu instid0(VALU_DEP_2) | instskip(SKIP_1) | instid1(VALU_DEP_2)
	v_bfi_b32 v102, v16, 0, v86
	v_lshrrev_b64 v[16:17], v55, v[86:87]
	v_cmp_eq_u64_e64 s7, v[102:103], v[18:19]
	s_delay_alu instid0(VALU_DEP_2)
	v_mov_b64_e32 v[18:19], v[16:17]
	s_and_saveexec_b32 s40, s7
; %bb.6991:                             ;   in Loop: Header=BB6_6467 Depth=2
	v_bfe_u32 v86, v16, 20, 1
	s_delay_alu instid0(VALU_DEP_1) | instskip(NEXT) | instid1(VALU_DEP_1)
	v_add_nc_u64_e32 v[18:19], v[16:17], v[86:87]
	v_add_nc_u64_e32 v[18:19], -1, v[18:19]
; %bb.6992:                             ;   in Loop: Header=BB6_6467 Depth=2
	s_or_b32 exec_lo, exec_lo, s40
	v_add_nc_u32_e32 v17, 0xffffff81, v54
	v_lshrrev_b32_e32 v19, 23, v16
	s_mov_b32 s7, exec_lo
	s_delay_alu instid0(VALU_DEP_2) | instskip(NEXT) | instid1(VALU_DEP_1)
	v_cndmask_b32_e64 v17, v17, 0xffffff82, vcc_lo
	v_add3_u32 v19, v55, v17, v19
	v_and_b32_e32 v17, 0xfffff, v18
                                        ; implicit-def: $vgpr18
	s_delay_alu instid0(VALU_DEP_1) | instskip(NEXT) | instid1(VALU_DEP_1)
	v_dual_add_nc_u32 v54, 6, v19 :: v_dual_add_nc_u32 v86, v17, v16
                                        ; implicit-def: $vgpr16_vgpr17
	v_cmpx_ne_u32_e32 0, v54
	s_xor_b32 s7, exec_lo, s7
; %bb.6993:                             ;   in Loop: Header=BB6_6467 Depth=2
	s_delay_alu instid0(VALU_DEP_2) | instskip(SKIP_1) | instid1(VALU_DEP_1)
	v_cmp_lt_u64_e32 vcc_lo, 0xffffff, v[86:87]
	v_add_nc_u32_e32 v16, 7, v19
	v_cndmask_b32_e32 v18, v54, v16, vcc_lo
	v_cndmask_b32_e64 v16, 0, 1, vcc_lo
	s_delay_alu instid0(VALU_DEP_1)
	v_lshrrev_b64 v[16:17], v16, v[86:87]
; %bb.6994:                             ;   in Loop: Header=BB6_6467 Depth=2
	s_and_not1_saveexec_b32 s7, s7
; %bb.6995:                             ;   in Loop: Header=BB6_6467 Depth=2
	v_mov_b64_e32 v[16:17], v[86:87]
	v_bfe_u32 v18, v86, 23, 1
; %bb.6996:                             ;   in Loop: Header=BB6_6467 Depth=2
	s_or_b32 exec_lo, exec_lo, s7
	s_delay_alu instid0(VALU_DEP_2) | instskip(NEXT) | instid1(VALU_DEP_2)
	v_lshrrev_b64 v[16:17], 20, v[16:17]
	v_cmp_gt_i32_e32 vcc_lo, 16, v18
	v_cmp_ne_u32_e64 s7, 0, v18
                                        ; implicit-def: $vgpr93
	s_delay_alu instid0(VALU_DEP_3) | instskip(NEXT) | instid1(VALU_DEP_1)
	v_dual_cndmask_b32 v17, 0, v17 :: v_dual_cndmask_b32 v16, 7, v16
	v_cmp_ne_u64_e32 vcc_lo, 0, v[16:17]
	s_or_b32 s7, s7, vcc_lo
	s_delay_alu instid0(SALU_CYCLE_1) | instskip(NEXT) | instid1(SALU_CYCLE_1)
	s_and_saveexec_b32 s40, s7
	s_xor_b32 s7, exec_lo, s40
; %bb.6997:                             ;   in Loop: Header=BB6_6467 Depth=2
	v_min_i32_e32 v17, 15, v18
	s_delay_alu instid0(VALU_DEP_1) | instskip(NEXT) | instid1(VALU_DEP_1)
	v_lshl_or_b32 v17, v17, 3, v31
                                        ; implicit-def: $vgpr31
	v_and_or_b32 v93, v16, 7, v17
; %bb.6998:                             ;   in Loop: Header=BB6_6467 Depth=2
	s_and_not1_saveexec_b32 s7, s7
; %bb.6999:                             ;   in Loop: Header=BB6_6467 Depth=2
	v_mov_b32_e32 v93, v31
; %bb.7000:                             ;   in Loop: Header=BB6_6467 Depth=2
	s_or_b32 exec_lo, exec_lo, s7
.LBB6_7001:                             ;   in Loop: Header=BB6_6467 Depth=2
	s_delay_alu instid0(SALU_CYCLE_1)
	s_or_b32 exec_lo, exec_lo, s29
                                        ; implicit-def: $vgpr31
.LBB6_7002:                             ;   in Loop: Header=BB6_6467 Depth=2
	s_and_not1_saveexec_b32 s7, s28
; %bb.7003:                             ;   in Loop: Header=BB6_6467 Depth=2
	v_or_b32_e32 v93, 0x7e, v31
; %bb.7004:                             ;   in Loop: Header=BB6_6467 Depth=2
	s_or_b32 exec_lo, exec_lo, s7
                                        ; implicit-def: $vgpr17
.LBB6_7005:                             ;   in Loop: Header=BB6_6467 Depth=2
	s_and_not1_saveexec_b32 s7, s27
; %bb.7006:                             ;   in Loop: Header=BB6_6467 Depth=2
	v_or_b32_e32 v93, 0x7f, v17
; %bb.7007:                             ;   in Loop: Header=BB6_6467 Depth=2
	s_or_b32 exec_lo, exec_lo, s7
	v_and_b32_e32 v18, 0xff, v105
	v_dual_mov_b32 v16, 0 :: v_dual_mov_b32 v17, 0
	s_mov_b32 s7, exec_lo
	s_delay_alu instid0(VALU_DEP_2)
	v_cmpx_ne_u16_e32 0, v18
	s_cbranch_execz .LBB6_7015
; %bb.7008:                             ;   in Loop: Header=BB6_6467 Depth=2
	v_bfrev_b32_e32 v17, 1
	s_mov_b32 s27, exec_lo
	v_cmpx_ne_u16_e32 0x80, v18
	s_cbranch_execz .LBB6_7014
; %bb.7009:                             ;   in Loop: Header=BB6_6467 Depth=2
	v_and_b32_e32 v19, 0x7f, v105
	v_mov_b32_e32 v17, 0x7f800001
	s_mov_b32 s28, exec_lo
	s_delay_alu instid0(VALU_DEP_2)
	v_cmpx_ne_u32_e32 0x7f, v19
	s_cbranch_execz .LBB6_7013
; %bb.7010:                             ;   in Loop: Header=BB6_6467 Depth=2
	v_dual_lshrrev_b32 v17, 3, v19 :: v_dual_bitop2_b32 v86, 7, v18 bitop3:0x40
	s_mov_b32 s29, exec_lo
	v_cmpx_gt_u32_e32 8, v19
; %bb.7011:                             ;   in Loop: Header=BB6_6467 Depth=2
	s_delay_alu instid0(VALU_DEP_2) | instskip(NEXT) | instid1(VALU_DEP_1)
	v_clz_i32_u32_e32 v17, v86
	v_min_u32_e32 v17, 32, v17
	s_delay_alu instid0(VALU_DEP_1) | instskip(NEXT) | instid1(VALU_DEP_1)
	v_subrev_nc_u32_e32 v18, 28, v17
	v_lshlrev_b64_e32 v[18:19], v18, v[86:87]
	s_delay_alu instid0(VALU_DEP_1)
	v_dual_sub_nc_u32 v17, 29, v17 :: v_dual_bitop2_b32 v86, 7, v18 bitop3:0x40
; %bb.7012:                             ;   in Loop: Header=BB6_6467 Depth=2
	s_or_b32 exec_lo, exec_lo, s29
	s_delay_alu instid0(VALU_DEP_1) | instskip(NEXT) | instid1(VALU_DEP_2)
	v_dual_lshlrev_b32 v18, 24, v105 :: v_dual_lshlrev_b32 v19, 20, v86
	v_lshl_add_u32 v17, v17, 23, 0x3c000000
	s_delay_alu instid0(VALU_DEP_2) | instskip(NEXT) | instid1(VALU_DEP_1)
	v_and_b32_e32 v18, 0x80000000, v18
	v_or3_b32 v17, v19, v18, v17
.LBB6_7013:                             ;   in Loop: Header=BB6_6467 Depth=2
	s_or_b32 exec_lo, exec_lo, s28
.LBB6_7014:                             ;   in Loop: Header=BB6_6467 Depth=2
	s_delay_alu instid0(SALU_CYCLE_1)
	s_or_b32 exec_lo, exec_lo, s27
.LBB6_7015:                             ;   in Loop: Header=BB6_6467 Depth=2
	s_delay_alu instid0(SALU_CYCLE_1) | instskip(SKIP_3) | instid1(VALU_DEP_1)
	s_or_b32 exec_lo, exec_lo, s7
	s_wait_loadcnt_dscnt 0x1010
	v_and_b32_e32 v18, 0xff, v104
	s_mov_b32 s7, exec_lo
	v_cmpx_ne_u16_e32 0, v18
	s_cbranch_execz .LBB6_7023
; %bb.7016:                             ;   in Loop: Header=BB6_6467 Depth=2
	v_bfrev_b32_e32 v16, 1
	s_mov_b32 s27, exec_lo
	v_cmpx_ne_u16_e32 0x80, v18
	s_cbranch_execz .LBB6_7022
; %bb.7017:                             ;   in Loop: Header=BB6_6467 Depth=2
	v_and_b32_e32 v19, 0x7f, v104
	v_mov_b32_e32 v16, 0x7f800001
	s_mov_b32 s28, exec_lo
	s_delay_alu instid0(VALU_DEP_2)
	v_cmpx_ne_u32_e32 0x7f, v19
	s_cbranch_execz .LBB6_7021
; %bb.7018:                             ;   in Loop: Header=BB6_6467 Depth=2
	v_dual_lshrrev_b32 v16, 3, v19 :: v_dual_bitop2_b32 v86, 7, v18 bitop3:0x40
	s_mov_b32 s29, exec_lo
	v_cmpx_gt_u32_e32 8, v19
; %bb.7019:                             ;   in Loop: Header=BB6_6467 Depth=2
	s_delay_alu instid0(VALU_DEP_2) | instskip(NEXT) | instid1(VALU_DEP_1)
	v_clz_i32_u32_e32 v16, v86
	v_min_u32_e32 v16, 32, v16
	s_delay_alu instid0(VALU_DEP_1) | instskip(NEXT) | instid1(VALU_DEP_1)
	v_subrev_nc_u32_e32 v18, 28, v16
	v_lshlrev_b64_e32 v[18:19], v18, v[86:87]
	s_delay_alu instid0(VALU_DEP_1)
	v_dual_sub_nc_u32 v16, 29, v16 :: v_dual_bitop2_b32 v86, 7, v18 bitop3:0x40
; %bb.7020:                             ;   in Loop: Header=BB6_6467 Depth=2
	s_or_b32 exec_lo, exec_lo, s29
	s_delay_alu instid0(VALU_DEP_1) | instskip(NEXT) | instid1(VALU_DEP_2)
	v_dual_lshlrev_b32 v18, 24, v104 :: v_dual_lshlrev_b32 v19, 20, v86
	v_lshl_add_u32 v16, v16, 23, 0x3c000000
	s_delay_alu instid0(VALU_DEP_2) | instskip(NEXT) | instid1(VALU_DEP_1)
	v_and_b32_e32 v18, 0x80000000, v18
	v_or3_b32 v16, v19, v18, v16
.LBB6_7021:                             ;   in Loop: Header=BB6_6467 Depth=2
	s_or_b32 exec_lo, exec_lo, s28
.LBB6_7022:                             ;   in Loop: Header=BB6_6467 Depth=2
	s_delay_alu instid0(SALU_CYCLE_1)
	s_or_b32 exec_lo, exec_lo, s27
.LBB6_7023:                             ;   in Loop: Header=BB6_6467 Depth=2
	s_delay_alu instid0(SALU_CYCLE_1) | instskip(NEXT) | instid1(VALU_DEP_1)
	s_or_b32 exec_lo, exec_lo, s7
	v_mul_f32_e32 v16, v17, v16
                                        ; implicit-def: $vgpr104
	s_mov_b32 s7, exec_lo
	s_delay_alu instid0(VALU_DEP_1) | instskip(SKIP_1) | instid1(VALU_DEP_2)
	v_and_b32_e32 v86, 0x7f800000, v16
	v_lshrrev_b32_e32 v17, 24, v16
	v_cmpx_ne_u64_e32 0x7f800000, v[86:87]
	s_xor_b32 s27, exec_lo, s7
	s_cbranch_execz .LBB6_7041
; %bb.7024:                             ;   in Loop: Header=BB6_6467 Depth=2
	v_and_b32_e32 v86, 0x7fffffff, v16
	v_and_b32_e32 v31, 0x80, v17
                                        ; implicit-def: $vgpr104
	s_mov_b32 s7, exec_lo
	s_delay_alu instid0(VALU_DEP_2)
	v_cmpx_gt_u64_e32 0x43e00001, v[86:87]
	s_xor_b32 s28, exec_lo, s7
	s_cbranch_execz .LBB6_7038
; %bb.7025:                             ;   in Loop: Header=BB6_6467 Depth=2
	v_mov_b32_e32 v104, 0
	s_mov_b32 s29, exec_lo
	v_cmpx_ne_u32_e32 0, v16
	s_cbranch_execz .LBB6_7037
; %bb.7026:                             ;   in Loop: Header=BB6_6467 Depth=2
	v_bfe_u32 v54, v16, 23, 8
	v_and_b32_e32 v18, 0x7fffff, v16
	s_delay_alu instid0(VALU_DEP_2) | instskip(SKIP_1) | instid1(VALU_DEP_3)
	v_sub_nc_u32_e32 v17, 0x79, v54
	v_cmp_gt_u32_e32 vcc_lo, 0x7a, v54
	v_or_b32_e32 v19, 0x800000, v18
	s_delay_alu instid0(VALU_DEP_3) | instskip(SKIP_1) | instid1(VALU_DEP_2)
	v_cndmask_b32_e32 v17, 0, v17, vcc_lo
	v_cmp_eq_u32_e32 vcc_lo, 0, v54
	v_cndmask_b32_e64 v55, v17, 0x78, vcc_lo
	s_delay_alu instid0(VALU_DEP_1) | instskip(SKIP_1) | instid1(VALU_DEP_2)
	v_dual_cndmask_b32 v86, v19, v18, vcc_lo :: v_dual_add_nc_u32 v66, 19, v55
	v_add_nc_u32_e32 v16, 20, v55
	v_lshlrev_b64_e64 v[18:19], v66, 1
	s_delay_alu instid0(VALU_DEP_2) | instskip(NEXT) | instid1(VALU_DEP_1)
	v_lshlrev_b64_e64 v[16:17], v16, -1
	v_bfi_b32 v103, v17, 0, 0
	s_delay_alu instid0(VALU_DEP_2) | instskip(SKIP_1) | instid1(VALU_DEP_2)
	v_bfi_b32 v102, v16, 0, v86
	v_lshrrev_b64 v[16:17], v55, v[86:87]
	v_cmp_eq_u64_e64 s7, v[102:103], v[18:19]
	s_delay_alu instid0(VALU_DEP_2)
	v_mov_b64_e32 v[18:19], v[16:17]
	s_and_saveexec_b32 s40, s7
; %bb.7027:                             ;   in Loop: Header=BB6_6467 Depth=2
	v_bfe_u32 v86, v16, 20, 1
	s_delay_alu instid0(VALU_DEP_1) | instskip(NEXT) | instid1(VALU_DEP_1)
	v_add_nc_u64_e32 v[18:19], v[16:17], v[86:87]
	v_add_nc_u64_e32 v[18:19], -1, v[18:19]
; %bb.7028:                             ;   in Loop: Header=BB6_6467 Depth=2
	s_or_b32 exec_lo, exec_lo, s40
	v_add_nc_u32_e32 v17, 0xffffff81, v54
	v_lshrrev_b32_e32 v19, 23, v16
	s_mov_b32 s7, exec_lo
	s_delay_alu instid0(VALU_DEP_2) | instskip(NEXT) | instid1(VALU_DEP_1)
	v_cndmask_b32_e64 v17, v17, 0xffffff82, vcc_lo
	v_add3_u32 v19, v55, v17, v19
	v_and_b32_e32 v17, 0xfffff, v18
                                        ; implicit-def: $vgpr18
	s_delay_alu instid0(VALU_DEP_1) | instskip(NEXT) | instid1(VALU_DEP_1)
	v_dual_add_nc_u32 v54, 6, v19 :: v_dual_add_nc_u32 v86, v17, v16
                                        ; implicit-def: $vgpr16_vgpr17
	v_cmpx_ne_u32_e32 0, v54
	s_xor_b32 s7, exec_lo, s7
; %bb.7029:                             ;   in Loop: Header=BB6_6467 Depth=2
	s_delay_alu instid0(VALU_DEP_2) | instskip(SKIP_1) | instid1(VALU_DEP_1)
	v_cmp_lt_u64_e32 vcc_lo, 0xffffff, v[86:87]
	v_add_nc_u32_e32 v16, 7, v19
	v_cndmask_b32_e32 v18, v54, v16, vcc_lo
	v_cndmask_b32_e64 v16, 0, 1, vcc_lo
	s_delay_alu instid0(VALU_DEP_1)
	v_lshrrev_b64 v[16:17], v16, v[86:87]
; %bb.7030:                             ;   in Loop: Header=BB6_6467 Depth=2
	s_and_not1_saveexec_b32 s7, s7
; %bb.7031:                             ;   in Loop: Header=BB6_6467 Depth=2
	v_mov_b64_e32 v[16:17], v[86:87]
	v_bfe_u32 v18, v86, 23, 1
; %bb.7032:                             ;   in Loop: Header=BB6_6467 Depth=2
	s_or_b32 exec_lo, exec_lo, s7
	s_delay_alu instid0(VALU_DEP_2) | instskip(NEXT) | instid1(VALU_DEP_2)
	v_lshrrev_b64 v[16:17], 20, v[16:17]
	v_cmp_gt_i32_e32 vcc_lo, 16, v18
	v_cmp_ne_u32_e64 s7, 0, v18
                                        ; implicit-def: $vgpr104
	s_delay_alu instid0(VALU_DEP_3) | instskip(NEXT) | instid1(VALU_DEP_1)
	v_dual_cndmask_b32 v17, 0, v17 :: v_dual_cndmask_b32 v16, 7, v16
	v_cmp_ne_u64_e32 vcc_lo, 0, v[16:17]
	s_or_b32 s7, s7, vcc_lo
	s_delay_alu instid0(SALU_CYCLE_1) | instskip(NEXT) | instid1(SALU_CYCLE_1)
	s_and_saveexec_b32 s40, s7
	s_xor_b32 s7, exec_lo, s40
; %bb.7033:                             ;   in Loop: Header=BB6_6467 Depth=2
	v_min_i32_e32 v17, 15, v18
	s_delay_alu instid0(VALU_DEP_1) | instskip(NEXT) | instid1(VALU_DEP_1)
	v_lshl_or_b32 v17, v17, 3, v31
                                        ; implicit-def: $vgpr31
	v_and_or_b32 v104, v16, 7, v17
; %bb.7034:                             ;   in Loop: Header=BB6_6467 Depth=2
	s_and_not1_saveexec_b32 s7, s7
; %bb.7035:                             ;   in Loop: Header=BB6_6467 Depth=2
	v_mov_b32_e32 v104, v31
; %bb.7036:                             ;   in Loop: Header=BB6_6467 Depth=2
	s_or_b32 exec_lo, exec_lo, s7
.LBB6_7037:                             ;   in Loop: Header=BB6_6467 Depth=2
	s_delay_alu instid0(SALU_CYCLE_1)
	s_or_b32 exec_lo, exec_lo, s29
                                        ; implicit-def: $vgpr31
.LBB6_7038:                             ;   in Loop: Header=BB6_6467 Depth=2
	s_and_not1_saveexec_b32 s7, s28
; %bb.7039:                             ;   in Loop: Header=BB6_6467 Depth=2
	v_or_b32_e32 v104, 0x7e, v31
; %bb.7040:                             ;   in Loop: Header=BB6_6467 Depth=2
	s_or_b32 exec_lo, exec_lo, s7
                                        ; implicit-def: $vgpr17
.LBB6_7041:                             ;   in Loop: Header=BB6_6467 Depth=2
	s_and_not1_saveexec_b32 s7, s27
; %bb.7042:                             ;   in Loop: Header=BB6_6467 Depth=2
	v_or_b32_e32 v104, 0x7f, v17
; %bb.7043:                             ;   in Loop: Header=BB6_6467 Depth=2
	s_or_b32 exec_lo, exec_lo, s7
	v_and_b32_e32 v18, 0xff, v95
	v_dual_mov_b32 v16, 0 :: v_dual_mov_b32 v17, 0
	s_mov_b32 s7, exec_lo
	s_delay_alu instid0(VALU_DEP_2)
	v_cmpx_ne_u16_e32 0, v18
	s_cbranch_execz .LBB6_7051
; %bb.7044:                             ;   in Loop: Header=BB6_6467 Depth=2
	v_bfrev_b32_e32 v17, 1
	s_mov_b32 s27, exec_lo
	v_cmpx_ne_u16_e32 0x80, v18
	s_cbranch_execz .LBB6_7050
; %bb.7045:                             ;   in Loop: Header=BB6_6467 Depth=2
	v_and_b32_e32 v19, 0x7f, v95
	v_mov_b32_e32 v17, 0x7f800001
	s_mov_b32 s28, exec_lo
	s_delay_alu instid0(VALU_DEP_2)
	v_cmpx_ne_u32_e32 0x7f, v19
	s_cbranch_execz .LBB6_7049
; %bb.7046:                             ;   in Loop: Header=BB6_6467 Depth=2
	v_dual_lshrrev_b32 v17, 3, v19 :: v_dual_bitop2_b32 v86, 7, v18 bitop3:0x40
	s_mov_b32 s29, exec_lo
	v_cmpx_gt_u32_e32 8, v19
; %bb.7047:                             ;   in Loop: Header=BB6_6467 Depth=2
	s_delay_alu instid0(VALU_DEP_2) | instskip(NEXT) | instid1(VALU_DEP_1)
	v_clz_i32_u32_e32 v17, v86
	v_min_u32_e32 v17, 32, v17
	s_delay_alu instid0(VALU_DEP_1) | instskip(NEXT) | instid1(VALU_DEP_1)
	v_subrev_nc_u32_e32 v18, 28, v17
	v_lshlrev_b64_e32 v[18:19], v18, v[86:87]
	s_delay_alu instid0(VALU_DEP_1)
	v_dual_sub_nc_u32 v17, 29, v17 :: v_dual_bitop2_b32 v86, 7, v18 bitop3:0x40
; %bb.7048:                             ;   in Loop: Header=BB6_6467 Depth=2
	s_or_b32 exec_lo, exec_lo, s29
	s_delay_alu instid0(VALU_DEP_1) | instskip(NEXT) | instid1(VALU_DEP_2)
	v_dual_lshlrev_b32 v18, 24, v95 :: v_dual_lshlrev_b32 v19, 20, v86
	v_lshl_add_u32 v17, v17, 23, 0x3c000000
	s_delay_alu instid0(VALU_DEP_2) | instskip(NEXT) | instid1(VALU_DEP_1)
	v_and_b32_e32 v18, 0x80000000, v18
	v_or3_b32 v17, v19, v18, v17
.LBB6_7049:                             ;   in Loop: Header=BB6_6467 Depth=2
	s_or_b32 exec_lo, exec_lo, s28
.LBB6_7050:                             ;   in Loop: Header=BB6_6467 Depth=2
	s_delay_alu instid0(SALU_CYCLE_1)
	s_or_b32 exec_lo, exec_lo, s27
.LBB6_7051:                             ;   in Loop: Header=BB6_6467 Depth=2
	s_delay_alu instid0(SALU_CYCLE_1) | instskip(SKIP_3) | instid1(VALU_DEP_1)
	s_or_b32 exec_lo, exec_lo, s7
	s_wait_loadcnt_dscnt 0xf0f
	v_and_b32_e32 v18, 0xff, v94
	s_mov_b32 s7, exec_lo
	v_cmpx_ne_u16_e32 0, v18
	s_cbranch_execz .LBB6_7059
; %bb.7052:                             ;   in Loop: Header=BB6_6467 Depth=2
	v_bfrev_b32_e32 v16, 1
	s_mov_b32 s27, exec_lo
	v_cmpx_ne_u16_e32 0x80, v18
	s_cbranch_execz .LBB6_7058
; %bb.7053:                             ;   in Loop: Header=BB6_6467 Depth=2
	v_and_b32_e32 v19, 0x7f, v94
	v_mov_b32_e32 v16, 0x7f800001
	s_mov_b32 s28, exec_lo
	s_delay_alu instid0(VALU_DEP_2)
	v_cmpx_ne_u32_e32 0x7f, v19
	s_cbranch_execz .LBB6_7057
; %bb.7054:                             ;   in Loop: Header=BB6_6467 Depth=2
	v_dual_lshrrev_b32 v16, 3, v19 :: v_dual_bitop2_b32 v86, 7, v18 bitop3:0x40
	s_mov_b32 s29, exec_lo
	v_cmpx_gt_u32_e32 8, v19
; %bb.7055:                             ;   in Loop: Header=BB6_6467 Depth=2
	s_delay_alu instid0(VALU_DEP_2) | instskip(NEXT) | instid1(VALU_DEP_1)
	v_clz_i32_u32_e32 v16, v86
	v_min_u32_e32 v16, 32, v16
	s_delay_alu instid0(VALU_DEP_1) | instskip(NEXT) | instid1(VALU_DEP_1)
	v_subrev_nc_u32_e32 v18, 28, v16
	v_lshlrev_b64_e32 v[18:19], v18, v[86:87]
	s_delay_alu instid0(VALU_DEP_1)
	v_dual_sub_nc_u32 v16, 29, v16 :: v_dual_bitop2_b32 v86, 7, v18 bitop3:0x40
; %bb.7056:                             ;   in Loop: Header=BB6_6467 Depth=2
	s_or_b32 exec_lo, exec_lo, s29
	v_lshlrev_b32_e32 v18, 24, v94
	s_delay_alu instid0(VALU_DEP_2) | instskip(NEXT) | instid1(VALU_DEP_3)
	v_lshlrev_b32_e32 v19, 20, v86
	v_lshl_add_u32 v16, v16, 23, 0x3c000000
	s_delay_alu instid0(VALU_DEP_3) | instskip(NEXT) | instid1(VALU_DEP_1)
	v_and_b32_e32 v18, 0x80000000, v18
	v_or3_b32 v16, v19, v18, v16
.LBB6_7057:                             ;   in Loop: Header=BB6_6467 Depth=2
	s_or_b32 exec_lo, exec_lo, s28
.LBB6_7058:                             ;   in Loop: Header=BB6_6467 Depth=2
	s_delay_alu instid0(SALU_CYCLE_1)
	s_or_b32 exec_lo, exec_lo, s27
.LBB6_7059:                             ;   in Loop: Header=BB6_6467 Depth=2
	s_delay_alu instid0(SALU_CYCLE_1) | instskip(NEXT) | instid1(VALU_DEP_1)
	s_or_b32 exec_lo, exec_lo, s7
	v_mul_f32_e32 v16, v17, v16
                                        ; implicit-def: $vgpr94
	s_mov_b32 s7, exec_lo
	s_delay_alu instid0(VALU_DEP_1) | instskip(SKIP_1) | instid1(VALU_DEP_2)
	v_and_b32_e32 v86, 0x7f800000, v16
	v_lshrrev_b32_e32 v17, 24, v16
	v_cmpx_ne_u64_e32 0x7f800000, v[86:87]
	s_xor_b32 s27, exec_lo, s7
	s_cbranch_execz .LBB6_7077
; %bb.7060:                             ;   in Loop: Header=BB6_6467 Depth=2
	v_and_b32_e32 v86, 0x7fffffff, v16
	v_and_b32_e32 v31, 0x80, v17
                                        ; implicit-def: $vgpr94
	s_mov_b32 s7, exec_lo
	s_delay_alu instid0(VALU_DEP_2)
	v_cmpx_gt_u64_e32 0x43e00001, v[86:87]
	s_xor_b32 s28, exec_lo, s7
	s_cbranch_execz .LBB6_7074
; %bb.7061:                             ;   in Loop: Header=BB6_6467 Depth=2
	v_mov_b32_e32 v94, 0
	s_mov_b32 s29, exec_lo
	v_cmpx_ne_u32_e32 0, v16
	s_cbranch_execz .LBB6_7073
; %bb.7062:                             ;   in Loop: Header=BB6_6467 Depth=2
	v_bfe_u32 v54, v16, 23, 8
	v_and_b32_e32 v18, 0x7fffff, v16
	s_delay_alu instid0(VALU_DEP_2) | instskip(SKIP_1) | instid1(VALU_DEP_3)
	v_sub_nc_u32_e32 v17, 0x79, v54
	v_cmp_gt_u32_e32 vcc_lo, 0x7a, v54
	v_or_b32_e32 v19, 0x800000, v18
	s_delay_alu instid0(VALU_DEP_3) | instskip(SKIP_1) | instid1(VALU_DEP_2)
	v_cndmask_b32_e32 v17, 0, v17, vcc_lo
	v_cmp_eq_u32_e32 vcc_lo, 0, v54
	v_cndmask_b32_e64 v55, v17, 0x78, vcc_lo
	s_delay_alu instid0(VALU_DEP_1) | instskip(SKIP_1) | instid1(VALU_DEP_2)
	v_dual_cndmask_b32 v86, v19, v18, vcc_lo :: v_dual_add_nc_u32 v66, 19, v55
	v_add_nc_u32_e32 v16, 20, v55
	v_lshlrev_b64_e64 v[18:19], v66, 1
	s_delay_alu instid0(VALU_DEP_2) | instskip(NEXT) | instid1(VALU_DEP_1)
	v_lshlrev_b64_e64 v[16:17], v16, -1
	v_bfi_b32 v103, v17, 0, 0
	s_delay_alu instid0(VALU_DEP_2) | instskip(SKIP_1) | instid1(VALU_DEP_2)
	v_bfi_b32 v102, v16, 0, v86
	v_lshrrev_b64 v[16:17], v55, v[86:87]
	v_cmp_eq_u64_e64 s7, v[102:103], v[18:19]
	s_delay_alu instid0(VALU_DEP_2)
	v_mov_b64_e32 v[18:19], v[16:17]
	s_and_saveexec_b32 s40, s7
; %bb.7063:                             ;   in Loop: Header=BB6_6467 Depth=2
	v_bfe_u32 v86, v16, 20, 1
	s_delay_alu instid0(VALU_DEP_1) | instskip(NEXT) | instid1(VALU_DEP_1)
	v_add_nc_u64_e32 v[18:19], v[16:17], v[86:87]
	v_add_nc_u64_e32 v[18:19], -1, v[18:19]
; %bb.7064:                             ;   in Loop: Header=BB6_6467 Depth=2
	s_or_b32 exec_lo, exec_lo, s40
	v_add_nc_u32_e32 v17, 0xffffff81, v54
	v_lshrrev_b32_e32 v19, 23, v16
	s_mov_b32 s7, exec_lo
	s_delay_alu instid0(VALU_DEP_2) | instskip(NEXT) | instid1(VALU_DEP_1)
	v_cndmask_b32_e64 v17, v17, 0xffffff82, vcc_lo
	v_add3_u32 v19, v55, v17, v19
	v_and_b32_e32 v17, 0xfffff, v18
                                        ; implicit-def: $vgpr18
	s_delay_alu instid0(VALU_DEP_1) | instskip(NEXT) | instid1(VALU_DEP_1)
	v_dual_add_nc_u32 v54, 6, v19 :: v_dual_add_nc_u32 v86, v17, v16
                                        ; implicit-def: $vgpr16_vgpr17
	v_cmpx_ne_u32_e32 0, v54
	s_xor_b32 s7, exec_lo, s7
; %bb.7065:                             ;   in Loop: Header=BB6_6467 Depth=2
	s_delay_alu instid0(VALU_DEP_2) | instskip(SKIP_1) | instid1(VALU_DEP_1)
	v_cmp_lt_u64_e32 vcc_lo, 0xffffff, v[86:87]
	v_add_nc_u32_e32 v16, 7, v19
	v_cndmask_b32_e32 v18, v54, v16, vcc_lo
	v_cndmask_b32_e64 v16, 0, 1, vcc_lo
	s_delay_alu instid0(VALU_DEP_1)
	v_lshrrev_b64 v[16:17], v16, v[86:87]
; %bb.7066:                             ;   in Loop: Header=BB6_6467 Depth=2
	s_and_not1_saveexec_b32 s7, s7
; %bb.7067:                             ;   in Loop: Header=BB6_6467 Depth=2
	v_mov_b64_e32 v[16:17], v[86:87]
	v_bfe_u32 v18, v86, 23, 1
; %bb.7068:                             ;   in Loop: Header=BB6_6467 Depth=2
	s_or_b32 exec_lo, exec_lo, s7
	s_delay_alu instid0(VALU_DEP_2) | instskip(NEXT) | instid1(VALU_DEP_2)
	v_lshrrev_b64 v[16:17], 20, v[16:17]
	v_cmp_gt_i32_e32 vcc_lo, 16, v18
	v_cmp_ne_u32_e64 s7, 0, v18
                                        ; implicit-def: $vgpr94
	s_delay_alu instid0(VALU_DEP_3) | instskip(NEXT) | instid1(VALU_DEP_1)
	v_dual_cndmask_b32 v17, 0, v17 :: v_dual_cndmask_b32 v16, 7, v16
	v_cmp_ne_u64_e32 vcc_lo, 0, v[16:17]
	s_or_b32 s7, s7, vcc_lo
	s_delay_alu instid0(SALU_CYCLE_1) | instskip(NEXT) | instid1(SALU_CYCLE_1)
	s_and_saveexec_b32 s40, s7
	s_xor_b32 s7, exec_lo, s40
; %bb.7069:                             ;   in Loop: Header=BB6_6467 Depth=2
	v_min_i32_e32 v17, 15, v18
	s_delay_alu instid0(VALU_DEP_1) | instskip(NEXT) | instid1(VALU_DEP_1)
	v_lshl_or_b32 v17, v17, 3, v31
                                        ; implicit-def: $vgpr31
	v_and_or_b32 v94, v16, 7, v17
; %bb.7070:                             ;   in Loop: Header=BB6_6467 Depth=2
	s_and_not1_saveexec_b32 s7, s7
; %bb.7071:                             ;   in Loop: Header=BB6_6467 Depth=2
	v_mov_b32_e32 v94, v31
; %bb.7072:                             ;   in Loop: Header=BB6_6467 Depth=2
	s_or_b32 exec_lo, exec_lo, s7
.LBB6_7073:                             ;   in Loop: Header=BB6_6467 Depth=2
	s_delay_alu instid0(SALU_CYCLE_1)
	s_or_b32 exec_lo, exec_lo, s29
                                        ; implicit-def: $vgpr31
.LBB6_7074:                             ;   in Loop: Header=BB6_6467 Depth=2
	s_and_not1_saveexec_b32 s7, s28
; %bb.7075:                             ;   in Loop: Header=BB6_6467 Depth=2
	v_or_b32_e32 v94, 0x7e, v31
; %bb.7076:                             ;   in Loop: Header=BB6_6467 Depth=2
	s_or_b32 exec_lo, exec_lo, s7
                                        ; implicit-def: $vgpr17
.LBB6_7077:                             ;   in Loop: Header=BB6_6467 Depth=2
	s_and_not1_saveexec_b32 s7, s27
; %bb.7078:                             ;   in Loop: Header=BB6_6467 Depth=2
	v_or_b32_e32 v94, 0x7f, v17
; %bb.7079:                             ;   in Loop: Header=BB6_6467 Depth=2
	s_or_b32 exec_lo, exec_lo, s7
	v_and_b32_e32 v18, 0xff, v92
	v_dual_mov_b32 v16, 0 :: v_dual_mov_b32 v17, 0
	s_mov_b32 s7, exec_lo
	s_delay_alu instid0(VALU_DEP_2)
	v_cmpx_ne_u16_e32 0, v18
	s_cbranch_execz .LBB6_7087
; %bb.7080:                             ;   in Loop: Header=BB6_6467 Depth=2
	v_bfrev_b32_e32 v17, 1
	s_mov_b32 s27, exec_lo
	v_cmpx_ne_u16_e32 0x80, v18
	s_cbranch_execz .LBB6_7086
; %bb.7081:                             ;   in Loop: Header=BB6_6467 Depth=2
	v_and_b32_e32 v19, 0x7f, v92
	v_mov_b32_e32 v17, 0x7f800001
	s_mov_b32 s28, exec_lo
	s_delay_alu instid0(VALU_DEP_2)
	v_cmpx_ne_u32_e32 0x7f, v19
	s_cbranch_execz .LBB6_7085
; %bb.7082:                             ;   in Loop: Header=BB6_6467 Depth=2
	v_dual_lshrrev_b32 v17, 3, v19 :: v_dual_bitop2_b32 v86, 7, v18 bitop3:0x40
	s_mov_b32 s29, exec_lo
	v_cmpx_gt_u32_e32 8, v19
; %bb.7083:                             ;   in Loop: Header=BB6_6467 Depth=2
	s_delay_alu instid0(VALU_DEP_2) | instskip(NEXT) | instid1(VALU_DEP_1)
	v_clz_i32_u32_e32 v17, v86
	v_min_u32_e32 v17, 32, v17
	s_delay_alu instid0(VALU_DEP_1) | instskip(NEXT) | instid1(VALU_DEP_1)
	v_subrev_nc_u32_e32 v18, 28, v17
	v_lshlrev_b64_e32 v[18:19], v18, v[86:87]
	s_delay_alu instid0(VALU_DEP_1)
	v_dual_sub_nc_u32 v17, 29, v17 :: v_dual_bitop2_b32 v86, 7, v18 bitop3:0x40
; %bb.7084:                             ;   in Loop: Header=BB6_6467 Depth=2
	s_or_b32 exec_lo, exec_lo, s29
	s_delay_alu instid0(VALU_DEP_1) | instskip(NEXT) | instid1(VALU_DEP_2)
	v_dual_lshlrev_b32 v18, 24, v92 :: v_dual_lshlrev_b32 v19, 20, v86
	v_lshl_add_u32 v17, v17, 23, 0x3c000000
	s_delay_alu instid0(VALU_DEP_2) | instskip(NEXT) | instid1(VALU_DEP_1)
	v_and_b32_e32 v18, 0x80000000, v18
	v_or3_b32 v17, v19, v18, v17
.LBB6_7085:                             ;   in Loop: Header=BB6_6467 Depth=2
	s_or_b32 exec_lo, exec_lo, s28
.LBB6_7086:                             ;   in Loop: Header=BB6_6467 Depth=2
	s_delay_alu instid0(SALU_CYCLE_1)
	s_or_b32 exec_lo, exec_lo, s27
.LBB6_7087:                             ;   in Loop: Header=BB6_6467 Depth=2
	s_delay_alu instid0(SALU_CYCLE_1) | instskip(SKIP_3) | instid1(VALU_DEP_1)
	s_or_b32 exec_lo, exec_lo, s7
	s_wait_loadcnt_dscnt 0xe0e
	v_and_b32_e32 v18, 0xff, v91
	s_mov_b32 s7, exec_lo
	v_cmpx_ne_u16_e32 0, v18
	s_cbranch_execz .LBB6_7095
; %bb.7088:                             ;   in Loop: Header=BB6_6467 Depth=2
	v_bfrev_b32_e32 v16, 1
	s_mov_b32 s27, exec_lo
	v_cmpx_ne_u16_e32 0x80, v18
	s_cbranch_execz .LBB6_7094
; %bb.7089:                             ;   in Loop: Header=BB6_6467 Depth=2
	v_and_b32_e32 v19, 0x7f, v91
	v_mov_b32_e32 v16, 0x7f800001
	s_mov_b32 s28, exec_lo
	s_delay_alu instid0(VALU_DEP_2)
	v_cmpx_ne_u32_e32 0x7f, v19
	s_cbranch_execz .LBB6_7093
; %bb.7090:                             ;   in Loop: Header=BB6_6467 Depth=2
	v_dual_lshrrev_b32 v16, 3, v19 :: v_dual_bitop2_b32 v86, 7, v18 bitop3:0x40
	s_mov_b32 s29, exec_lo
	v_cmpx_gt_u32_e32 8, v19
; %bb.7091:                             ;   in Loop: Header=BB6_6467 Depth=2
	s_delay_alu instid0(VALU_DEP_2) | instskip(NEXT) | instid1(VALU_DEP_1)
	v_clz_i32_u32_e32 v16, v86
	v_min_u32_e32 v16, 32, v16
	s_delay_alu instid0(VALU_DEP_1) | instskip(NEXT) | instid1(VALU_DEP_1)
	v_subrev_nc_u32_e32 v18, 28, v16
	v_lshlrev_b64_e32 v[18:19], v18, v[86:87]
	s_delay_alu instid0(VALU_DEP_1)
	v_dual_sub_nc_u32 v16, 29, v16 :: v_dual_bitop2_b32 v86, 7, v18 bitop3:0x40
; %bb.7092:                             ;   in Loop: Header=BB6_6467 Depth=2
	s_or_b32 exec_lo, exec_lo, s29
	s_delay_alu instid0(VALU_DEP_1) | instskip(NEXT) | instid1(VALU_DEP_2)
	v_dual_lshlrev_b32 v18, 24, v91 :: v_dual_lshlrev_b32 v19, 20, v86
	v_lshl_add_u32 v16, v16, 23, 0x3c000000
	s_delay_alu instid0(VALU_DEP_2) | instskip(NEXT) | instid1(VALU_DEP_1)
	v_and_b32_e32 v18, 0x80000000, v18
	v_or3_b32 v16, v19, v18, v16
.LBB6_7093:                             ;   in Loop: Header=BB6_6467 Depth=2
	s_or_b32 exec_lo, exec_lo, s28
.LBB6_7094:                             ;   in Loop: Header=BB6_6467 Depth=2
	s_delay_alu instid0(SALU_CYCLE_1)
	s_or_b32 exec_lo, exec_lo, s27
.LBB6_7095:                             ;   in Loop: Header=BB6_6467 Depth=2
	s_delay_alu instid0(SALU_CYCLE_1) | instskip(NEXT) | instid1(VALU_DEP_1)
	s_or_b32 exec_lo, exec_lo, s7
	v_mul_f32_e32 v16, v17, v16
                                        ; implicit-def: $vgpr91
	s_mov_b32 s7, exec_lo
	s_delay_alu instid0(VALU_DEP_1) | instskip(SKIP_1) | instid1(VALU_DEP_2)
	v_and_b32_e32 v86, 0x7f800000, v16
	v_lshrrev_b32_e32 v17, 24, v16
	v_cmpx_ne_u64_e32 0x7f800000, v[86:87]
	s_xor_b32 s27, exec_lo, s7
	s_cbranch_execz .LBB6_7113
; %bb.7096:                             ;   in Loop: Header=BB6_6467 Depth=2
	v_and_b32_e32 v86, 0x7fffffff, v16
	v_and_b32_e32 v31, 0x80, v17
                                        ; implicit-def: $vgpr91
	s_mov_b32 s7, exec_lo
	s_delay_alu instid0(VALU_DEP_2)
	v_cmpx_gt_u64_e32 0x43e00001, v[86:87]
	s_xor_b32 s28, exec_lo, s7
	s_cbranch_execz .LBB6_7110
; %bb.7097:                             ;   in Loop: Header=BB6_6467 Depth=2
	v_mov_b32_e32 v91, 0
	s_mov_b32 s29, exec_lo
	v_cmpx_ne_u32_e32 0, v16
	s_cbranch_execz .LBB6_7109
; %bb.7098:                             ;   in Loop: Header=BB6_6467 Depth=2
	v_bfe_u32 v54, v16, 23, 8
	v_and_b32_e32 v18, 0x7fffff, v16
	s_delay_alu instid0(VALU_DEP_2) | instskip(SKIP_1) | instid1(VALU_DEP_3)
	v_sub_nc_u32_e32 v17, 0x79, v54
	v_cmp_gt_u32_e32 vcc_lo, 0x7a, v54
	v_or_b32_e32 v19, 0x800000, v18
	s_delay_alu instid0(VALU_DEP_3) | instskip(SKIP_1) | instid1(VALU_DEP_2)
	v_cndmask_b32_e32 v17, 0, v17, vcc_lo
	v_cmp_eq_u32_e32 vcc_lo, 0, v54
	v_cndmask_b32_e64 v55, v17, 0x78, vcc_lo
	s_delay_alu instid0(VALU_DEP_1) | instskip(SKIP_1) | instid1(VALU_DEP_2)
	v_dual_cndmask_b32 v86, v19, v18, vcc_lo :: v_dual_add_nc_u32 v66, 19, v55
	v_add_nc_u32_e32 v16, 20, v55
	v_lshlrev_b64_e64 v[18:19], v66, 1
	s_delay_alu instid0(VALU_DEP_2) | instskip(NEXT) | instid1(VALU_DEP_1)
	v_lshlrev_b64_e64 v[16:17], v16, -1
	v_bfi_b32 v103, v17, 0, 0
	s_delay_alu instid0(VALU_DEP_2) | instskip(SKIP_1) | instid1(VALU_DEP_2)
	v_bfi_b32 v102, v16, 0, v86
	v_lshrrev_b64 v[16:17], v55, v[86:87]
	v_cmp_eq_u64_e64 s7, v[102:103], v[18:19]
	s_delay_alu instid0(VALU_DEP_2)
	v_mov_b64_e32 v[18:19], v[16:17]
	s_and_saveexec_b32 s40, s7
; %bb.7099:                             ;   in Loop: Header=BB6_6467 Depth=2
	v_bfe_u32 v86, v16, 20, 1
	s_delay_alu instid0(VALU_DEP_1) | instskip(NEXT) | instid1(VALU_DEP_1)
	v_add_nc_u64_e32 v[18:19], v[16:17], v[86:87]
	v_add_nc_u64_e32 v[18:19], -1, v[18:19]
; %bb.7100:                             ;   in Loop: Header=BB6_6467 Depth=2
	s_or_b32 exec_lo, exec_lo, s40
	v_add_nc_u32_e32 v17, 0xffffff81, v54
	v_lshrrev_b32_e32 v19, 23, v16
	s_mov_b32 s7, exec_lo
	s_delay_alu instid0(VALU_DEP_2) | instskip(NEXT) | instid1(VALU_DEP_1)
	v_cndmask_b32_e64 v17, v17, 0xffffff82, vcc_lo
	v_add3_u32 v19, v55, v17, v19
	v_and_b32_e32 v17, 0xfffff, v18
                                        ; implicit-def: $vgpr18
	s_delay_alu instid0(VALU_DEP_1) | instskip(NEXT) | instid1(VALU_DEP_1)
	v_dual_add_nc_u32 v54, 6, v19 :: v_dual_add_nc_u32 v86, v17, v16
                                        ; implicit-def: $vgpr16_vgpr17
	v_cmpx_ne_u32_e32 0, v54
	s_xor_b32 s7, exec_lo, s7
; %bb.7101:                             ;   in Loop: Header=BB6_6467 Depth=2
	s_delay_alu instid0(VALU_DEP_2) | instskip(SKIP_1) | instid1(VALU_DEP_1)
	v_cmp_lt_u64_e32 vcc_lo, 0xffffff, v[86:87]
	v_add_nc_u32_e32 v16, 7, v19
	v_cndmask_b32_e32 v18, v54, v16, vcc_lo
	v_cndmask_b32_e64 v16, 0, 1, vcc_lo
	s_delay_alu instid0(VALU_DEP_1)
	v_lshrrev_b64 v[16:17], v16, v[86:87]
; %bb.7102:                             ;   in Loop: Header=BB6_6467 Depth=2
	s_and_not1_saveexec_b32 s7, s7
; %bb.7103:                             ;   in Loop: Header=BB6_6467 Depth=2
	v_mov_b64_e32 v[16:17], v[86:87]
	v_bfe_u32 v18, v86, 23, 1
; %bb.7104:                             ;   in Loop: Header=BB6_6467 Depth=2
	s_or_b32 exec_lo, exec_lo, s7
	s_delay_alu instid0(VALU_DEP_2) | instskip(NEXT) | instid1(VALU_DEP_2)
	v_lshrrev_b64 v[16:17], 20, v[16:17]
	v_cmp_gt_i32_e32 vcc_lo, 16, v18
	v_cmp_ne_u32_e64 s7, 0, v18
                                        ; implicit-def: $vgpr91
	s_delay_alu instid0(VALU_DEP_3) | instskip(NEXT) | instid1(VALU_DEP_1)
	v_dual_cndmask_b32 v17, 0, v17 :: v_dual_cndmask_b32 v16, 7, v16
	v_cmp_ne_u64_e32 vcc_lo, 0, v[16:17]
	s_or_b32 s7, s7, vcc_lo
	s_delay_alu instid0(SALU_CYCLE_1) | instskip(NEXT) | instid1(SALU_CYCLE_1)
	s_and_saveexec_b32 s40, s7
	s_xor_b32 s7, exec_lo, s40
; %bb.7105:                             ;   in Loop: Header=BB6_6467 Depth=2
	v_min_i32_e32 v17, 15, v18
	s_delay_alu instid0(VALU_DEP_1) | instskip(NEXT) | instid1(VALU_DEP_1)
	v_lshl_or_b32 v17, v17, 3, v31
                                        ; implicit-def: $vgpr31
	v_and_or_b32 v91, v16, 7, v17
; %bb.7106:                             ;   in Loop: Header=BB6_6467 Depth=2
	s_and_not1_saveexec_b32 s7, s7
; %bb.7107:                             ;   in Loop: Header=BB6_6467 Depth=2
	v_mov_b32_e32 v91, v31
; %bb.7108:                             ;   in Loop: Header=BB6_6467 Depth=2
	s_or_b32 exec_lo, exec_lo, s7
.LBB6_7109:                             ;   in Loop: Header=BB6_6467 Depth=2
	s_delay_alu instid0(SALU_CYCLE_1)
	s_or_b32 exec_lo, exec_lo, s29
                                        ; implicit-def: $vgpr31
.LBB6_7110:                             ;   in Loop: Header=BB6_6467 Depth=2
	s_and_not1_saveexec_b32 s7, s28
; %bb.7111:                             ;   in Loop: Header=BB6_6467 Depth=2
	v_or_b32_e32 v91, 0x7e, v31
; %bb.7112:                             ;   in Loop: Header=BB6_6467 Depth=2
	s_or_b32 exec_lo, exec_lo, s7
                                        ; implicit-def: $vgpr17
.LBB6_7113:                             ;   in Loop: Header=BB6_6467 Depth=2
	s_and_not1_saveexec_b32 s7, s27
; %bb.7114:                             ;   in Loop: Header=BB6_6467 Depth=2
	v_or_b32_e32 v91, 0x7f, v17
; %bb.7115:                             ;   in Loop: Header=BB6_6467 Depth=2
	s_or_b32 exec_lo, exec_lo, s7
	v_and_b32_e32 v18, 0xff, v89
	v_dual_mov_b32 v16, 0 :: v_dual_mov_b32 v17, 0
	s_mov_b32 s7, exec_lo
	s_delay_alu instid0(VALU_DEP_2)
	v_cmpx_ne_u16_e32 0, v18
	s_cbranch_execz .LBB6_7123
; %bb.7116:                             ;   in Loop: Header=BB6_6467 Depth=2
	v_bfrev_b32_e32 v17, 1
	s_mov_b32 s27, exec_lo
	v_cmpx_ne_u16_e32 0x80, v18
	s_cbranch_execz .LBB6_7122
; %bb.7117:                             ;   in Loop: Header=BB6_6467 Depth=2
	v_and_b32_e32 v19, 0x7f, v89
	v_mov_b32_e32 v17, 0x7f800001
	s_mov_b32 s28, exec_lo
	s_delay_alu instid0(VALU_DEP_2)
	v_cmpx_ne_u32_e32 0x7f, v19
	s_cbranch_execz .LBB6_7121
; %bb.7118:                             ;   in Loop: Header=BB6_6467 Depth=2
	v_dual_lshrrev_b32 v17, 3, v19 :: v_dual_bitop2_b32 v86, 7, v18 bitop3:0x40
	s_mov_b32 s29, exec_lo
	v_cmpx_gt_u32_e32 8, v19
; %bb.7119:                             ;   in Loop: Header=BB6_6467 Depth=2
	s_delay_alu instid0(VALU_DEP_2) | instskip(NEXT) | instid1(VALU_DEP_1)
	v_clz_i32_u32_e32 v17, v86
	v_min_u32_e32 v17, 32, v17
	s_delay_alu instid0(VALU_DEP_1) | instskip(NEXT) | instid1(VALU_DEP_1)
	v_subrev_nc_u32_e32 v18, 28, v17
	v_lshlrev_b64_e32 v[18:19], v18, v[86:87]
	s_delay_alu instid0(VALU_DEP_1)
	v_dual_sub_nc_u32 v17, 29, v17 :: v_dual_bitop2_b32 v86, 7, v18 bitop3:0x40
; %bb.7120:                             ;   in Loop: Header=BB6_6467 Depth=2
	s_or_b32 exec_lo, exec_lo, s29
	s_delay_alu instid0(VALU_DEP_1) | instskip(NEXT) | instid1(VALU_DEP_2)
	v_dual_lshlrev_b32 v18, 24, v89 :: v_dual_lshlrev_b32 v19, 20, v86
	v_lshl_add_u32 v17, v17, 23, 0x3c000000
	s_delay_alu instid0(VALU_DEP_2) | instskip(NEXT) | instid1(VALU_DEP_1)
	v_and_b32_e32 v18, 0x80000000, v18
	v_or3_b32 v17, v19, v18, v17
.LBB6_7121:                             ;   in Loop: Header=BB6_6467 Depth=2
	s_or_b32 exec_lo, exec_lo, s28
.LBB6_7122:                             ;   in Loop: Header=BB6_6467 Depth=2
	s_delay_alu instid0(SALU_CYCLE_1)
	s_or_b32 exec_lo, exec_lo, s27
.LBB6_7123:                             ;   in Loop: Header=BB6_6467 Depth=2
	s_delay_alu instid0(SALU_CYCLE_1) | instskip(SKIP_3) | instid1(VALU_DEP_1)
	s_or_b32 exec_lo, exec_lo, s7
	s_wait_loadcnt_dscnt 0xd0d
	v_and_b32_e32 v18, 0xff, v88
	s_mov_b32 s7, exec_lo
	v_cmpx_ne_u16_e32 0, v18
	s_cbranch_execz .LBB6_7131
; %bb.7124:                             ;   in Loop: Header=BB6_6467 Depth=2
	v_bfrev_b32_e32 v16, 1
	s_mov_b32 s27, exec_lo
	v_cmpx_ne_u16_e32 0x80, v18
	s_cbranch_execz .LBB6_7130
; %bb.7125:                             ;   in Loop: Header=BB6_6467 Depth=2
	v_and_b32_e32 v19, 0x7f, v88
	v_mov_b32_e32 v16, 0x7f800001
	s_mov_b32 s28, exec_lo
	s_delay_alu instid0(VALU_DEP_2)
	v_cmpx_ne_u32_e32 0x7f, v19
	s_cbranch_execz .LBB6_7129
; %bb.7126:                             ;   in Loop: Header=BB6_6467 Depth=2
	v_dual_lshrrev_b32 v16, 3, v19 :: v_dual_bitop2_b32 v86, 7, v18 bitop3:0x40
	s_mov_b32 s29, exec_lo
	v_cmpx_gt_u32_e32 8, v19
; %bb.7127:                             ;   in Loop: Header=BB6_6467 Depth=2
	s_delay_alu instid0(VALU_DEP_2) | instskip(NEXT) | instid1(VALU_DEP_1)
	v_clz_i32_u32_e32 v16, v86
	v_min_u32_e32 v16, 32, v16
	s_delay_alu instid0(VALU_DEP_1) | instskip(NEXT) | instid1(VALU_DEP_1)
	v_subrev_nc_u32_e32 v18, 28, v16
	v_lshlrev_b64_e32 v[18:19], v18, v[86:87]
	s_delay_alu instid0(VALU_DEP_1)
	v_dual_sub_nc_u32 v16, 29, v16 :: v_dual_bitop2_b32 v86, 7, v18 bitop3:0x40
; %bb.7128:                             ;   in Loop: Header=BB6_6467 Depth=2
	s_or_b32 exec_lo, exec_lo, s29
	s_delay_alu instid0(VALU_DEP_1) | instskip(NEXT) | instid1(VALU_DEP_2)
	v_dual_lshlrev_b32 v18, 24, v88 :: v_dual_lshlrev_b32 v19, 20, v86
	v_lshl_add_u32 v16, v16, 23, 0x3c000000
	s_delay_alu instid0(VALU_DEP_2) | instskip(NEXT) | instid1(VALU_DEP_1)
	v_and_b32_e32 v18, 0x80000000, v18
	v_or3_b32 v16, v19, v18, v16
.LBB6_7129:                             ;   in Loop: Header=BB6_6467 Depth=2
	s_or_b32 exec_lo, exec_lo, s28
.LBB6_7130:                             ;   in Loop: Header=BB6_6467 Depth=2
	s_delay_alu instid0(SALU_CYCLE_1)
	s_or_b32 exec_lo, exec_lo, s27
.LBB6_7131:                             ;   in Loop: Header=BB6_6467 Depth=2
	s_delay_alu instid0(SALU_CYCLE_1) | instskip(NEXT) | instid1(VALU_DEP_1)
	s_or_b32 exec_lo, exec_lo, s7
	v_mul_f32_e32 v16, v17, v16
                                        ; implicit-def: $vgpr88
	s_mov_b32 s7, exec_lo
	s_delay_alu instid0(VALU_DEP_1) | instskip(SKIP_1) | instid1(VALU_DEP_2)
	v_and_b32_e32 v86, 0x7f800000, v16
	v_lshrrev_b32_e32 v17, 24, v16
	v_cmpx_ne_u64_e32 0x7f800000, v[86:87]
	s_xor_b32 s27, exec_lo, s7
	s_cbranch_execz .LBB6_7149
; %bb.7132:                             ;   in Loop: Header=BB6_6467 Depth=2
	v_and_b32_e32 v86, 0x7fffffff, v16
	v_and_b32_e32 v31, 0x80, v17
                                        ; implicit-def: $vgpr88
	s_mov_b32 s7, exec_lo
	s_delay_alu instid0(VALU_DEP_2)
	v_cmpx_gt_u64_e32 0x43e00001, v[86:87]
	s_xor_b32 s28, exec_lo, s7
	s_cbranch_execz .LBB6_7146
; %bb.7133:                             ;   in Loop: Header=BB6_6467 Depth=2
	v_mov_b32_e32 v88, 0
	s_mov_b32 s29, exec_lo
	v_cmpx_ne_u32_e32 0, v16
	s_cbranch_execz .LBB6_7145
; %bb.7134:                             ;   in Loop: Header=BB6_6467 Depth=2
	v_bfe_u32 v54, v16, 23, 8
	v_and_b32_e32 v18, 0x7fffff, v16
	s_delay_alu instid0(VALU_DEP_2) | instskip(SKIP_1) | instid1(VALU_DEP_3)
	v_sub_nc_u32_e32 v17, 0x79, v54
	v_cmp_gt_u32_e32 vcc_lo, 0x7a, v54
	v_or_b32_e32 v19, 0x800000, v18
	s_delay_alu instid0(VALU_DEP_3) | instskip(SKIP_1) | instid1(VALU_DEP_2)
	v_cndmask_b32_e32 v17, 0, v17, vcc_lo
	v_cmp_eq_u32_e32 vcc_lo, 0, v54
	v_cndmask_b32_e64 v55, v17, 0x78, vcc_lo
	s_delay_alu instid0(VALU_DEP_1) | instskip(SKIP_1) | instid1(VALU_DEP_2)
	v_dual_cndmask_b32 v86, v19, v18, vcc_lo :: v_dual_add_nc_u32 v66, 19, v55
	v_add_nc_u32_e32 v16, 20, v55
	v_lshlrev_b64_e64 v[18:19], v66, 1
	s_delay_alu instid0(VALU_DEP_2) | instskip(NEXT) | instid1(VALU_DEP_1)
	v_lshlrev_b64_e64 v[16:17], v16, -1
	v_bfi_b32 v103, v17, 0, 0
	s_delay_alu instid0(VALU_DEP_2) | instskip(SKIP_1) | instid1(VALU_DEP_2)
	v_bfi_b32 v102, v16, 0, v86
	v_lshrrev_b64 v[16:17], v55, v[86:87]
	v_cmp_eq_u64_e64 s7, v[102:103], v[18:19]
	s_delay_alu instid0(VALU_DEP_2)
	v_mov_b64_e32 v[18:19], v[16:17]
	s_and_saveexec_b32 s40, s7
; %bb.7135:                             ;   in Loop: Header=BB6_6467 Depth=2
	v_bfe_u32 v86, v16, 20, 1
	s_delay_alu instid0(VALU_DEP_1) | instskip(NEXT) | instid1(VALU_DEP_1)
	v_add_nc_u64_e32 v[18:19], v[16:17], v[86:87]
	v_add_nc_u64_e32 v[18:19], -1, v[18:19]
; %bb.7136:                             ;   in Loop: Header=BB6_6467 Depth=2
	s_or_b32 exec_lo, exec_lo, s40
	v_add_nc_u32_e32 v17, 0xffffff81, v54
	v_lshrrev_b32_e32 v19, 23, v16
	s_mov_b32 s7, exec_lo
	s_delay_alu instid0(VALU_DEP_2) | instskip(NEXT) | instid1(VALU_DEP_1)
	v_cndmask_b32_e64 v17, v17, 0xffffff82, vcc_lo
	v_add3_u32 v19, v55, v17, v19
	v_and_b32_e32 v17, 0xfffff, v18
                                        ; implicit-def: $vgpr18
	s_delay_alu instid0(VALU_DEP_1) | instskip(NEXT) | instid1(VALU_DEP_1)
	v_dual_add_nc_u32 v54, 6, v19 :: v_dual_add_nc_u32 v86, v17, v16
                                        ; implicit-def: $vgpr16_vgpr17
	v_cmpx_ne_u32_e32 0, v54
	s_xor_b32 s7, exec_lo, s7
; %bb.7137:                             ;   in Loop: Header=BB6_6467 Depth=2
	s_delay_alu instid0(VALU_DEP_2) | instskip(SKIP_1) | instid1(VALU_DEP_1)
	v_cmp_lt_u64_e32 vcc_lo, 0xffffff, v[86:87]
	v_add_nc_u32_e32 v16, 7, v19
	v_cndmask_b32_e32 v18, v54, v16, vcc_lo
	v_cndmask_b32_e64 v16, 0, 1, vcc_lo
	s_delay_alu instid0(VALU_DEP_1)
	v_lshrrev_b64 v[16:17], v16, v[86:87]
; %bb.7138:                             ;   in Loop: Header=BB6_6467 Depth=2
	s_and_not1_saveexec_b32 s7, s7
; %bb.7139:                             ;   in Loop: Header=BB6_6467 Depth=2
	v_mov_b64_e32 v[16:17], v[86:87]
	v_bfe_u32 v18, v86, 23, 1
; %bb.7140:                             ;   in Loop: Header=BB6_6467 Depth=2
	s_or_b32 exec_lo, exec_lo, s7
	s_delay_alu instid0(VALU_DEP_2) | instskip(NEXT) | instid1(VALU_DEP_2)
	v_lshrrev_b64 v[16:17], 20, v[16:17]
	v_cmp_gt_i32_e32 vcc_lo, 16, v18
	v_cmp_ne_u32_e64 s7, 0, v18
                                        ; implicit-def: $vgpr88
	s_delay_alu instid0(VALU_DEP_3) | instskip(NEXT) | instid1(VALU_DEP_1)
	v_dual_cndmask_b32 v17, 0, v17 :: v_dual_cndmask_b32 v16, 7, v16
	v_cmp_ne_u64_e32 vcc_lo, 0, v[16:17]
	s_or_b32 s7, s7, vcc_lo
	s_delay_alu instid0(SALU_CYCLE_1) | instskip(NEXT) | instid1(SALU_CYCLE_1)
	s_and_saveexec_b32 s40, s7
	s_xor_b32 s7, exec_lo, s40
; %bb.7141:                             ;   in Loop: Header=BB6_6467 Depth=2
	v_min_i32_e32 v17, 15, v18
	s_delay_alu instid0(VALU_DEP_1) | instskip(NEXT) | instid1(VALU_DEP_1)
	v_lshl_or_b32 v17, v17, 3, v31
                                        ; implicit-def: $vgpr31
	v_and_or_b32 v88, v16, 7, v17
; %bb.7142:                             ;   in Loop: Header=BB6_6467 Depth=2
	s_and_not1_saveexec_b32 s7, s7
; %bb.7143:                             ;   in Loop: Header=BB6_6467 Depth=2
	v_mov_b32_e32 v88, v31
; %bb.7144:                             ;   in Loop: Header=BB6_6467 Depth=2
	s_or_b32 exec_lo, exec_lo, s7
.LBB6_7145:                             ;   in Loop: Header=BB6_6467 Depth=2
	s_delay_alu instid0(SALU_CYCLE_1)
	s_or_b32 exec_lo, exec_lo, s29
                                        ; implicit-def: $vgpr31
.LBB6_7146:                             ;   in Loop: Header=BB6_6467 Depth=2
	s_and_not1_saveexec_b32 s7, s28
; %bb.7147:                             ;   in Loop: Header=BB6_6467 Depth=2
	v_or_b32_e32 v88, 0x7e, v31
; %bb.7148:                             ;   in Loop: Header=BB6_6467 Depth=2
	s_or_b32 exec_lo, exec_lo, s7
                                        ; implicit-def: $vgpr17
.LBB6_7149:                             ;   in Loop: Header=BB6_6467 Depth=2
	s_and_not1_saveexec_b32 s7, s27
; %bb.7150:                             ;   in Loop: Header=BB6_6467 Depth=2
	v_or_b32_e32 v88, 0x7f, v17
; %bb.7151:                             ;   in Loop: Header=BB6_6467 Depth=2
	s_or_b32 exec_lo, exec_lo, s7
	v_and_b32_e32 v18, 0xff, v78
	v_dual_mov_b32 v16, 0 :: v_dual_mov_b32 v17, 0
	s_mov_b32 s7, exec_lo
	s_delay_alu instid0(VALU_DEP_2)
	v_cmpx_ne_u16_e32 0, v18
	s_cbranch_execz .LBB6_7159
; %bb.7152:                             ;   in Loop: Header=BB6_6467 Depth=2
	v_bfrev_b32_e32 v17, 1
	s_mov_b32 s27, exec_lo
	v_cmpx_ne_u16_e32 0x80, v18
	s_cbranch_execz .LBB6_7158
; %bb.7153:                             ;   in Loop: Header=BB6_6467 Depth=2
	v_and_b32_e32 v19, 0x7f, v78
	v_mov_b32_e32 v17, 0x7f800001
	s_mov_b32 s28, exec_lo
	s_delay_alu instid0(VALU_DEP_2)
	v_cmpx_ne_u32_e32 0x7f, v19
	s_cbranch_execz .LBB6_7157
; %bb.7154:                             ;   in Loop: Header=BB6_6467 Depth=2
	v_dual_lshrrev_b32 v17, 3, v19 :: v_dual_bitop2_b32 v86, 7, v18 bitop3:0x40
	s_mov_b32 s29, exec_lo
	v_cmpx_gt_u32_e32 8, v19
; %bb.7155:                             ;   in Loop: Header=BB6_6467 Depth=2
	s_delay_alu instid0(VALU_DEP_2) | instskip(NEXT) | instid1(VALU_DEP_1)
	v_clz_i32_u32_e32 v17, v86
	v_min_u32_e32 v17, 32, v17
	s_delay_alu instid0(VALU_DEP_1) | instskip(NEXT) | instid1(VALU_DEP_1)
	v_subrev_nc_u32_e32 v18, 28, v17
	v_lshlrev_b64_e32 v[18:19], v18, v[86:87]
	s_delay_alu instid0(VALU_DEP_1)
	v_dual_sub_nc_u32 v17, 29, v17 :: v_dual_bitop2_b32 v86, 7, v18 bitop3:0x40
; %bb.7156:                             ;   in Loop: Header=BB6_6467 Depth=2
	s_or_b32 exec_lo, exec_lo, s29
	v_lshlrev_b32_e32 v18, 24, v78
	s_delay_alu instid0(VALU_DEP_2) | instskip(NEXT) | instid1(VALU_DEP_3)
	v_lshlrev_b32_e32 v19, 20, v86
	v_lshl_add_u32 v17, v17, 23, 0x3c000000
	s_delay_alu instid0(VALU_DEP_3) | instskip(NEXT) | instid1(VALU_DEP_1)
	v_and_b32_e32 v18, 0x80000000, v18
	v_or3_b32 v17, v19, v18, v17
.LBB6_7157:                             ;   in Loop: Header=BB6_6467 Depth=2
	s_or_b32 exec_lo, exec_lo, s28
.LBB6_7158:                             ;   in Loop: Header=BB6_6467 Depth=2
	s_delay_alu instid0(SALU_CYCLE_1)
	s_or_b32 exec_lo, exec_lo, s27
.LBB6_7159:                             ;   in Loop: Header=BB6_6467 Depth=2
	s_delay_alu instid0(SALU_CYCLE_1) | instskip(SKIP_3) | instid1(VALU_DEP_1)
	s_or_b32 exec_lo, exec_lo, s7
	s_wait_loadcnt_dscnt 0xc0c
	v_and_b32_e32 v18, 0xff, v3
	s_mov_b32 s7, exec_lo
	v_cmpx_ne_u16_e32 0, v18
	s_cbranch_execz .LBB6_7167
; %bb.7160:                             ;   in Loop: Header=BB6_6467 Depth=2
	v_bfrev_b32_e32 v16, 1
	s_mov_b32 s27, exec_lo
	v_cmpx_ne_u16_e32 0x80, v18
	s_cbranch_execz .LBB6_7166
; %bb.7161:                             ;   in Loop: Header=BB6_6467 Depth=2
	v_and_b32_e32 v19, 0x7f, v3
	v_mov_b32_e32 v16, 0x7f800001
	s_mov_b32 s28, exec_lo
	s_delay_alu instid0(VALU_DEP_2)
	v_cmpx_ne_u32_e32 0x7f, v19
	s_cbranch_execz .LBB6_7165
; %bb.7162:                             ;   in Loop: Header=BB6_6467 Depth=2
	v_dual_lshrrev_b32 v16, 3, v19 :: v_dual_bitop2_b32 v86, 7, v18 bitop3:0x40
	s_mov_b32 s29, exec_lo
	v_cmpx_gt_u32_e32 8, v19
; %bb.7163:                             ;   in Loop: Header=BB6_6467 Depth=2
	s_delay_alu instid0(VALU_DEP_2) | instskip(NEXT) | instid1(VALU_DEP_1)
	v_clz_i32_u32_e32 v16, v86
	v_min_u32_e32 v16, 32, v16
	s_delay_alu instid0(VALU_DEP_1) | instskip(NEXT) | instid1(VALU_DEP_1)
	v_subrev_nc_u32_e32 v18, 28, v16
	v_lshlrev_b64_e32 v[18:19], v18, v[86:87]
	s_delay_alu instid0(VALU_DEP_1)
	v_dual_sub_nc_u32 v16, 29, v16 :: v_dual_bitop2_b32 v86, 7, v18 bitop3:0x40
; %bb.7164:                             ;   in Loop: Header=BB6_6467 Depth=2
	s_or_b32 exec_lo, exec_lo, s29
	s_delay_alu instid0(VALU_DEP_1) | instskip(NEXT) | instid1(VALU_DEP_2)
	v_dual_lshlrev_b32 v3, 24, v3 :: v_dual_lshlrev_b32 v18, 20, v86
	v_lshl_add_u32 v16, v16, 23, 0x3c000000
	s_delay_alu instid0(VALU_DEP_2) | instskip(NEXT) | instid1(VALU_DEP_1)
	v_and_b32_e32 v3, 0x80000000, v3
	v_or3_b32 v16, v18, v3, v16
.LBB6_7165:                             ;   in Loop: Header=BB6_6467 Depth=2
	s_or_b32 exec_lo, exec_lo, s28
.LBB6_7166:                             ;   in Loop: Header=BB6_6467 Depth=2
	s_delay_alu instid0(SALU_CYCLE_1)
	s_or_b32 exec_lo, exec_lo, s27
.LBB6_7167:                             ;   in Loop: Header=BB6_6467 Depth=2
	s_delay_alu instid0(SALU_CYCLE_1) | instskip(NEXT) | instid1(VALU_DEP_1)
	s_or_b32 exec_lo, exec_lo, s7
	v_mul_f32_e32 v16, v17, v16
                                        ; implicit-def: $vgpr3
	s_mov_b32 s7, exec_lo
	s_delay_alu instid0(VALU_DEP_1) | instskip(SKIP_1) | instid1(VALU_DEP_2)
	v_and_b32_e32 v86, 0x7f800000, v16
	v_lshrrev_b32_e32 v17, 24, v16
	v_cmpx_ne_u64_e32 0x7f800000, v[86:87]
	s_xor_b32 s27, exec_lo, s7
	s_cbranch_execz .LBB6_7185
; %bb.7168:                             ;   in Loop: Header=BB6_6467 Depth=2
	v_and_b32_e32 v86, 0x7fffffff, v16
	v_and_b32_e32 v31, 0x80, v17
                                        ; implicit-def: $vgpr3
	s_mov_b32 s7, exec_lo
	s_delay_alu instid0(VALU_DEP_2)
	v_cmpx_gt_u64_e32 0x43e00001, v[86:87]
	s_xor_b32 s28, exec_lo, s7
	s_cbranch_execz .LBB6_7182
; %bb.7169:                             ;   in Loop: Header=BB6_6467 Depth=2
	v_mov_b32_e32 v3, 0
	s_mov_b32 s29, exec_lo
	v_cmpx_ne_u32_e32 0, v16
	s_cbranch_execz .LBB6_7181
; %bb.7170:                             ;   in Loop: Header=BB6_6467 Depth=2
	v_bfe_u32 v3, v16, 23, 8
	v_and_b32_e32 v18, 0x7fffff, v16
	s_delay_alu instid0(VALU_DEP_2) | instskip(NEXT) | instid1(VALU_DEP_2)
	v_cmp_gt_u32_e32 vcc_lo, 0x7a, v3
	v_or_b32_e32 v19, 0x800000, v18
	v_sub_nc_u32_e32 v17, 0x79, v3
	s_delay_alu instid0(VALU_DEP_1) | instskip(SKIP_1) | instid1(VALU_DEP_2)
	v_cndmask_b32_e32 v17, 0, v17, vcc_lo
	v_cmp_eq_u32_e32 vcc_lo, 0, v3
	v_cndmask_b32_e64 v54, v17, 0x78, vcc_lo
	v_cndmask_b32_e32 v86, v19, v18, vcc_lo
	s_delay_alu instid0(VALU_DEP_2) | instskip(NEXT) | instid1(VALU_DEP_1)
	v_dual_add_nc_u32 v16, 20, v54 :: v_dual_add_nc_u32 v55, 19, v54
	v_lshlrev_b64_e64 v[16:17], v16, -1
	s_delay_alu instid0(VALU_DEP_2) | instskip(NEXT) | instid1(VALU_DEP_2)
	v_lshlrev_b64_e64 v[18:19], v55, 1
	v_bfi_b32 v103, v17, 0, 0
	s_delay_alu instid0(VALU_DEP_3) | instskip(SKIP_1) | instid1(VALU_DEP_2)
	v_bfi_b32 v102, v16, 0, v86
	v_lshrrev_b64 v[16:17], v54, v[86:87]
	v_cmp_eq_u64_e64 s7, v[102:103], v[18:19]
	s_delay_alu instid0(VALU_DEP_2)
	v_mov_b64_e32 v[18:19], v[16:17]
	s_and_saveexec_b32 s40, s7
; %bb.7171:                             ;   in Loop: Header=BB6_6467 Depth=2
	v_bfe_u32 v86, v16, 20, 1
	s_delay_alu instid0(VALU_DEP_1) | instskip(NEXT) | instid1(VALU_DEP_1)
	v_add_nc_u64_e32 v[18:19], v[16:17], v[86:87]
	v_add_nc_u64_e32 v[18:19], -1, v[18:19]
; %bb.7172:                             ;   in Loop: Header=BB6_6467 Depth=2
	s_or_b32 exec_lo, exec_lo, s40
	v_add_nc_u32_e32 v3, 0xffffff81, v3
	v_lshrrev_b32_e32 v17, 23, v16
	s_mov_b32 s7, exec_lo
	s_delay_alu instid0(VALU_DEP_2) | instskip(NEXT) | instid1(VALU_DEP_1)
	v_cndmask_b32_e64 v3, v3, 0xffffff82, vcc_lo
	v_add3_u32 v3, v54, v3, v17
	v_and_b32_e32 v17, 0xfffff, v18
                                        ; implicit-def: $vgpr18
	s_delay_alu instid0(VALU_DEP_1) | instskip(NEXT) | instid1(VALU_DEP_1)
	v_dual_add_nc_u32 v19, 6, v3 :: v_dual_add_nc_u32 v86, v17, v16
                                        ; implicit-def: $vgpr16_vgpr17
	v_cmpx_ne_u32_e32 0, v19
	s_xor_b32 s7, exec_lo, s7
; %bb.7173:                             ;   in Loop: Header=BB6_6467 Depth=2
	s_delay_alu instid0(VALU_DEP_2) | instskip(SKIP_1) | instid1(VALU_DEP_1)
	v_cmp_lt_u64_e32 vcc_lo, 0xffffff, v[86:87]
	v_add_nc_u32_e32 v3, 7, v3
	v_cndmask_b32_e32 v18, v19, v3, vcc_lo
	v_cndmask_b32_e64 v3, 0, 1, vcc_lo
	s_delay_alu instid0(VALU_DEP_1)
	v_lshrrev_b64 v[16:17], v3, v[86:87]
; %bb.7174:                             ;   in Loop: Header=BB6_6467 Depth=2
	s_and_not1_saveexec_b32 s7, s7
; %bb.7175:                             ;   in Loop: Header=BB6_6467 Depth=2
	v_mov_b64_e32 v[16:17], v[86:87]
	v_bfe_u32 v18, v86, 23, 1
; %bb.7176:                             ;   in Loop: Header=BB6_6467 Depth=2
	s_or_b32 exec_lo, exec_lo, s7
	s_delay_alu instid0(VALU_DEP_2) | instskip(NEXT) | instid1(VALU_DEP_2)
	v_lshrrev_b64 v[16:17], 20, v[16:17]
	v_cmp_gt_i32_e32 vcc_lo, 16, v18
	v_cmp_ne_u32_e64 s7, 0, v18
                                        ; implicit-def: $vgpr3
	s_delay_alu instid0(VALU_DEP_3) | instskip(NEXT) | instid1(VALU_DEP_1)
	v_dual_cndmask_b32 v17, 0, v17 :: v_dual_cndmask_b32 v16, 7, v16
	v_cmp_ne_u64_e32 vcc_lo, 0, v[16:17]
	s_or_b32 s7, s7, vcc_lo
	s_delay_alu instid0(SALU_CYCLE_1) | instskip(NEXT) | instid1(SALU_CYCLE_1)
	s_and_saveexec_b32 s40, s7
	s_xor_b32 s7, exec_lo, s40
; %bb.7177:                             ;   in Loop: Header=BB6_6467 Depth=2
	v_min_i32_e32 v3, 15, v18
	s_delay_alu instid0(VALU_DEP_1) | instskip(NEXT) | instid1(VALU_DEP_1)
	v_lshl_or_b32 v3, v3, 3, v31
                                        ; implicit-def: $vgpr31
	v_and_or_b32 v3, v16, 7, v3
; %bb.7178:                             ;   in Loop: Header=BB6_6467 Depth=2
	s_and_not1_saveexec_b32 s7, s7
; %bb.7179:                             ;   in Loop: Header=BB6_6467 Depth=2
	v_mov_b32_e32 v3, v31
; %bb.7180:                             ;   in Loop: Header=BB6_6467 Depth=2
	s_or_b32 exec_lo, exec_lo, s7
.LBB6_7181:                             ;   in Loop: Header=BB6_6467 Depth=2
	s_delay_alu instid0(SALU_CYCLE_1)
	s_or_b32 exec_lo, exec_lo, s29
                                        ; implicit-def: $vgpr31
.LBB6_7182:                             ;   in Loop: Header=BB6_6467 Depth=2
	s_and_not1_saveexec_b32 s7, s28
; %bb.7183:                             ;   in Loop: Header=BB6_6467 Depth=2
	v_or_b32_e32 v3, 0x7e, v31
; %bb.7184:                             ;   in Loop: Header=BB6_6467 Depth=2
	s_or_b32 exec_lo, exec_lo, s7
                                        ; implicit-def: $vgpr17
.LBB6_7185:                             ;   in Loop: Header=BB6_6467 Depth=2
	s_and_not1_saveexec_b32 s7, s27
; %bb.7186:                             ;   in Loop: Header=BB6_6467 Depth=2
	v_or_b32_e32 v3, 0x7f, v17
; %bb.7187:                             ;   in Loop: Header=BB6_6467 Depth=2
	s_or_b32 exec_lo, exec_lo, s7
	v_and_b32_e32 v18, 0xff, v77
	v_dual_mov_b32 v16, 0 :: v_dual_mov_b32 v17, 0
	s_mov_b32 s7, exec_lo
	s_delay_alu instid0(VALU_DEP_2)
	v_cmpx_ne_u16_e32 0, v18
	s_cbranch_execz .LBB6_7195
; %bb.7188:                             ;   in Loop: Header=BB6_6467 Depth=2
	v_bfrev_b32_e32 v17, 1
	s_mov_b32 s27, exec_lo
	v_cmpx_ne_u16_e32 0x80, v18
	s_cbranch_execz .LBB6_7194
; %bb.7189:                             ;   in Loop: Header=BB6_6467 Depth=2
	v_and_b32_e32 v19, 0x7f, v77
	v_mov_b32_e32 v17, 0x7f800001
	s_mov_b32 s28, exec_lo
	s_delay_alu instid0(VALU_DEP_2)
	v_cmpx_ne_u32_e32 0x7f, v19
	s_cbranch_execz .LBB6_7193
; %bb.7190:                             ;   in Loop: Header=BB6_6467 Depth=2
	v_dual_lshrrev_b32 v17, 3, v19 :: v_dual_bitop2_b32 v86, 7, v18 bitop3:0x40
	s_mov_b32 s29, exec_lo
	v_cmpx_gt_u32_e32 8, v19
; %bb.7191:                             ;   in Loop: Header=BB6_6467 Depth=2
	s_delay_alu instid0(VALU_DEP_2) | instskip(NEXT) | instid1(VALU_DEP_1)
	v_clz_i32_u32_e32 v17, v86
	v_min_u32_e32 v17, 32, v17
	s_delay_alu instid0(VALU_DEP_1) | instskip(NEXT) | instid1(VALU_DEP_1)
	v_subrev_nc_u32_e32 v18, 28, v17
	v_lshlrev_b64_e32 v[18:19], v18, v[86:87]
	s_delay_alu instid0(VALU_DEP_1)
	v_dual_sub_nc_u32 v17, 29, v17 :: v_dual_bitop2_b32 v86, 7, v18 bitop3:0x40
; %bb.7192:                             ;   in Loop: Header=BB6_6467 Depth=2
	s_or_b32 exec_lo, exec_lo, s29
	s_delay_alu instid0(VALU_DEP_1) | instskip(NEXT) | instid1(VALU_DEP_2)
	v_dual_lshlrev_b32 v18, 24, v77 :: v_dual_lshlrev_b32 v19, 20, v86
	v_lshl_add_u32 v17, v17, 23, 0x3c000000
	s_delay_alu instid0(VALU_DEP_2) | instskip(NEXT) | instid1(VALU_DEP_1)
	v_and_b32_e32 v18, 0x80000000, v18
	v_or3_b32 v17, v19, v18, v17
.LBB6_7193:                             ;   in Loop: Header=BB6_6467 Depth=2
	s_or_b32 exec_lo, exec_lo, s28
.LBB6_7194:                             ;   in Loop: Header=BB6_6467 Depth=2
	s_delay_alu instid0(SALU_CYCLE_1)
	s_or_b32 exec_lo, exec_lo, s27
.LBB6_7195:                             ;   in Loop: Header=BB6_6467 Depth=2
	s_delay_alu instid0(SALU_CYCLE_1) | instskip(SKIP_3) | instid1(VALU_DEP_1)
	s_or_b32 exec_lo, exec_lo, s7
	s_wait_loadcnt_dscnt 0xb0b
	v_and_b32_e32 v18, 0xff, v76
	s_mov_b32 s7, exec_lo
	v_cmpx_ne_u16_e32 0, v18
	s_cbranch_execz .LBB6_7203
; %bb.7196:                             ;   in Loop: Header=BB6_6467 Depth=2
	v_bfrev_b32_e32 v16, 1
	s_mov_b32 s27, exec_lo
	v_cmpx_ne_u16_e32 0x80, v18
	s_cbranch_execz .LBB6_7202
; %bb.7197:                             ;   in Loop: Header=BB6_6467 Depth=2
	v_and_b32_e32 v19, 0x7f, v76
	v_mov_b32_e32 v16, 0x7f800001
	s_mov_b32 s28, exec_lo
	s_delay_alu instid0(VALU_DEP_2)
	v_cmpx_ne_u32_e32 0x7f, v19
	s_cbranch_execz .LBB6_7201
; %bb.7198:                             ;   in Loop: Header=BB6_6467 Depth=2
	v_dual_lshrrev_b32 v16, 3, v19 :: v_dual_bitop2_b32 v86, 7, v18 bitop3:0x40
	s_mov_b32 s29, exec_lo
	v_cmpx_gt_u32_e32 8, v19
; %bb.7199:                             ;   in Loop: Header=BB6_6467 Depth=2
	s_delay_alu instid0(VALU_DEP_2) | instskip(NEXT) | instid1(VALU_DEP_1)
	v_clz_i32_u32_e32 v16, v86
	v_min_u32_e32 v16, 32, v16
	s_delay_alu instid0(VALU_DEP_1) | instskip(NEXT) | instid1(VALU_DEP_1)
	v_subrev_nc_u32_e32 v18, 28, v16
	v_lshlrev_b64_e32 v[18:19], v18, v[86:87]
	s_delay_alu instid0(VALU_DEP_1)
	v_dual_sub_nc_u32 v16, 29, v16 :: v_dual_bitop2_b32 v86, 7, v18 bitop3:0x40
; %bb.7200:                             ;   in Loop: Header=BB6_6467 Depth=2
	s_or_b32 exec_lo, exec_lo, s29
	s_delay_alu instid0(VALU_DEP_1) | instskip(NEXT) | instid1(VALU_DEP_2)
	v_dual_lshlrev_b32 v18, 24, v76 :: v_dual_lshlrev_b32 v19, 20, v86
	v_lshl_add_u32 v16, v16, 23, 0x3c000000
	s_delay_alu instid0(VALU_DEP_2) | instskip(NEXT) | instid1(VALU_DEP_1)
	v_and_b32_e32 v18, 0x80000000, v18
	v_or3_b32 v16, v19, v18, v16
.LBB6_7201:                             ;   in Loop: Header=BB6_6467 Depth=2
	s_or_b32 exec_lo, exec_lo, s28
.LBB6_7202:                             ;   in Loop: Header=BB6_6467 Depth=2
	s_delay_alu instid0(SALU_CYCLE_1)
	s_or_b32 exec_lo, exec_lo, s27
.LBB6_7203:                             ;   in Loop: Header=BB6_6467 Depth=2
	s_delay_alu instid0(SALU_CYCLE_1) | instskip(NEXT) | instid1(VALU_DEP_1)
	s_or_b32 exec_lo, exec_lo, s7
	v_mul_f32_e32 v16, v17, v16
                                        ; implicit-def: $vgpr76
	s_mov_b32 s7, exec_lo
	s_delay_alu instid0(VALU_DEP_1) | instskip(SKIP_1) | instid1(VALU_DEP_2)
	v_and_b32_e32 v86, 0x7f800000, v16
	v_lshrrev_b32_e32 v17, 24, v16
	v_cmpx_ne_u64_e32 0x7f800000, v[86:87]
	s_xor_b32 s27, exec_lo, s7
	s_cbranch_execz .LBB6_7221
; %bb.7204:                             ;   in Loop: Header=BB6_6467 Depth=2
	v_and_b32_e32 v86, 0x7fffffff, v16
	v_and_b32_e32 v31, 0x80, v17
                                        ; implicit-def: $vgpr76
	s_mov_b32 s7, exec_lo
	s_delay_alu instid0(VALU_DEP_2)
	v_cmpx_gt_u64_e32 0x43e00001, v[86:87]
	s_xor_b32 s28, exec_lo, s7
	s_cbranch_execz .LBB6_7218
; %bb.7205:                             ;   in Loop: Header=BB6_6467 Depth=2
	v_mov_b32_e32 v76, 0
	s_mov_b32 s29, exec_lo
	v_cmpx_ne_u32_e32 0, v16
	s_cbranch_execz .LBB6_7217
; %bb.7206:                             ;   in Loop: Header=BB6_6467 Depth=2
	v_bfe_u32 v54, v16, 23, 8
	v_and_b32_e32 v18, 0x7fffff, v16
	s_delay_alu instid0(VALU_DEP_2) | instskip(SKIP_1) | instid1(VALU_DEP_3)
	v_sub_nc_u32_e32 v17, 0x79, v54
	v_cmp_gt_u32_e32 vcc_lo, 0x7a, v54
	v_or_b32_e32 v19, 0x800000, v18
	s_delay_alu instid0(VALU_DEP_3) | instskip(SKIP_1) | instid1(VALU_DEP_2)
	v_cndmask_b32_e32 v17, 0, v17, vcc_lo
	v_cmp_eq_u32_e32 vcc_lo, 0, v54
	v_cndmask_b32_e64 v55, v17, 0x78, vcc_lo
	s_delay_alu instid0(VALU_DEP_1) | instskip(SKIP_1) | instid1(VALU_DEP_2)
	v_dual_cndmask_b32 v86, v19, v18, vcc_lo :: v_dual_add_nc_u32 v66, 19, v55
	v_add_nc_u32_e32 v16, 20, v55
	v_lshlrev_b64_e64 v[18:19], v66, 1
	s_delay_alu instid0(VALU_DEP_2) | instskip(NEXT) | instid1(VALU_DEP_1)
	v_lshlrev_b64_e64 v[16:17], v16, -1
	v_bfi_b32 v103, v17, 0, 0
	s_delay_alu instid0(VALU_DEP_2) | instskip(SKIP_1) | instid1(VALU_DEP_2)
	v_bfi_b32 v102, v16, 0, v86
	v_lshrrev_b64 v[16:17], v55, v[86:87]
	v_cmp_eq_u64_e64 s7, v[102:103], v[18:19]
	s_delay_alu instid0(VALU_DEP_2)
	v_mov_b64_e32 v[18:19], v[16:17]
	s_and_saveexec_b32 s40, s7
; %bb.7207:                             ;   in Loop: Header=BB6_6467 Depth=2
	v_bfe_u32 v86, v16, 20, 1
	s_delay_alu instid0(VALU_DEP_1) | instskip(NEXT) | instid1(VALU_DEP_1)
	v_add_nc_u64_e32 v[18:19], v[16:17], v[86:87]
	v_add_nc_u64_e32 v[18:19], -1, v[18:19]
; %bb.7208:                             ;   in Loop: Header=BB6_6467 Depth=2
	s_or_b32 exec_lo, exec_lo, s40
	v_add_nc_u32_e32 v17, 0xffffff81, v54
	v_lshrrev_b32_e32 v19, 23, v16
	s_mov_b32 s7, exec_lo
	s_delay_alu instid0(VALU_DEP_2) | instskip(NEXT) | instid1(VALU_DEP_1)
	v_cndmask_b32_e64 v17, v17, 0xffffff82, vcc_lo
	v_add3_u32 v19, v55, v17, v19
	v_and_b32_e32 v17, 0xfffff, v18
                                        ; implicit-def: $vgpr18
	s_delay_alu instid0(VALU_DEP_1) | instskip(NEXT) | instid1(VALU_DEP_1)
	v_dual_add_nc_u32 v54, 6, v19 :: v_dual_add_nc_u32 v86, v17, v16
                                        ; implicit-def: $vgpr16_vgpr17
	v_cmpx_ne_u32_e32 0, v54
	s_xor_b32 s7, exec_lo, s7
; %bb.7209:                             ;   in Loop: Header=BB6_6467 Depth=2
	s_delay_alu instid0(VALU_DEP_2) | instskip(SKIP_1) | instid1(VALU_DEP_1)
	v_cmp_lt_u64_e32 vcc_lo, 0xffffff, v[86:87]
	v_add_nc_u32_e32 v16, 7, v19
	v_cndmask_b32_e32 v18, v54, v16, vcc_lo
	v_cndmask_b32_e64 v16, 0, 1, vcc_lo
	s_delay_alu instid0(VALU_DEP_1)
	v_lshrrev_b64 v[16:17], v16, v[86:87]
; %bb.7210:                             ;   in Loop: Header=BB6_6467 Depth=2
	s_and_not1_saveexec_b32 s7, s7
; %bb.7211:                             ;   in Loop: Header=BB6_6467 Depth=2
	v_mov_b64_e32 v[16:17], v[86:87]
	v_bfe_u32 v18, v86, 23, 1
; %bb.7212:                             ;   in Loop: Header=BB6_6467 Depth=2
	s_or_b32 exec_lo, exec_lo, s7
	s_delay_alu instid0(VALU_DEP_2) | instskip(NEXT) | instid1(VALU_DEP_2)
	v_lshrrev_b64 v[16:17], 20, v[16:17]
	v_cmp_gt_i32_e32 vcc_lo, 16, v18
	v_cmp_ne_u32_e64 s7, 0, v18
                                        ; implicit-def: $vgpr76
	s_delay_alu instid0(VALU_DEP_3) | instskip(NEXT) | instid1(VALU_DEP_1)
	v_dual_cndmask_b32 v17, 0, v17 :: v_dual_cndmask_b32 v16, 7, v16
	v_cmp_ne_u64_e32 vcc_lo, 0, v[16:17]
	s_or_b32 s7, s7, vcc_lo
	s_delay_alu instid0(SALU_CYCLE_1) | instskip(NEXT) | instid1(SALU_CYCLE_1)
	s_and_saveexec_b32 s40, s7
	s_xor_b32 s7, exec_lo, s40
; %bb.7213:                             ;   in Loop: Header=BB6_6467 Depth=2
	v_min_i32_e32 v17, 15, v18
	s_delay_alu instid0(VALU_DEP_1) | instskip(NEXT) | instid1(VALU_DEP_1)
	v_lshl_or_b32 v17, v17, 3, v31
                                        ; implicit-def: $vgpr31
	v_and_or_b32 v76, v16, 7, v17
; %bb.7214:                             ;   in Loop: Header=BB6_6467 Depth=2
	s_and_not1_saveexec_b32 s7, s7
; %bb.7215:                             ;   in Loop: Header=BB6_6467 Depth=2
	v_mov_b32_e32 v76, v31
; %bb.7216:                             ;   in Loop: Header=BB6_6467 Depth=2
	s_or_b32 exec_lo, exec_lo, s7
.LBB6_7217:                             ;   in Loop: Header=BB6_6467 Depth=2
	s_delay_alu instid0(SALU_CYCLE_1)
	s_or_b32 exec_lo, exec_lo, s29
                                        ; implicit-def: $vgpr31
.LBB6_7218:                             ;   in Loop: Header=BB6_6467 Depth=2
	s_and_not1_saveexec_b32 s7, s28
; %bb.7219:                             ;   in Loop: Header=BB6_6467 Depth=2
	v_or_b32_e32 v76, 0x7e, v31
; %bb.7220:                             ;   in Loop: Header=BB6_6467 Depth=2
	s_or_b32 exec_lo, exec_lo, s7
                                        ; implicit-def: $vgpr17
.LBB6_7221:                             ;   in Loop: Header=BB6_6467 Depth=2
	s_and_not1_saveexec_b32 s7, s27
; %bb.7222:                             ;   in Loop: Header=BB6_6467 Depth=2
	v_or_b32_e32 v76, 0x7f, v17
; %bb.7223:                             ;   in Loop: Header=BB6_6467 Depth=2
	s_or_b32 exec_lo, exec_lo, s7
	v_and_b32_e32 v18, 0xff, v74
	v_dual_mov_b32 v16, 0 :: v_dual_mov_b32 v17, 0
	s_mov_b32 s7, exec_lo
	s_delay_alu instid0(VALU_DEP_2)
	v_cmpx_ne_u16_e32 0, v18
	s_cbranch_execz .LBB6_7231
; %bb.7224:                             ;   in Loop: Header=BB6_6467 Depth=2
	v_bfrev_b32_e32 v17, 1
	s_mov_b32 s27, exec_lo
	v_cmpx_ne_u16_e32 0x80, v18
	s_cbranch_execz .LBB6_7230
; %bb.7225:                             ;   in Loop: Header=BB6_6467 Depth=2
	v_and_b32_e32 v19, 0x7f, v74
	v_mov_b32_e32 v17, 0x7f800001
	s_mov_b32 s28, exec_lo
	s_delay_alu instid0(VALU_DEP_2)
	v_cmpx_ne_u32_e32 0x7f, v19
	s_cbranch_execz .LBB6_7229
; %bb.7226:                             ;   in Loop: Header=BB6_6467 Depth=2
	v_dual_lshrrev_b32 v17, 3, v19 :: v_dual_bitop2_b32 v86, 7, v18 bitop3:0x40
	s_mov_b32 s29, exec_lo
	v_cmpx_gt_u32_e32 8, v19
; %bb.7227:                             ;   in Loop: Header=BB6_6467 Depth=2
	s_delay_alu instid0(VALU_DEP_2) | instskip(NEXT) | instid1(VALU_DEP_1)
	v_clz_i32_u32_e32 v17, v86
	v_min_u32_e32 v17, 32, v17
	s_delay_alu instid0(VALU_DEP_1) | instskip(NEXT) | instid1(VALU_DEP_1)
	v_subrev_nc_u32_e32 v18, 28, v17
	v_lshlrev_b64_e32 v[18:19], v18, v[86:87]
	s_delay_alu instid0(VALU_DEP_1)
	v_dual_sub_nc_u32 v17, 29, v17 :: v_dual_bitop2_b32 v86, 7, v18 bitop3:0x40
; %bb.7228:                             ;   in Loop: Header=BB6_6467 Depth=2
	s_or_b32 exec_lo, exec_lo, s29
	v_lshlrev_b32_e32 v18, 24, v74
	s_delay_alu instid0(VALU_DEP_2) | instskip(NEXT) | instid1(VALU_DEP_3)
	v_lshlrev_b32_e32 v19, 20, v86
	v_lshl_add_u32 v17, v17, 23, 0x3c000000
	s_delay_alu instid0(VALU_DEP_3) | instskip(NEXT) | instid1(VALU_DEP_1)
	v_and_b32_e32 v18, 0x80000000, v18
	v_or3_b32 v17, v19, v18, v17
.LBB6_7229:                             ;   in Loop: Header=BB6_6467 Depth=2
	s_or_b32 exec_lo, exec_lo, s28
.LBB6_7230:                             ;   in Loop: Header=BB6_6467 Depth=2
	s_delay_alu instid0(SALU_CYCLE_1)
	s_or_b32 exec_lo, exec_lo, s27
.LBB6_7231:                             ;   in Loop: Header=BB6_6467 Depth=2
	s_delay_alu instid0(SALU_CYCLE_1) | instskip(SKIP_3) | instid1(VALU_DEP_1)
	s_or_b32 exec_lo, exec_lo, s7
	s_wait_loadcnt_dscnt 0xa0a
	v_and_b32_e32 v18, 0xff, v59
	s_mov_b32 s7, exec_lo
	v_cmpx_ne_u16_e32 0, v18
	s_cbranch_execz .LBB6_7239
; %bb.7232:                             ;   in Loop: Header=BB6_6467 Depth=2
	v_bfrev_b32_e32 v16, 1
	s_mov_b32 s27, exec_lo
	v_cmpx_ne_u16_e32 0x80, v18
	s_cbranch_execz .LBB6_7238
; %bb.7233:                             ;   in Loop: Header=BB6_6467 Depth=2
	v_and_b32_e32 v19, 0x7f, v59
	v_mov_b32_e32 v16, 0x7f800001
	s_mov_b32 s28, exec_lo
	s_delay_alu instid0(VALU_DEP_2)
	v_cmpx_ne_u32_e32 0x7f, v19
	s_cbranch_execz .LBB6_7237
; %bb.7234:                             ;   in Loop: Header=BB6_6467 Depth=2
	v_dual_lshrrev_b32 v16, 3, v19 :: v_dual_bitop2_b32 v86, 7, v18 bitop3:0x40
	s_mov_b32 s29, exec_lo
	v_cmpx_gt_u32_e32 8, v19
; %bb.7235:                             ;   in Loop: Header=BB6_6467 Depth=2
	s_delay_alu instid0(VALU_DEP_2) | instskip(NEXT) | instid1(VALU_DEP_1)
	v_clz_i32_u32_e32 v16, v86
	v_min_u32_e32 v16, 32, v16
	s_delay_alu instid0(VALU_DEP_1) | instskip(NEXT) | instid1(VALU_DEP_1)
	v_subrev_nc_u32_e32 v18, 28, v16
	v_lshlrev_b64_e32 v[18:19], v18, v[86:87]
	s_delay_alu instid0(VALU_DEP_1)
	v_dual_sub_nc_u32 v16, 29, v16 :: v_dual_bitop2_b32 v86, 7, v18 bitop3:0x40
; %bb.7236:                             ;   in Loop: Header=BB6_6467 Depth=2
	s_or_b32 exec_lo, exec_lo, s29
	s_delay_alu instid0(VALU_DEP_1) | instskip(NEXT) | instid1(VALU_DEP_2)
	v_dual_lshlrev_b32 v18, 24, v59 :: v_dual_lshlrev_b32 v19, 20, v86
	v_lshl_add_u32 v16, v16, 23, 0x3c000000
	s_delay_alu instid0(VALU_DEP_2) | instskip(NEXT) | instid1(VALU_DEP_1)
	v_and_b32_e32 v18, 0x80000000, v18
	v_or3_b32 v16, v19, v18, v16
.LBB6_7237:                             ;   in Loop: Header=BB6_6467 Depth=2
	s_or_b32 exec_lo, exec_lo, s28
.LBB6_7238:                             ;   in Loop: Header=BB6_6467 Depth=2
	s_delay_alu instid0(SALU_CYCLE_1)
	s_or_b32 exec_lo, exec_lo, s27
.LBB6_7239:                             ;   in Loop: Header=BB6_6467 Depth=2
	s_delay_alu instid0(SALU_CYCLE_1) | instskip(NEXT) | instid1(VALU_DEP_1)
	s_or_b32 exec_lo, exec_lo, s7
	v_mul_f32_e32 v16, v17, v16
                                        ; implicit-def: $vgpr59
	s_mov_b32 s7, exec_lo
	s_delay_alu instid0(VALU_DEP_1) | instskip(SKIP_1) | instid1(VALU_DEP_2)
	v_and_b32_e32 v86, 0x7f800000, v16
	v_lshrrev_b32_e32 v17, 24, v16
	v_cmpx_ne_u64_e32 0x7f800000, v[86:87]
	s_xor_b32 s27, exec_lo, s7
	s_cbranch_execz .LBB6_7257
; %bb.7240:                             ;   in Loop: Header=BB6_6467 Depth=2
	v_and_b32_e32 v86, 0x7fffffff, v16
	v_and_b32_e32 v31, 0x80, v17
                                        ; implicit-def: $vgpr59
	s_mov_b32 s7, exec_lo
	s_delay_alu instid0(VALU_DEP_2)
	v_cmpx_gt_u64_e32 0x43e00001, v[86:87]
	s_xor_b32 s28, exec_lo, s7
	s_cbranch_execz .LBB6_7254
; %bb.7241:                             ;   in Loop: Header=BB6_6467 Depth=2
	v_mov_b32_e32 v59, 0
	s_mov_b32 s29, exec_lo
	v_cmpx_ne_u32_e32 0, v16
	s_cbranch_execz .LBB6_7253
; %bb.7242:                             ;   in Loop: Header=BB6_6467 Depth=2
	v_bfe_u32 v54, v16, 23, 8
	v_and_b32_e32 v18, 0x7fffff, v16
	s_delay_alu instid0(VALU_DEP_2) | instskip(SKIP_1) | instid1(VALU_DEP_3)
	v_sub_nc_u32_e32 v17, 0x79, v54
	v_cmp_gt_u32_e32 vcc_lo, 0x7a, v54
	v_or_b32_e32 v19, 0x800000, v18
	s_delay_alu instid0(VALU_DEP_3) | instskip(SKIP_1) | instid1(VALU_DEP_2)
	v_cndmask_b32_e32 v17, 0, v17, vcc_lo
	v_cmp_eq_u32_e32 vcc_lo, 0, v54
	v_cndmask_b32_e64 v55, v17, 0x78, vcc_lo
	s_delay_alu instid0(VALU_DEP_1) | instskip(SKIP_1) | instid1(VALU_DEP_2)
	v_dual_cndmask_b32 v86, v19, v18, vcc_lo :: v_dual_add_nc_u32 v66, 19, v55
	v_add_nc_u32_e32 v16, 20, v55
	v_lshlrev_b64_e64 v[18:19], v66, 1
	s_delay_alu instid0(VALU_DEP_2) | instskip(NEXT) | instid1(VALU_DEP_1)
	v_lshlrev_b64_e64 v[16:17], v16, -1
	v_bfi_b32 v103, v17, 0, 0
	s_delay_alu instid0(VALU_DEP_2) | instskip(SKIP_1) | instid1(VALU_DEP_2)
	v_bfi_b32 v102, v16, 0, v86
	v_lshrrev_b64 v[16:17], v55, v[86:87]
	v_cmp_eq_u64_e64 s7, v[102:103], v[18:19]
	s_delay_alu instid0(VALU_DEP_2)
	v_mov_b64_e32 v[18:19], v[16:17]
	s_and_saveexec_b32 s40, s7
; %bb.7243:                             ;   in Loop: Header=BB6_6467 Depth=2
	v_bfe_u32 v86, v16, 20, 1
	s_delay_alu instid0(VALU_DEP_1) | instskip(NEXT) | instid1(VALU_DEP_1)
	v_add_nc_u64_e32 v[18:19], v[16:17], v[86:87]
	v_add_nc_u64_e32 v[18:19], -1, v[18:19]
; %bb.7244:                             ;   in Loop: Header=BB6_6467 Depth=2
	s_or_b32 exec_lo, exec_lo, s40
	v_add_nc_u32_e32 v17, 0xffffff81, v54
	v_lshrrev_b32_e32 v19, 23, v16
	s_mov_b32 s7, exec_lo
	s_delay_alu instid0(VALU_DEP_2) | instskip(NEXT) | instid1(VALU_DEP_1)
	v_cndmask_b32_e64 v17, v17, 0xffffff82, vcc_lo
	v_add3_u32 v19, v55, v17, v19
	v_and_b32_e32 v17, 0xfffff, v18
                                        ; implicit-def: $vgpr18
	s_delay_alu instid0(VALU_DEP_1) | instskip(NEXT) | instid1(VALU_DEP_1)
	v_dual_add_nc_u32 v54, 6, v19 :: v_dual_add_nc_u32 v86, v17, v16
                                        ; implicit-def: $vgpr16_vgpr17
	v_cmpx_ne_u32_e32 0, v54
	s_xor_b32 s7, exec_lo, s7
; %bb.7245:                             ;   in Loop: Header=BB6_6467 Depth=2
	s_delay_alu instid0(VALU_DEP_2) | instskip(SKIP_1) | instid1(VALU_DEP_1)
	v_cmp_lt_u64_e32 vcc_lo, 0xffffff, v[86:87]
	v_add_nc_u32_e32 v16, 7, v19
	v_cndmask_b32_e32 v18, v54, v16, vcc_lo
	v_cndmask_b32_e64 v16, 0, 1, vcc_lo
	s_delay_alu instid0(VALU_DEP_1)
	v_lshrrev_b64 v[16:17], v16, v[86:87]
; %bb.7246:                             ;   in Loop: Header=BB6_6467 Depth=2
	s_and_not1_saveexec_b32 s7, s7
; %bb.7247:                             ;   in Loop: Header=BB6_6467 Depth=2
	v_mov_b64_e32 v[16:17], v[86:87]
	v_bfe_u32 v18, v86, 23, 1
; %bb.7248:                             ;   in Loop: Header=BB6_6467 Depth=2
	s_or_b32 exec_lo, exec_lo, s7
	s_delay_alu instid0(VALU_DEP_2) | instskip(NEXT) | instid1(VALU_DEP_2)
	v_lshrrev_b64 v[16:17], 20, v[16:17]
	v_cmp_gt_i32_e32 vcc_lo, 16, v18
	v_cmp_ne_u32_e64 s7, 0, v18
                                        ; implicit-def: $vgpr59
	s_delay_alu instid0(VALU_DEP_3) | instskip(NEXT) | instid1(VALU_DEP_1)
	v_dual_cndmask_b32 v17, 0, v17 :: v_dual_cndmask_b32 v16, 7, v16
	v_cmp_ne_u64_e32 vcc_lo, 0, v[16:17]
	s_or_b32 s7, s7, vcc_lo
	s_delay_alu instid0(SALU_CYCLE_1) | instskip(NEXT) | instid1(SALU_CYCLE_1)
	s_and_saveexec_b32 s40, s7
	s_xor_b32 s7, exec_lo, s40
; %bb.7249:                             ;   in Loop: Header=BB6_6467 Depth=2
	v_min_i32_e32 v17, 15, v18
	s_delay_alu instid0(VALU_DEP_1) | instskip(NEXT) | instid1(VALU_DEP_1)
	v_lshl_or_b32 v17, v17, 3, v31
                                        ; implicit-def: $vgpr31
	v_and_or_b32 v59, v16, 7, v17
; %bb.7250:                             ;   in Loop: Header=BB6_6467 Depth=2
	s_and_not1_saveexec_b32 s7, s7
; %bb.7251:                             ;   in Loop: Header=BB6_6467 Depth=2
	v_mov_b32_e32 v59, v31
; %bb.7252:                             ;   in Loop: Header=BB6_6467 Depth=2
	s_or_b32 exec_lo, exec_lo, s7
.LBB6_7253:                             ;   in Loop: Header=BB6_6467 Depth=2
	s_delay_alu instid0(SALU_CYCLE_1)
	s_or_b32 exec_lo, exec_lo, s29
                                        ; implicit-def: $vgpr31
.LBB6_7254:                             ;   in Loop: Header=BB6_6467 Depth=2
	s_and_not1_saveexec_b32 s7, s28
; %bb.7255:                             ;   in Loop: Header=BB6_6467 Depth=2
	v_or_b32_e32 v59, 0x7e, v31
; %bb.7256:                             ;   in Loop: Header=BB6_6467 Depth=2
	s_or_b32 exec_lo, exec_lo, s7
                                        ; implicit-def: $vgpr17
.LBB6_7257:                             ;   in Loop: Header=BB6_6467 Depth=2
	s_and_not1_saveexec_b32 s7, s27
; %bb.7258:                             ;   in Loop: Header=BB6_6467 Depth=2
	v_or_b32_e32 v59, 0x7f, v17
; %bb.7259:                             ;   in Loop: Header=BB6_6467 Depth=2
	s_or_b32 exec_lo, exec_lo, s7
	v_and_b32_e32 v18, 0xff, v57
	v_dual_mov_b32 v16, 0 :: v_dual_mov_b32 v17, 0
	s_mov_b32 s7, exec_lo
	s_delay_alu instid0(VALU_DEP_2)
	v_cmpx_ne_u16_e32 0, v18
	s_cbranch_execz .LBB6_7267
; %bb.7260:                             ;   in Loop: Header=BB6_6467 Depth=2
	v_bfrev_b32_e32 v17, 1
	s_mov_b32 s27, exec_lo
	v_cmpx_ne_u16_e32 0x80, v18
	s_cbranch_execz .LBB6_7266
; %bb.7261:                             ;   in Loop: Header=BB6_6467 Depth=2
	v_and_b32_e32 v19, 0x7f, v57
	v_mov_b32_e32 v17, 0x7f800001
	s_mov_b32 s28, exec_lo
	s_delay_alu instid0(VALU_DEP_2)
	v_cmpx_ne_u32_e32 0x7f, v19
	s_cbranch_execz .LBB6_7265
; %bb.7262:                             ;   in Loop: Header=BB6_6467 Depth=2
	v_dual_lshrrev_b32 v17, 3, v19 :: v_dual_bitop2_b32 v86, 7, v18 bitop3:0x40
	s_mov_b32 s29, exec_lo
	v_cmpx_gt_u32_e32 8, v19
; %bb.7263:                             ;   in Loop: Header=BB6_6467 Depth=2
	s_delay_alu instid0(VALU_DEP_2) | instskip(NEXT) | instid1(VALU_DEP_1)
	v_clz_i32_u32_e32 v17, v86
	v_min_u32_e32 v17, 32, v17
	s_delay_alu instid0(VALU_DEP_1) | instskip(NEXT) | instid1(VALU_DEP_1)
	v_subrev_nc_u32_e32 v18, 28, v17
	v_lshlrev_b64_e32 v[18:19], v18, v[86:87]
	s_delay_alu instid0(VALU_DEP_1)
	v_dual_sub_nc_u32 v17, 29, v17 :: v_dual_bitop2_b32 v86, 7, v18 bitop3:0x40
; %bb.7264:                             ;   in Loop: Header=BB6_6467 Depth=2
	s_or_b32 exec_lo, exec_lo, s29
	s_delay_alu instid0(VALU_DEP_1) | instskip(NEXT) | instid1(VALU_DEP_2)
	v_dual_lshlrev_b32 v18, 24, v57 :: v_dual_lshlrev_b32 v19, 20, v86
	v_lshl_add_u32 v17, v17, 23, 0x3c000000
	s_delay_alu instid0(VALU_DEP_2) | instskip(NEXT) | instid1(VALU_DEP_1)
	v_and_b32_e32 v18, 0x80000000, v18
	v_or3_b32 v17, v19, v18, v17
.LBB6_7265:                             ;   in Loop: Header=BB6_6467 Depth=2
	s_or_b32 exec_lo, exec_lo, s28
.LBB6_7266:                             ;   in Loop: Header=BB6_6467 Depth=2
	s_delay_alu instid0(SALU_CYCLE_1)
	s_or_b32 exec_lo, exec_lo, s27
.LBB6_7267:                             ;   in Loop: Header=BB6_6467 Depth=2
	s_delay_alu instid0(SALU_CYCLE_1) | instskip(SKIP_3) | instid1(VALU_DEP_1)
	s_or_b32 exec_lo, exec_lo, s7
	s_wait_loadcnt_dscnt 0x909
	v_and_b32_e32 v18, 0xff, v56
	s_mov_b32 s7, exec_lo
	v_cmpx_ne_u16_e32 0, v18
	s_cbranch_execz .LBB6_7275
; %bb.7268:                             ;   in Loop: Header=BB6_6467 Depth=2
	v_bfrev_b32_e32 v16, 1
	s_mov_b32 s27, exec_lo
	v_cmpx_ne_u16_e32 0x80, v18
	s_cbranch_execz .LBB6_7274
; %bb.7269:                             ;   in Loop: Header=BB6_6467 Depth=2
	v_and_b32_e32 v19, 0x7f, v56
	v_mov_b32_e32 v16, 0x7f800001
	s_mov_b32 s28, exec_lo
	s_delay_alu instid0(VALU_DEP_2)
	v_cmpx_ne_u32_e32 0x7f, v19
	s_cbranch_execz .LBB6_7273
; %bb.7270:                             ;   in Loop: Header=BB6_6467 Depth=2
	v_dual_lshrrev_b32 v16, 3, v19 :: v_dual_bitop2_b32 v86, 7, v18 bitop3:0x40
	s_mov_b32 s29, exec_lo
	v_cmpx_gt_u32_e32 8, v19
; %bb.7271:                             ;   in Loop: Header=BB6_6467 Depth=2
	s_delay_alu instid0(VALU_DEP_2) | instskip(NEXT) | instid1(VALU_DEP_1)
	v_clz_i32_u32_e32 v16, v86
	v_min_u32_e32 v16, 32, v16
	s_delay_alu instid0(VALU_DEP_1) | instskip(NEXT) | instid1(VALU_DEP_1)
	v_subrev_nc_u32_e32 v18, 28, v16
	v_lshlrev_b64_e32 v[18:19], v18, v[86:87]
	s_delay_alu instid0(VALU_DEP_1)
	v_dual_sub_nc_u32 v16, 29, v16 :: v_dual_bitop2_b32 v86, 7, v18 bitop3:0x40
; %bb.7272:                             ;   in Loop: Header=BB6_6467 Depth=2
	s_or_b32 exec_lo, exec_lo, s29
	s_delay_alu instid0(VALU_DEP_1) | instskip(NEXT) | instid1(VALU_DEP_2)
	v_dual_lshlrev_b32 v18, 24, v56 :: v_dual_lshlrev_b32 v19, 20, v86
	v_lshl_add_u32 v16, v16, 23, 0x3c000000
	s_delay_alu instid0(VALU_DEP_2) | instskip(NEXT) | instid1(VALU_DEP_1)
	v_and_b32_e32 v18, 0x80000000, v18
	v_or3_b32 v16, v19, v18, v16
.LBB6_7273:                             ;   in Loop: Header=BB6_6467 Depth=2
	s_or_b32 exec_lo, exec_lo, s28
.LBB6_7274:                             ;   in Loop: Header=BB6_6467 Depth=2
	s_delay_alu instid0(SALU_CYCLE_1)
	s_or_b32 exec_lo, exec_lo, s27
.LBB6_7275:                             ;   in Loop: Header=BB6_6467 Depth=2
	s_delay_alu instid0(SALU_CYCLE_1) | instskip(NEXT) | instid1(VALU_DEP_1)
	s_or_b32 exec_lo, exec_lo, s7
	v_mul_f32_e32 v16, v17, v16
                                        ; implicit-def: $vgpr56
	s_mov_b32 s7, exec_lo
	s_delay_alu instid0(VALU_DEP_1) | instskip(SKIP_1) | instid1(VALU_DEP_2)
	v_and_b32_e32 v86, 0x7f800000, v16
	v_lshrrev_b32_e32 v17, 24, v16
	v_cmpx_ne_u64_e32 0x7f800000, v[86:87]
	s_xor_b32 s27, exec_lo, s7
	s_cbranch_execz .LBB6_7293
; %bb.7276:                             ;   in Loop: Header=BB6_6467 Depth=2
	v_and_b32_e32 v86, 0x7fffffff, v16
	v_and_b32_e32 v31, 0x80, v17
                                        ; implicit-def: $vgpr56
	s_mov_b32 s7, exec_lo
	s_delay_alu instid0(VALU_DEP_2)
	v_cmpx_gt_u64_e32 0x43e00001, v[86:87]
	s_xor_b32 s28, exec_lo, s7
	s_cbranch_execz .LBB6_7290
; %bb.7277:                             ;   in Loop: Header=BB6_6467 Depth=2
	v_mov_b32_e32 v56, 0
	s_mov_b32 s29, exec_lo
	v_cmpx_ne_u32_e32 0, v16
	s_cbranch_execz .LBB6_7289
; %bb.7278:                             ;   in Loop: Header=BB6_6467 Depth=2
	v_bfe_u32 v54, v16, 23, 8
	v_and_b32_e32 v18, 0x7fffff, v16
	s_delay_alu instid0(VALU_DEP_2) | instskip(SKIP_1) | instid1(VALU_DEP_3)
	v_sub_nc_u32_e32 v17, 0x79, v54
	v_cmp_gt_u32_e32 vcc_lo, 0x7a, v54
	v_or_b32_e32 v19, 0x800000, v18
	s_delay_alu instid0(VALU_DEP_3) | instskip(SKIP_1) | instid1(VALU_DEP_2)
	v_cndmask_b32_e32 v17, 0, v17, vcc_lo
	v_cmp_eq_u32_e32 vcc_lo, 0, v54
	v_cndmask_b32_e64 v55, v17, 0x78, vcc_lo
	s_delay_alu instid0(VALU_DEP_1) | instskip(SKIP_1) | instid1(VALU_DEP_2)
	v_dual_cndmask_b32 v86, v19, v18, vcc_lo :: v_dual_add_nc_u32 v66, 19, v55
	v_add_nc_u32_e32 v16, 20, v55
	v_lshlrev_b64_e64 v[18:19], v66, 1
	s_delay_alu instid0(VALU_DEP_2) | instskip(NEXT) | instid1(VALU_DEP_1)
	v_lshlrev_b64_e64 v[16:17], v16, -1
	v_bfi_b32 v103, v17, 0, 0
	s_delay_alu instid0(VALU_DEP_2) | instskip(SKIP_1) | instid1(VALU_DEP_2)
	v_bfi_b32 v102, v16, 0, v86
	v_lshrrev_b64 v[16:17], v55, v[86:87]
	v_cmp_eq_u64_e64 s7, v[102:103], v[18:19]
	s_delay_alu instid0(VALU_DEP_2)
	v_mov_b64_e32 v[18:19], v[16:17]
	s_and_saveexec_b32 s40, s7
; %bb.7279:                             ;   in Loop: Header=BB6_6467 Depth=2
	v_bfe_u32 v86, v16, 20, 1
	s_delay_alu instid0(VALU_DEP_1) | instskip(NEXT) | instid1(VALU_DEP_1)
	v_add_nc_u64_e32 v[18:19], v[16:17], v[86:87]
	v_add_nc_u64_e32 v[18:19], -1, v[18:19]
; %bb.7280:                             ;   in Loop: Header=BB6_6467 Depth=2
	s_or_b32 exec_lo, exec_lo, s40
	v_add_nc_u32_e32 v17, 0xffffff81, v54
	v_lshrrev_b32_e32 v19, 23, v16
	s_mov_b32 s7, exec_lo
	s_delay_alu instid0(VALU_DEP_2) | instskip(NEXT) | instid1(VALU_DEP_1)
	v_cndmask_b32_e64 v17, v17, 0xffffff82, vcc_lo
	v_add3_u32 v19, v55, v17, v19
	v_and_b32_e32 v17, 0xfffff, v18
                                        ; implicit-def: $vgpr18
	s_delay_alu instid0(VALU_DEP_1) | instskip(NEXT) | instid1(VALU_DEP_1)
	v_dual_add_nc_u32 v54, 6, v19 :: v_dual_add_nc_u32 v86, v17, v16
                                        ; implicit-def: $vgpr16_vgpr17
	v_cmpx_ne_u32_e32 0, v54
	s_xor_b32 s7, exec_lo, s7
; %bb.7281:                             ;   in Loop: Header=BB6_6467 Depth=2
	s_delay_alu instid0(VALU_DEP_2) | instskip(SKIP_1) | instid1(VALU_DEP_1)
	v_cmp_lt_u64_e32 vcc_lo, 0xffffff, v[86:87]
	v_add_nc_u32_e32 v16, 7, v19
	v_cndmask_b32_e32 v18, v54, v16, vcc_lo
	v_cndmask_b32_e64 v16, 0, 1, vcc_lo
	s_delay_alu instid0(VALU_DEP_1)
	v_lshrrev_b64 v[16:17], v16, v[86:87]
; %bb.7282:                             ;   in Loop: Header=BB6_6467 Depth=2
	s_and_not1_saveexec_b32 s7, s7
; %bb.7283:                             ;   in Loop: Header=BB6_6467 Depth=2
	v_mov_b64_e32 v[16:17], v[86:87]
	v_bfe_u32 v18, v86, 23, 1
; %bb.7284:                             ;   in Loop: Header=BB6_6467 Depth=2
	s_or_b32 exec_lo, exec_lo, s7
	s_delay_alu instid0(VALU_DEP_2) | instskip(NEXT) | instid1(VALU_DEP_2)
	v_lshrrev_b64 v[16:17], 20, v[16:17]
	v_cmp_gt_i32_e32 vcc_lo, 16, v18
	v_cmp_ne_u32_e64 s7, 0, v18
                                        ; implicit-def: $vgpr56
	s_delay_alu instid0(VALU_DEP_3) | instskip(NEXT) | instid1(VALU_DEP_1)
	v_dual_cndmask_b32 v17, 0, v17 :: v_dual_cndmask_b32 v16, 7, v16
	v_cmp_ne_u64_e32 vcc_lo, 0, v[16:17]
	s_or_b32 s7, s7, vcc_lo
	s_delay_alu instid0(SALU_CYCLE_1) | instskip(NEXT) | instid1(SALU_CYCLE_1)
	s_and_saveexec_b32 s40, s7
	s_xor_b32 s7, exec_lo, s40
; %bb.7285:                             ;   in Loop: Header=BB6_6467 Depth=2
	v_min_i32_e32 v17, 15, v18
	s_delay_alu instid0(VALU_DEP_1) | instskip(NEXT) | instid1(VALU_DEP_1)
	v_lshl_or_b32 v17, v17, 3, v31
                                        ; implicit-def: $vgpr31
	v_and_or_b32 v56, v16, 7, v17
; %bb.7286:                             ;   in Loop: Header=BB6_6467 Depth=2
	s_and_not1_saveexec_b32 s7, s7
; %bb.7287:                             ;   in Loop: Header=BB6_6467 Depth=2
	v_mov_b32_e32 v56, v31
; %bb.7288:                             ;   in Loop: Header=BB6_6467 Depth=2
	s_or_b32 exec_lo, exec_lo, s7
.LBB6_7289:                             ;   in Loop: Header=BB6_6467 Depth=2
	s_delay_alu instid0(SALU_CYCLE_1)
	s_or_b32 exec_lo, exec_lo, s29
                                        ; implicit-def: $vgpr31
.LBB6_7290:                             ;   in Loop: Header=BB6_6467 Depth=2
	s_and_not1_saveexec_b32 s7, s28
; %bb.7291:                             ;   in Loop: Header=BB6_6467 Depth=2
	v_or_b32_e32 v56, 0x7e, v31
; %bb.7292:                             ;   in Loop: Header=BB6_6467 Depth=2
	s_or_b32 exec_lo, exec_lo, s7
                                        ; implicit-def: $vgpr17
.LBB6_7293:                             ;   in Loop: Header=BB6_6467 Depth=2
	s_and_not1_saveexec_b32 s7, s27
; %bb.7294:                             ;   in Loop: Header=BB6_6467 Depth=2
	v_or_b32_e32 v56, 0x7f, v17
; %bb.7295:                             ;   in Loop: Header=BB6_6467 Depth=2
	s_or_b32 exec_lo, exec_lo, s7
	v_and_b32_e32 v18, 0xff, v46
	v_dual_mov_b32 v16, 0 :: v_dual_mov_b32 v17, 0
	s_mov_b32 s7, exec_lo
	s_delay_alu instid0(VALU_DEP_2)
	v_cmpx_ne_u16_e32 0, v18
	s_cbranch_execz .LBB6_7303
; %bb.7296:                             ;   in Loop: Header=BB6_6467 Depth=2
	v_bfrev_b32_e32 v17, 1
	s_mov_b32 s27, exec_lo
	v_cmpx_ne_u16_e32 0x80, v18
	s_cbranch_execz .LBB6_7302
; %bb.7297:                             ;   in Loop: Header=BB6_6467 Depth=2
	v_and_b32_e32 v19, 0x7f, v46
	v_mov_b32_e32 v17, 0x7f800001
	s_mov_b32 s28, exec_lo
	s_delay_alu instid0(VALU_DEP_2)
	v_cmpx_ne_u32_e32 0x7f, v19
	s_cbranch_execz .LBB6_7301
; %bb.7298:                             ;   in Loop: Header=BB6_6467 Depth=2
	v_dual_lshrrev_b32 v17, 3, v19 :: v_dual_bitop2_b32 v86, 7, v18 bitop3:0x40
	s_mov_b32 s29, exec_lo
	v_cmpx_gt_u32_e32 8, v19
; %bb.7299:                             ;   in Loop: Header=BB6_6467 Depth=2
	s_delay_alu instid0(VALU_DEP_2) | instskip(NEXT) | instid1(VALU_DEP_1)
	v_clz_i32_u32_e32 v17, v86
	v_min_u32_e32 v17, 32, v17
	s_delay_alu instid0(VALU_DEP_1) | instskip(NEXT) | instid1(VALU_DEP_1)
	v_subrev_nc_u32_e32 v18, 28, v17
	v_lshlrev_b64_e32 v[18:19], v18, v[86:87]
	s_delay_alu instid0(VALU_DEP_1)
	v_dual_sub_nc_u32 v17, 29, v17 :: v_dual_bitop2_b32 v86, 7, v18 bitop3:0x40
; %bb.7300:                             ;   in Loop: Header=BB6_6467 Depth=2
	s_or_b32 exec_lo, exec_lo, s29
	v_lshlrev_b32_e32 v18, 24, v46
	s_delay_alu instid0(VALU_DEP_2) | instskip(NEXT) | instid1(VALU_DEP_3)
	v_lshlrev_b32_e32 v19, 20, v86
	v_lshl_add_u32 v17, v17, 23, 0x3c000000
	s_delay_alu instid0(VALU_DEP_3) | instskip(NEXT) | instid1(VALU_DEP_1)
	v_and_b32_e32 v18, 0x80000000, v18
	v_or3_b32 v17, v19, v18, v17
.LBB6_7301:                             ;   in Loop: Header=BB6_6467 Depth=2
	s_or_b32 exec_lo, exec_lo, s28
.LBB6_7302:                             ;   in Loop: Header=BB6_6467 Depth=2
	s_delay_alu instid0(SALU_CYCLE_1)
	s_or_b32 exec_lo, exec_lo, s27
.LBB6_7303:                             ;   in Loop: Header=BB6_6467 Depth=2
	s_delay_alu instid0(SALU_CYCLE_1) | instskip(SKIP_3) | instid1(VALU_DEP_1)
	s_or_b32 exec_lo, exec_lo, s7
	s_wait_loadcnt_dscnt 0x808
	v_and_b32_e32 v18, 0xff, v45
	s_mov_b32 s7, exec_lo
	v_cmpx_ne_u16_e32 0, v18
	s_cbranch_execz .LBB6_7311
; %bb.7304:                             ;   in Loop: Header=BB6_6467 Depth=2
	v_bfrev_b32_e32 v16, 1
	s_mov_b32 s27, exec_lo
	v_cmpx_ne_u16_e32 0x80, v18
	s_cbranch_execz .LBB6_7310
; %bb.7305:                             ;   in Loop: Header=BB6_6467 Depth=2
	v_and_b32_e32 v19, 0x7f, v45
	v_mov_b32_e32 v16, 0x7f800001
	s_mov_b32 s28, exec_lo
	s_delay_alu instid0(VALU_DEP_2)
	v_cmpx_ne_u32_e32 0x7f, v19
	s_cbranch_execz .LBB6_7309
; %bb.7306:                             ;   in Loop: Header=BB6_6467 Depth=2
	v_dual_lshrrev_b32 v16, 3, v19 :: v_dual_bitop2_b32 v86, 7, v18 bitop3:0x40
	s_mov_b32 s29, exec_lo
	v_cmpx_gt_u32_e32 8, v19
; %bb.7307:                             ;   in Loop: Header=BB6_6467 Depth=2
	s_delay_alu instid0(VALU_DEP_2) | instskip(NEXT) | instid1(VALU_DEP_1)
	v_clz_i32_u32_e32 v16, v86
	v_min_u32_e32 v16, 32, v16
	s_delay_alu instid0(VALU_DEP_1) | instskip(NEXT) | instid1(VALU_DEP_1)
	v_subrev_nc_u32_e32 v18, 28, v16
	v_lshlrev_b64_e32 v[18:19], v18, v[86:87]
	s_delay_alu instid0(VALU_DEP_1)
	v_dual_sub_nc_u32 v16, 29, v16 :: v_dual_bitop2_b32 v86, 7, v18 bitop3:0x40
; %bb.7308:                             ;   in Loop: Header=BB6_6467 Depth=2
	s_or_b32 exec_lo, exec_lo, s29
	s_delay_alu instid0(VALU_DEP_1) | instskip(NEXT) | instid1(VALU_DEP_2)
	v_dual_lshlrev_b32 v18, 24, v45 :: v_dual_lshlrev_b32 v19, 20, v86
	v_lshl_add_u32 v16, v16, 23, 0x3c000000
	s_delay_alu instid0(VALU_DEP_2) | instskip(NEXT) | instid1(VALU_DEP_1)
	v_and_b32_e32 v18, 0x80000000, v18
	v_or3_b32 v16, v19, v18, v16
.LBB6_7309:                             ;   in Loop: Header=BB6_6467 Depth=2
	s_or_b32 exec_lo, exec_lo, s28
.LBB6_7310:                             ;   in Loop: Header=BB6_6467 Depth=2
	s_delay_alu instid0(SALU_CYCLE_1)
	s_or_b32 exec_lo, exec_lo, s27
.LBB6_7311:                             ;   in Loop: Header=BB6_6467 Depth=2
	s_delay_alu instid0(SALU_CYCLE_1) | instskip(NEXT) | instid1(VALU_DEP_1)
	s_or_b32 exec_lo, exec_lo, s7
	v_mul_f32_e32 v16, v17, v16
                                        ; implicit-def: $vgpr45
	s_mov_b32 s7, exec_lo
	s_delay_alu instid0(VALU_DEP_1) | instskip(SKIP_1) | instid1(VALU_DEP_2)
	v_and_b32_e32 v86, 0x7f800000, v16
	v_lshrrev_b32_e32 v17, 24, v16
	v_cmpx_ne_u64_e32 0x7f800000, v[86:87]
	s_xor_b32 s27, exec_lo, s7
	s_cbranch_execz .LBB6_7329
; %bb.7312:                             ;   in Loop: Header=BB6_6467 Depth=2
	v_and_b32_e32 v86, 0x7fffffff, v16
	v_and_b32_e32 v31, 0x80, v17
                                        ; implicit-def: $vgpr45
	s_mov_b32 s7, exec_lo
	s_delay_alu instid0(VALU_DEP_2)
	v_cmpx_gt_u64_e32 0x43e00001, v[86:87]
	s_xor_b32 s28, exec_lo, s7
	s_cbranch_execz .LBB6_7326
; %bb.7313:                             ;   in Loop: Header=BB6_6467 Depth=2
	v_mov_b32_e32 v45, 0
	s_mov_b32 s29, exec_lo
	v_cmpx_ne_u32_e32 0, v16
	s_cbranch_execz .LBB6_7325
; %bb.7314:                             ;   in Loop: Header=BB6_6467 Depth=2
	v_bfe_u32 v54, v16, 23, 8
	v_and_b32_e32 v18, 0x7fffff, v16
	s_delay_alu instid0(VALU_DEP_2) | instskip(SKIP_1) | instid1(VALU_DEP_3)
	v_sub_nc_u32_e32 v17, 0x79, v54
	v_cmp_gt_u32_e32 vcc_lo, 0x7a, v54
	v_or_b32_e32 v19, 0x800000, v18
	s_delay_alu instid0(VALU_DEP_3) | instskip(SKIP_1) | instid1(VALU_DEP_2)
	v_cndmask_b32_e32 v17, 0, v17, vcc_lo
	v_cmp_eq_u32_e32 vcc_lo, 0, v54
	v_cndmask_b32_e64 v55, v17, 0x78, vcc_lo
	s_delay_alu instid0(VALU_DEP_1) | instskip(SKIP_1) | instid1(VALU_DEP_2)
	v_dual_cndmask_b32 v86, v19, v18, vcc_lo :: v_dual_add_nc_u32 v66, 19, v55
	v_add_nc_u32_e32 v16, 20, v55
	v_lshlrev_b64_e64 v[18:19], v66, 1
	s_delay_alu instid0(VALU_DEP_2) | instskip(NEXT) | instid1(VALU_DEP_1)
	v_lshlrev_b64_e64 v[16:17], v16, -1
	v_bfi_b32 v103, v17, 0, 0
	s_delay_alu instid0(VALU_DEP_2) | instskip(SKIP_1) | instid1(VALU_DEP_2)
	v_bfi_b32 v102, v16, 0, v86
	v_lshrrev_b64 v[16:17], v55, v[86:87]
	v_cmp_eq_u64_e64 s7, v[102:103], v[18:19]
	s_delay_alu instid0(VALU_DEP_2)
	v_mov_b64_e32 v[18:19], v[16:17]
	s_and_saveexec_b32 s40, s7
; %bb.7315:                             ;   in Loop: Header=BB6_6467 Depth=2
	v_bfe_u32 v86, v16, 20, 1
	s_delay_alu instid0(VALU_DEP_1) | instskip(NEXT) | instid1(VALU_DEP_1)
	v_add_nc_u64_e32 v[18:19], v[16:17], v[86:87]
	v_add_nc_u64_e32 v[18:19], -1, v[18:19]
; %bb.7316:                             ;   in Loop: Header=BB6_6467 Depth=2
	s_or_b32 exec_lo, exec_lo, s40
	v_add_nc_u32_e32 v17, 0xffffff81, v54
	v_lshrrev_b32_e32 v19, 23, v16
	s_mov_b32 s7, exec_lo
	s_delay_alu instid0(VALU_DEP_2) | instskip(NEXT) | instid1(VALU_DEP_1)
	v_cndmask_b32_e64 v17, v17, 0xffffff82, vcc_lo
	v_add3_u32 v19, v55, v17, v19
	v_and_b32_e32 v17, 0xfffff, v18
                                        ; implicit-def: $vgpr18
	s_delay_alu instid0(VALU_DEP_1) | instskip(NEXT) | instid1(VALU_DEP_1)
	v_dual_add_nc_u32 v54, 6, v19 :: v_dual_add_nc_u32 v86, v17, v16
                                        ; implicit-def: $vgpr16_vgpr17
	v_cmpx_ne_u32_e32 0, v54
	s_xor_b32 s7, exec_lo, s7
; %bb.7317:                             ;   in Loop: Header=BB6_6467 Depth=2
	s_delay_alu instid0(VALU_DEP_2) | instskip(SKIP_1) | instid1(VALU_DEP_1)
	v_cmp_lt_u64_e32 vcc_lo, 0xffffff, v[86:87]
	v_add_nc_u32_e32 v16, 7, v19
	v_cndmask_b32_e32 v18, v54, v16, vcc_lo
	v_cndmask_b32_e64 v16, 0, 1, vcc_lo
	s_delay_alu instid0(VALU_DEP_1)
	v_lshrrev_b64 v[16:17], v16, v[86:87]
; %bb.7318:                             ;   in Loop: Header=BB6_6467 Depth=2
	s_and_not1_saveexec_b32 s7, s7
; %bb.7319:                             ;   in Loop: Header=BB6_6467 Depth=2
	v_mov_b64_e32 v[16:17], v[86:87]
	v_bfe_u32 v18, v86, 23, 1
; %bb.7320:                             ;   in Loop: Header=BB6_6467 Depth=2
	s_or_b32 exec_lo, exec_lo, s7
	s_delay_alu instid0(VALU_DEP_2) | instskip(NEXT) | instid1(VALU_DEP_2)
	v_lshrrev_b64 v[16:17], 20, v[16:17]
	v_cmp_gt_i32_e32 vcc_lo, 16, v18
	v_cmp_ne_u32_e64 s7, 0, v18
                                        ; implicit-def: $vgpr45
	s_delay_alu instid0(VALU_DEP_3) | instskip(NEXT) | instid1(VALU_DEP_1)
	v_dual_cndmask_b32 v17, 0, v17 :: v_dual_cndmask_b32 v16, 7, v16
	v_cmp_ne_u64_e32 vcc_lo, 0, v[16:17]
	s_or_b32 s7, s7, vcc_lo
	s_delay_alu instid0(SALU_CYCLE_1) | instskip(NEXT) | instid1(SALU_CYCLE_1)
	s_and_saveexec_b32 s40, s7
	s_xor_b32 s7, exec_lo, s40
; %bb.7321:                             ;   in Loop: Header=BB6_6467 Depth=2
	v_min_i32_e32 v17, 15, v18
	s_delay_alu instid0(VALU_DEP_1) | instskip(NEXT) | instid1(VALU_DEP_1)
	v_lshl_or_b32 v17, v17, 3, v31
                                        ; implicit-def: $vgpr31
	v_and_or_b32 v45, v16, 7, v17
; %bb.7322:                             ;   in Loop: Header=BB6_6467 Depth=2
	s_and_not1_saveexec_b32 s7, s7
; %bb.7323:                             ;   in Loop: Header=BB6_6467 Depth=2
	v_mov_b32_e32 v45, v31
; %bb.7324:                             ;   in Loop: Header=BB6_6467 Depth=2
	s_or_b32 exec_lo, exec_lo, s7
.LBB6_7325:                             ;   in Loop: Header=BB6_6467 Depth=2
	s_delay_alu instid0(SALU_CYCLE_1)
	s_or_b32 exec_lo, exec_lo, s29
                                        ; implicit-def: $vgpr31
.LBB6_7326:                             ;   in Loop: Header=BB6_6467 Depth=2
	s_and_not1_saveexec_b32 s7, s28
; %bb.7327:                             ;   in Loop: Header=BB6_6467 Depth=2
	v_or_b32_e32 v45, 0x7e, v31
; %bb.7328:                             ;   in Loop: Header=BB6_6467 Depth=2
	s_or_b32 exec_lo, exec_lo, s7
                                        ; implicit-def: $vgpr17
.LBB6_7329:                             ;   in Loop: Header=BB6_6467 Depth=2
	s_and_not1_saveexec_b32 s7, s27
; %bb.7330:                             ;   in Loop: Header=BB6_6467 Depth=2
	v_or_b32_e32 v45, 0x7f, v17
; %bb.7331:                             ;   in Loop: Header=BB6_6467 Depth=2
	s_or_b32 exec_lo, exec_lo, s7
	v_and_b32_e32 v18, 0xff, v43
	v_dual_mov_b32 v16, 0 :: v_dual_mov_b32 v17, 0
	s_mov_b32 s7, exec_lo
	s_delay_alu instid0(VALU_DEP_2)
	v_cmpx_ne_u16_e32 0, v18
	s_cbranch_execz .LBB6_7339
; %bb.7332:                             ;   in Loop: Header=BB6_6467 Depth=2
	v_bfrev_b32_e32 v17, 1
	s_mov_b32 s27, exec_lo
	v_cmpx_ne_u16_e32 0x80, v18
	s_cbranch_execz .LBB6_7338
; %bb.7333:                             ;   in Loop: Header=BB6_6467 Depth=2
	v_and_b32_e32 v19, 0x7f, v43
	v_mov_b32_e32 v17, 0x7f800001
	s_mov_b32 s28, exec_lo
	s_delay_alu instid0(VALU_DEP_2)
	v_cmpx_ne_u32_e32 0x7f, v19
	s_cbranch_execz .LBB6_7337
; %bb.7334:                             ;   in Loop: Header=BB6_6467 Depth=2
	v_dual_lshrrev_b32 v17, 3, v19 :: v_dual_bitop2_b32 v86, 7, v18 bitop3:0x40
	s_mov_b32 s29, exec_lo
	v_cmpx_gt_u32_e32 8, v19
; %bb.7335:                             ;   in Loop: Header=BB6_6467 Depth=2
	s_delay_alu instid0(VALU_DEP_2) | instskip(NEXT) | instid1(VALU_DEP_1)
	v_clz_i32_u32_e32 v17, v86
	v_min_u32_e32 v17, 32, v17
	s_delay_alu instid0(VALU_DEP_1) | instskip(NEXT) | instid1(VALU_DEP_1)
	v_subrev_nc_u32_e32 v18, 28, v17
	v_lshlrev_b64_e32 v[18:19], v18, v[86:87]
	s_delay_alu instid0(VALU_DEP_1)
	v_dual_sub_nc_u32 v17, 29, v17 :: v_dual_bitop2_b32 v86, 7, v18 bitop3:0x40
; %bb.7336:                             ;   in Loop: Header=BB6_6467 Depth=2
	s_or_b32 exec_lo, exec_lo, s29
	s_delay_alu instid0(VALU_DEP_1) | instskip(NEXT) | instid1(VALU_DEP_2)
	v_dual_lshlrev_b32 v18, 24, v43 :: v_dual_lshlrev_b32 v19, 20, v86
	v_lshl_add_u32 v17, v17, 23, 0x3c000000
	s_delay_alu instid0(VALU_DEP_2) | instskip(NEXT) | instid1(VALU_DEP_1)
	v_and_b32_e32 v18, 0x80000000, v18
	v_or3_b32 v17, v19, v18, v17
.LBB6_7337:                             ;   in Loop: Header=BB6_6467 Depth=2
	s_or_b32 exec_lo, exec_lo, s28
.LBB6_7338:                             ;   in Loop: Header=BB6_6467 Depth=2
	s_delay_alu instid0(SALU_CYCLE_1)
	s_or_b32 exec_lo, exec_lo, s27
.LBB6_7339:                             ;   in Loop: Header=BB6_6467 Depth=2
	s_delay_alu instid0(SALU_CYCLE_1) | instskip(SKIP_3) | instid1(VALU_DEP_1)
	s_or_b32 exec_lo, exec_lo, s7
	s_wait_loadcnt_dscnt 0x707
	v_and_b32_e32 v18, 0xff, v42
	s_mov_b32 s7, exec_lo
	v_cmpx_ne_u16_e32 0, v18
	s_cbranch_execz .LBB6_7347
; %bb.7340:                             ;   in Loop: Header=BB6_6467 Depth=2
	v_bfrev_b32_e32 v16, 1
	s_mov_b32 s27, exec_lo
	v_cmpx_ne_u16_e32 0x80, v18
	s_cbranch_execz .LBB6_7346
; %bb.7341:                             ;   in Loop: Header=BB6_6467 Depth=2
	v_and_b32_e32 v19, 0x7f, v42
	v_mov_b32_e32 v16, 0x7f800001
	s_mov_b32 s28, exec_lo
	s_delay_alu instid0(VALU_DEP_2)
	v_cmpx_ne_u32_e32 0x7f, v19
	s_cbranch_execz .LBB6_7345
; %bb.7342:                             ;   in Loop: Header=BB6_6467 Depth=2
	v_dual_lshrrev_b32 v16, 3, v19 :: v_dual_bitop2_b32 v86, 7, v18 bitop3:0x40
	s_mov_b32 s29, exec_lo
	v_cmpx_gt_u32_e32 8, v19
; %bb.7343:                             ;   in Loop: Header=BB6_6467 Depth=2
	s_delay_alu instid0(VALU_DEP_2) | instskip(NEXT) | instid1(VALU_DEP_1)
	v_clz_i32_u32_e32 v16, v86
	v_min_u32_e32 v16, 32, v16
	s_delay_alu instid0(VALU_DEP_1) | instskip(NEXT) | instid1(VALU_DEP_1)
	v_subrev_nc_u32_e32 v18, 28, v16
	v_lshlrev_b64_e32 v[18:19], v18, v[86:87]
	s_delay_alu instid0(VALU_DEP_1)
	v_dual_sub_nc_u32 v16, 29, v16 :: v_dual_bitop2_b32 v86, 7, v18 bitop3:0x40
; %bb.7344:                             ;   in Loop: Header=BB6_6467 Depth=2
	s_or_b32 exec_lo, exec_lo, s29
	v_lshlrev_b32_e32 v18, 24, v42
	s_delay_alu instid0(VALU_DEP_2) | instskip(NEXT) | instid1(VALU_DEP_3)
	v_lshlrev_b32_e32 v19, 20, v86
	v_lshl_add_u32 v16, v16, 23, 0x3c000000
	s_delay_alu instid0(VALU_DEP_3) | instskip(NEXT) | instid1(VALU_DEP_1)
	v_and_b32_e32 v18, 0x80000000, v18
	v_or3_b32 v16, v19, v18, v16
.LBB6_7345:                             ;   in Loop: Header=BB6_6467 Depth=2
	s_or_b32 exec_lo, exec_lo, s28
.LBB6_7346:                             ;   in Loop: Header=BB6_6467 Depth=2
	s_delay_alu instid0(SALU_CYCLE_1)
	s_or_b32 exec_lo, exec_lo, s27
.LBB6_7347:                             ;   in Loop: Header=BB6_6467 Depth=2
	s_delay_alu instid0(SALU_CYCLE_1) | instskip(NEXT) | instid1(VALU_DEP_1)
	s_or_b32 exec_lo, exec_lo, s7
	v_mul_f32_e32 v16, v17, v16
                                        ; implicit-def: $vgpr42
	s_mov_b32 s7, exec_lo
	s_delay_alu instid0(VALU_DEP_1) | instskip(SKIP_1) | instid1(VALU_DEP_2)
	v_and_b32_e32 v86, 0x7f800000, v16
	v_lshrrev_b32_e32 v17, 24, v16
	v_cmpx_ne_u64_e32 0x7f800000, v[86:87]
	s_xor_b32 s27, exec_lo, s7
	s_cbranch_execz .LBB6_7365
; %bb.7348:                             ;   in Loop: Header=BB6_6467 Depth=2
	v_and_b32_e32 v86, 0x7fffffff, v16
	v_and_b32_e32 v31, 0x80, v17
                                        ; implicit-def: $vgpr42
	s_mov_b32 s7, exec_lo
	s_delay_alu instid0(VALU_DEP_2)
	v_cmpx_gt_u64_e32 0x43e00001, v[86:87]
	s_xor_b32 s28, exec_lo, s7
	s_cbranch_execz .LBB6_7362
; %bb.7349:                             ;   in Loop: Header=BB6_6467 Depth=2
	v_mov_b32_e32 v42, 0
	s_mov_b32 s29, exec_lo
	v_cmpx_ne_u32_e32 0, v16
	s_cbranch_execz .LBB6_7361
; %bb.7350:                             ;   in Loop: Header=BB6_6467 Depth=2
	v_bfe_u32 v54, v16, 23, 8
	v_and_b32_e32 v18, 0x7fffff, v16
	s_delay_alu instid0(VALU_DEP_2) | instskip(SKIP_1) | instid1(VALU_DEP_3)
	v_sub_nc_u32_e32 v17, 0x79, v54
	v_cmp_gt_u32_e32 vcc_lo, 0x7a, v54
	v_or_b32_e32 v19, 0x800000, v18
	s_delay_alu instid0(VALU_DEP_3) | instskip(SKIP_1) | instid1(VALU_DEP_2)
	v_cndmask_b32_e32 v17, 0, v17, vcc_lo
	v_cmp_eq_u32_e32 vcc_lo, 0, v54
	v_cndmask_b32_e64 v55, v17, 0x78, vcc_lo
	s_delay_alu instid0(VALU_DEP_1) | instskip(SKIP_1) | instid1(VALU_DEP_2)
	v_dual_cndmask_b32 v86, v19, v18, vcc_lo :: v_dual_add_nc_u32 v66, 19, v55
	v_add_nc_u32_e32 v16, 20, v55
	v_lshlrev_b64_e64 v[18:19], v66, 1
	s_delay_alu instid0(VALU_DEP_2) | instskip(NEXT) | instid1(VALU_DEP_1)
	v_lshlrev_b64_e64 v[16:17], v16, -1
	v_bfi_b32 v103, v17, 0, 0
	s_delay_alu instid0(VALU_DEP_2) | instskip(SKIP_1) | instid1(VALU_DEP_2)
	v_bfi_b32 v102, v16, 0, v86
	v_lshrrev_b64 v[16:17], v55, v[86:87]
	v_cmp_eq_u64_e64 s7, v[102:103], v[18:19]
	s_delay_alu instid0(VALU_DEP_2)
	v_mov_b64_e32 v[18:19], v[16:17]
	s_and_saveexec_b32 s40, s7
; %bb.7351:                             ;   in Loop: Header=BB6_6467 Depth=2
	v_bfe_u32 v86, v16, 20, 1
	s_delay_alu instid0(VALU_DEP_1) | instskip(NEXT) | instid1(VALU_DEP_1)
	v_add_nc_u64_e32 v[18:19], v[16:17], v[86:87]
	v_add_nc_u64_e32 v[18:19], -1, v[18:19]
; %bb.7352:                             ;   in Loop: Header=BB6_6467 Depth=2
	s_or_b32 exec_lo, exec_lo, s40
	v_add_nc_u32_e32 v17, 0xffffff81, v54
	v_lshrrev_b32_e32 v19, 23, v16
	s_mov_b32 s7, exec_lo
	s_delay_alu instid0(VALU_DEP_2) | instskip(NEXT) | instid1(VALU_DEP_1)
	v_cndmask_b32_e64 v17, v17, 0xffffff82, vcc_lo
	v_add3_u32 v19, v55, v17, v19
	v_and_b32_e32 v17, 0xfffff, v18
                                        ; implicit-def: $vgpr18
	s_delay_alu instid0(VALU_DEP_1) | instskip(NEXT) | instid1(VALU_DEP_1)
	v_dual_add_nc_u32 v54, 6, v19 :: v_dual_add_nc_u32 v86, v17, v16
                                        ; implicit-def: $vgpr16_vgpr17
	v_cmpx_ne_u32_e32 0, v54
	s_xor_b32 s7, exec_lo, s7
; %bb.7353:                             ;   in Loop: Header=BB6_6467 Depth=2
	s_delay_alu instid0(VALU_DEP_2) | instskip(SKIP_1) | instid1(VALU_DEP_1)
	v_cmp_lt_u64_e32 vcc_lo, 0xffffff, v[86:87]
	v_add_nc_u32_e32 v16, 7, v19
	v_cndmask_b32_e32 v18, v54, v16, vcc_lo
	v_cndmask_b32_e64 v16, 0, 1, vcc_lo
	s_delay_alu instid0(VALU_DEP_1)
	v_lshrrev_b64 v[16:17], v16, v[86:87]
; %bb.7354:                             ;   in Loop: Header=BB6_6467 Depth=2
	s_and_not1_saveexec_b32 s7, s7
; %bb.7355:                             ;   in Loop: Header=BB6_6467 Depth=2
	v_mov_b64_e32 v[16:17], v[86:87]
	v_bfe_u32 v18, v86, 23, 1
; %bb.7356:                             ;   in Loop: Header=BB6_6467 Depth=2
	s_or_b32 exec_lo, exec_lo, s7
	s_delay_alu instid0(VALU_DEP_2) | instskip(NEXT) | instid1(VALU_DEP_2)
	v_lshrrev_b64 v[16:17], 20, v[16:17]
	v_cmp_gt_i32_e32 vcc_lo, 16, v18
	v_cmp_ne_u32_e64 s7, 0, v18
                                        ; implicit-def: $vgpr42
	s_delay_alu instid0(VALU_DEP_3) | instskip(NEXT) | instid1(VALU_DEP_1)
	v_dual_cndmask_b32 v17, 0, v17 :: v_dual_cndmask_b32 v16, 7, v16
	v_cmp_ne_u64_e32 vcc_lo, 0, v[16:17]
	s_or_b32 s7, s7, vcc_lo
	s_delay_alu instid0(SALU_CYCLE_1) | instskip(NEXT) | instid1(SALU_CYCLE_1)
	s_and_saveexec_b32 s40, s7
	s_xor_b32 s7, exec_lo, s40
; %bb.7357:                             ;   in Loop: Header=BB6_6467 Depth=2
	v_min_i32_e32 v17, 15, v18
	s_delay_alu instid0(VALU_DEP_1) | instskip(NEXT) | instid1(VALU_DEP_1)
	v_lshl_or_b32 v17, v17, 3, v31
                                        ; implicit-def: $vgpr31
	v_and_or_b32 v42, v16, 7, v17
; %bb.7358:                             ;   in Loop: Header=BB6_6467 Depth=2
	s_and_not1_saveexec_b32 s7, s7
; %bb.7359:                             ;   in Loop: Header=BB6_6467 Depth=2
	v_mov_b32_e32 v42, v31
; %bb.7360:                             ;   in Loop: Header=BB6_6467 Depth=2
	s_or_b32 exec_lo, exec_lo, s7
.LBB6_7361:                             ;   in Loop: Header=BB6_6467 Depth=2
	s_delay_alu instid0(SALU_CYCLE_1)
	s_or_b32 exec_lo, exec_lo, s29
                                        ; implicit-def: $vgpr31
.LBB6_7362:                             ;   in Loop: Header=BB6_6467 Depth=2
	s_and_not1_saveexec_b32 s7, s28
; %bb.7363:                             ;   in Loop: Header=BB6_6467 Depth=2
	v_or_b32_e32 v42, 0x7e, v31
; %bb.7364:                             ;   in Loop: Header=BB6_6467 Depth=2
	s_or_b32 exec_lo, exec_lo, s7
                                        ; implicit-def: $vgpr17
.LBB6_7365:                             ;   in Loop: Header=BB6_6467 Depth=2
	s_and_not1_saveexec_b32 s7, s27
; %bb.7366:                             ;   in Loop: Header=BB6_6467 Depth=2
	v_or_b32_e32 v42, 0x7f, v17
; %bb.7367:                             ;   in Loop: Header=BB6_6467 Depth=2
	s_or_b32 exec_lo, exec_lo, s7
	v_and_b32_e32 v18, 0xff, v40
	v_dual_mov_b32 v16, 0 :: v_dual_mov_b32 v17, 0
	s_mov_b32 s7, exec_lo
	s_delay_alu instid0(VALU_DEP_2)
	v_cmpx_ne_u16_e32 0, v18
	s_cbranch_execz .LBB6_7375
; %bb.7368:                             ;   in Loop: Header=BB6_6467 Depth=2
	v_bfrev_b32_e32 v17, 1
	s_mov_b32 s27, exec_lo
	v_cmpx_ne_u16_e32 0x80, v18
	s_cbranch_execz .LBB6_7374
; %bb.7369:                             ;   in Loop: Header=BB6_6467 Depth=2
	v_and_b32_e32 v19, 0x7f, v40
	v_mov_b32_e32 v17, 0x7f800001
	s_mov_b32 s28, exec_lo
	s_delay_alu instid0(VALU_DEP_2)
	v_cmpx_ne_u32_e32 0x7f, v19
	s_cbranch_execz .LBB6_7373
; %bb.7370:                             ;   in Loop: Header=BB6_6467 Depth=2
	v_dual_lshrrev_b32 v17, 3, v19 :: v_dual_bitop2_b32 v86, 7, v18 bitop3:0x40
	s_mov_b32 s29, exec_lo
	v_cmpx_gt_u32_e32 8, v19
; %bb.7371:                             ;   in Loop: Header=BB6_6467 Depth=2
	s_delay_alu instid0(VALU_DEP_2) | instskip(NEXT) | instid1(VALU_DEP_1)
	v_clz_i32_u32_e32 v17, v86
	v_min_u32_e32 v17, 32, v17
	s_delay_alu instid0(VALU_DEP_1) | instskip(NEXT) | instid1(VALU_DEP_1)
	v_subrev_nc_u32_e32 v18, 28, v17
	v_lshlrev_b64_e32 v[18:19], v18, v[86:87]
	s_delay_alu instid0(VALU_DEP_1)
	v_dual_sub_nc_u32 v17, 29, v17 :: v_dual_bitop2_b32 v86, 7, v18 bitop3:0x40
; %bb.7372:                             ;   in Loop: Header=BB6_6467 Depth=2
	s_or_b32 exec_lo, exec_lo, s29
	s_delay_alu instid0(VALU_DEP_1) | instskip(NEXT) | instid1(VALU_DEP_2)
	v_dual_lshlrev_b32 v18, 24, v40 :: v_dual_lshlrev_b32 v19, 20, v86
	v_lshl_add_u32 v17, v17, 23, 0x3c000000
	s_delay_alu instid0(VALU_DEP_2) | instskip(NEXT) | instid1(VALU_DEP_1)
	v_and_b32_e32 v18, 0x80000000, v18
	v_or3_b32 v17, v19, v18, v17
.LBB6_7373:                             ;   in Loop: Header=BB6_6467 Depth=2
	s_or_b32 exec_lo, exec_lo, s28
.LBB6_7374:                             ;   in Loop: Header=BB6_6467 Depth=2
	s_delay_alu instid0(SALU_CYCLE_1)
	s_or_b32 exec_lo, exec_lo, s27
.LBB6_7375:                             ;   in Loop: Header=BB6_6467 Depth=2
	s_delay_alu instid0(SALU_CYCLE_1) | instskip(SKIP_3) | instid1(VALU_DEP_1)
	s_or_b32 exec_lo, exec_lo, s7
	s_wait_loadcnt_dscnt 0x606
	v_and_b32_e32 v18, 0xff, v119
	s_mov_b32 s7, exec_lo
	v_cmpx_ne_u16_e32 0, v18
	s_cbranch_execz .LBB6_7383
; %bb.7376:                             ;   in Loop: Header=BB6_6467 Depth=2
	v_bfrev_b32_e32 v16, 1
	s_mov_b32 s27, exec_lo
	v_cmpx_ne_u16_e32 0x80, v18
	s_cbranch_execz .LBB6_7382
; %bb.7377:                             ;   in Loop: Header=BB6_6467 Depth=2
	v_and_b32_e32 v19, 0x7f, v119
	v_mov_b32_e32 v16, 0x7f800001
	s_mov_b32 s28, exec_lo
	s_delay_alu instid0(VALU_DEP_2)
	v_cmpx_ne_u32_e32 0x7f, v19
	s_cbranch_execz .LBB6_7381
; %bb.7378:                             ;   in Loop: Header=BB6_6467 Depth=2
	v_dual_lshrrev_b32 v16, 3, v19 :: v_dual_bitop2_b32 v86, 7, v18 bitop3:0x40
	s_mov_b32 s29, exec_lo
	v_cmpx_gt_u32_e32 8, v19
; %bb.7379:                             ;   in Loop: Header=BB6_6467 Depth=2
	s_delay_alu instid0(VALU_DEP_2) | instskip(NEXT) | instid1(VALU_DEP_1)
	v_clz_i32_u32_e32 v16, v86
	v_min_u32_e32 v16, 32, v16
	s_delay_alu instid0(VALU_DEP_1) | instskip(NEXT) | instid1(VALU_DEP_1)
	v_subrev_nc_u32_e32 v18, 28, v16
	v_lshlrev_b64_e32 v[18:19], v18, v[86:87]
	s_delay_alu instid0(VALU_DEP_1)
	v_dual_sub_nc_u32 v16, 29, v16 :: v_dual_bitop2_b32 v86, 7, v18 bitop3:0x40
; %bb.7380:                             ;   in Loop: Header=BB6_6467 Depth=2
	s_or_b32 exec_lo, exec_lo, s29
	s_delay_alu instid0(VALU_DEP_1) | instskip(NEXT) | instid1(VALU_DEP_2)
	v_dual_lshlrev_b32 v18, 24, v119 :: v_dual_lshlrev_b32 v19, 20, v86
	v_lshl_add_u32 v16, v16, 23, 0x3c000000
	s_delay_alu instid0(VALU_DEP_2) | instskip(NEXT) | instid1(VALU_DEP_1)
	v_and_b32_e32 v18, 0x80000000, v18
	v_or3_b32 v16, v19, v18, v16
.LBB6_7381:                             ;   in Loop: Header=BB6_6467 Depth=2
	s_or_b32 exec_lo, exec_lo, s28
.LBB6_7382:                             ;   in Loop: Header=BB6_6467 Depth=2
	s_delay_alu instid0(SALU_CYCLE_1)
	s_or_b32 exec_lo, exec_lo, s27
.LBB6_7383:                             ;   in Loop: Header=BB6_6467 Depth=2
	s_delay_alu instid0(SALU_CYCLE_1) | instskip(NEXT) | instid1(VALU_DEP_1)
	s_or_b32 exec_lo, exec_lo, s7
	v_mul_f32_e32 v16, v17, v16
                                        ; implicit-def: $vgpr119
	s_mov_b32 s7, exec_lo
	s_delay_alu instid0(VALU_DEP_1) | instskip(SKIP_1) | instid1(VALU_DEP_2)
	v_and_b32_e32 v86, 0x7f800000, v16
	v_lshrrev_b32_e32 v17, 24, v16
	v_cmpx_ne_u64_e32 0x7f800000, v[86:87]
	s_xor_b32 s27, exec_lo, s7
	s_cbranch_execz .LBB6_7401
; %bb.7384:                             ;   in Loop: Header=BB6_6467 Depth=2
	v_and_b32_e32 v86, 0x7fffffff, v16
	v_and_b32_e32 v31, 0x80, v17
                                        ; implicit-def: $vgpr119
	s_mov_b32 s7, exec_lo
	s_delay_alu instid0(VALU_DEP_2)
	v_cmpx_gt_u64_e32 0x43e00001, v[86:87]
	s_xor_b32 s28, exec_lo, s7
	s_cbranch_execz .LBB6_7398
; %bb.7385:                             ;   in Loop: Header=BB6_6467 Depth=2
	v_mov_b32_e32 v119, 0
	s_mov_b32 s29, exec_lo
	v_cmpx_ne_u32_e32 0, v16
	s_cbranch_execz .LBB6_7397
; %bb.7386:                             ;   in Loop: Header=BB6_6467 Depth=2
	v_bfe_u32 v54, v16, 23, 8
	v_and_b32_e32 v18, 0x7fffff, v16
	s_delay_alu instid0(VALU_DEP_2) | instskip(SKIP_1) | instid1(VALU_DEP_3)
	v_sub_nc_u32_e32 v17, 0x79, v54
	v_cmp_gt_u32_e32 vcc_lo, 0x7a, v54
	v_or_b32_e32 v19, 0x800000, v18
	s_delay_alu instid0(VALU_DEP_3) | instskip(SKIP_1) | instid1(VALU_DEP_2)
	v_cndmask_b32_e32 v17, 0, v17, vcc_lo
	v_cmp_eq_u32_e32 vcc_lo, 0, v54
	v_cndmask_b32_e64 v55, v17, 0x78, vcc_lo
	s_delay_alu instid0(VALU_DEP_1) | instskip(SKIP_1) | instid1(VALU_DEP_2)
	v_dual_cndmask_b32 v86, v19, v18, vcc_lo :: v_dual_add_nc_u32 v66, 19, v55
	v_add_nc_u32_e32 v16, 20, v55
	v_lshlrev_b64_e64 v[18:19], v66, 1
	s_delay_alu instid0(VALU_DEP_2) | instskip(NEXT) | instid1(VALU_DEP_1)
	v_lshlrev_b64_e64 v[16:17], v16, -1
	v_bfi_b32 v103, v17, 0, 0
	s_delay_alu instid0(VALU_DEP_2) | instskip(SKIP_1) | instid1(VALU_DEP_2)
	v_bfi_b32 v102, v16, 0, v86
	v_lshrrev_b64 v[16:17], v55, v[86:87]
	v_cmp_eq_u64_e64 s7, v[102:103], v[18:19]
	s_delay_alu instid0(VALU_DEP_2)
	v_mov_b64_e32 v[18:19], v[16:17]
	s_and_saveexec_b32 s40, s7
; %bb.7387:                             ;   in Loop: Header=BB6_6467 Depth=2
	v_bfe_u32 v86, v16, 20, 1
	s_delay_alu instid0(VALU_DEP_1) | instskip(NEXT) | instid1(VALU_DEP_1)
	v_add_nc_u64_e32 v[18:19], v[16:17], v[86:87]
	v_add_nc_u64_e32 v[18:19], -1, v[18:19]
; %bb.7388:                             ;   in Loop: Header=BB6_6467 Depth=2
	s_or_b32 exec_lo, exec_lo, s40
	v_add_nc_u32_e32 v17, 0xffffff81, v54
	v_lshrrev_b32_e32 v19, 23, v16
	s_mov_b32 s7, exec_lo
	s_delay_alu instid0(VALU_DEP_2) | instskip(NEXT) | instid1(VALU_DEP_1)
	v_cndmask_b32_e64 v17, v17, 0xffffff82, vcc_lo
	v_add3_u32 v19, v55, v17, v19
	v_and_b32_e32 v17, 0xfffff, v18
                                        ; implicit-def: $vgpr18
	s_delay_alu instid0(VALU_DEP_1) | instskip(NEXT) | instid1(VALU_DEP_1)
	v_dual_add_nc_u32 v54, 6, v19 :: v_dual_add_nc_u32 v86, v17, v16
                                        ; implicit-def: $vgpr16_vgpr17
	v_cmpx_ne_u32_e32 0, v54
	s_xor_b32 s7, exec_lo, s7
; %bb.7389:                             ;   in Loop: Header=BB6_6467 Depth=2
	s_delay_alu instid0(VALU_DEP_2) | instskip(SKIP_1) | instid1(VALU_DEP_1)
	v_cmp_lt_u64_e32 vcc_lo, 0xffffff, v[86:87]
	v_add_nc_u32_e32 v16, 7, v19
	v_cndmask_b32_e32 v18, v54, v16, vcc_lo
	v_cndmask_b32_e64 v16, 0, 1, vcc_lo
	s_delay_alu instid0(VALU_DEP_1)
	v_lshrrev_b64 v[16:17], v16, v[86:87]
; %bb.7390:                             ;   in Loop: Header=BB6_6467 Depth=2
	s_and_not1_saveexec_b32 s7, s7
; %bb.7391:                             ;   in Loop: Header=BB6_6467 Depth=2
	v_mov_b64_e32 v[16:17], v[86:87]
	v_bfe_u32 v18, v86, 23, 1
; %bb.7392:                             ;   in Loop: Header=BB6_6467 Depth=2
	s_or_b32 exec_lo, exec_lo, s7
	s_delay_alu instid0(VALU_DEP_2) | instskip(NEXT) | instid1(VALU_DEP_2)
	v_lshrrev_b64 v[16:17], 20, v[16:17]
	v_cmp_gt_i32_e32 vcc_lo, 16, v18
	v_cmp_ne_u32_e64 s7, 0, v18
                                        ; implicit-def: $vgpr119
	s_delay_alu instid0(VALU_DEP_3) | instskip(NEXT) | instid1(VALU_DEP_1)
	v_dual_cndmask_b32 v17, 0, v17 :: v_dual_cndmask_b32 v16, 7, v16
	v_cmp_ne_u64_e32 vcc_lo, 0, v[16:17]
	s_or_b32 s7, s7, vcc_lo
	s_delay_alu instid0(SALU_CYCLE_1) | instskip(NEXT) | instid1(SALU_CYCLE_1)
	s_and_saveexec_b32 s40, s7
	s_xor_b32 s7, exec_lo, s40
; %bb.7393:                             ;   in Loop: Header=BB6_6467 Depth=2
	v_min_i32_e32 v17, 15, v18
	s_delay_alu instid0(VALU_DEP_1) | instskip(NEXT) | instid1(VALU_DEP_1)
	v_lshl_or_b32 v17, v17, 3, v31
                                        ; implicit-def: $vgpr31
	v_and_or_b32 v119, v16, 7, v17
; %bb.7394:                             ;   in Loop: Header=BB6_6467 Depth=2
	s_and_not1_saveexec_b32 s7, s7
; %bb.7395:                             ;   in Loop: Header=BB6_6467 Depth=2
	v_mov_b32_e32 v119, v31
; %bb.7396:                             ;   in Loop: Header=BB6_6467 Depth=2
	s_or_b32 exec_lo, exec_lo, s7
.LBB6_7397:                             ;   in Loop: Header=BB6_6467 Depth=2
	s_delay_alu instid0(SALU_CYCLE_1)
	s_or_b32 exec_lo, exec_lo, s29
                                        ; implicit-def: $vgpr31
.LBB6_7398:                             ;   in Loop: Header=BB6_6467 Depth=2
	s_and_not1_saveexec_b32 s7, s28
; %bb.7399:                             ;   in Loop: Header=BB6_6467 Depth=2
	v_or_b32_e32 v119, 0x7e, v31
; %bb.7400:                             ;   in Loop: Header=BB6_6467 Depth=2
	s_or_b32 exec_lo, exec_lo, s7
                                        ; implicit-def: $vgpr17
.LBB6_7401:                             ;   in Loop: Header=BB6_6467 Depth=2
	s_and_not1_saveexec_b32 s7, s27
; %bb.7402:                             ;   in Loop: Header=BB6_6467 Depth=2
	v_or_b32_e32 v119, 0x7f, v17
; %bb.7403:                             ;   in Loop: Header=BB6_6467 Depth=2
	s_or_b32 exec_lo, exec_lo, s7
	v_and_b32_e32 v18, 0xff, v51
	v_dual_mov_b32 v16, 0 :: v_dual_mov_b32 v17, 0
	s_mov_b32 s7, exec_lo
	s_delay_alu instid0(VALU_DEP_2)
	v_cmpx_ne_u16_e32 0, v18
	s_cbranch_execz .LBB6_7411
; %bb.7404:                             ;   in Loop: Header=BB6_6467 Depth=2
	v_bfrev_b32_e32 v17, 1
	s_mov_b32 s27, exec_lo
	v_cmpx_ne_u16_e32 0x80, v18
	s_cbranch_execz .LBB6_7410
; %bb.7405:                             ;   in Loop: Header=BB6_6467 Depth=2
	v_and_b32_e32 v19, 0x7f, v51
	v_mov_b32_e32 v17, 0x7f800001
	s_mov_b32 s28, exec_lo
	s_delay_alu instid0(VALU_DEP_2)
	v_cmpx_ne_u32_e32 0x7f, v19
	s_cbranch_execz .LBB6_7409
; %bb.7406:                             ;   in Loop: Header=BB6_6467 Depth=2
	v_dual_lshrrev_b32 v17, 3, v19 :: v_dual_bitop2_b32 v86, 7, v18 bitop3:0x40
	s_mov_b32 s29, exec_lo
	v_cmpx_gt_u32_e32 8, v19
; %bb.7407:                             ;   in Loop: Header=BB6_6467 Depth=2
	s_delay_alu instid0(VALU_DEP_2) | instskip(NEXT) | instid1(VALU_DEP_1)
	v_clz_i32_u32_e32 v17, v86
	v_min_u32_e32 v17, 32, v17
	s_delay_alu instid0(VALU_DEP_1) | instskip(NEXT) | instid1(VALU_DEP_1)
	v_subrev_nc_u32_e32 v18, 28, v17
	v_lshlrev_b64_e32 v[18:19], v18, v[86:87]
	s_delay_alu instid0(VALU_DEP_1)
	v_dual_sub_nc_u32 v17, 29, v17 :: v_dual_bitop2_b32 v86, 7, v18 bitop3:0x40
; %bb.7408:                             ;   in Loop: Header=BB6_6467 Depth=2
	s_or_b32 exec_lo, exec_lo, s29
	s_delay_alu instid0(VALU_DEP_1) | instskip(NEXT) | instid1(VALU_DEP_2)
	v_dual_lshlrev_b32 v18, 24, v51 :: v_dual_lshlrev_b32 v19, 20, v86
	v_lshl_add_u32 v17, v17, 23, 0x3c000000
	s_delay_alu instid0(VALU_DEP_2) | instskip(NEXT) | instid1(VALU_DEP_1)
	v_and_b32_e32 v18, 0x80000000, v18
	v_or3_b32 v17, v19, v18, v17
.LBB6_7409:                             ;   in Loop: Header=BB6_6467 Depth=2
	s_or_b32 exec_lo, exec_lo, s28
.LBB6_7410:                             ;   in Loop: Header=BB6_6467 Depth=2
	s_delay_alu instid0(SALU_CYCLE_1)
	s_or_b32 exec_lo, exec_lo, s27
.LBB6_7411:                             ;   in Loop: Header=BB6_6467 Depth=2
	s_delay_alu instid0(SALU_CYCLE_1) | instskip(SKIP_3) | instid1(VALU_DEP_1)
	s_or_b32 exec_lo, exec_lo, s7
	s_wait_loadcnt_dscnt 0x505
	v_and_b32_e32 v18, 0xff, v50
	s_mov_b32 s7, exec_lo
	v_cmpx_ne_u16_e32 0, v18
	s_cbranch_execz .LBB6_7419
; %bb.7412:                             ;   in Loop: Header=BB6_6467 Depth=2
	v_bfrev_b32_e32 v16, 1
	s_mov_b32 s27, exec_lo
	v_cmpx_ne_u16_e32 0x80, v18
	s_cbranch_execz .LBB6_7418
; %bb.7413:                             ;   in Loop: Header=BB6_6467 Depth=2
	v_and_b32_e32 v19, 0x7f, v50
	v_mov_b32_e32 v16, 0x7f800001
	s_mov_b32 s28, exec_lo
	s_delay_alu instid0(VALU_DEP_2)
	v_cmpx_ne_u32_e32 0x7f, v19
	s_cbranch_execz .LBB6_7417
; %bb.7414:                             ;   in Loop: Header=BB6_6467 Depth=2
	v_dual_lshrrev_b32 v16, 3, v19 :: v_dual_bitop2_b32 v86, 7, v18 bitop3:0x40
	s_mov_b32 s29, exec_lo
	v_cmpx_gt_u32_e32 8, v19
; %bb.7415:                             ;   in Loop: Header=BB6_6467 Depth=2
	s_delay_alu instid0(VALU_DEP_2) | instskip(NEXT) | instid1(VALU_DEP_1)
	v_clz_i32_u32_e32 v16, v86
	v_min_u32_e32 v16, 32, v16
	s_delay_alu instid0(VALU_DEP_1) | instskip(NEXT) | instid1(VALU_DEP_1)
	v_subrev_nc_u32_e32 v18, 28, v16
	v_lshlrev_b64_e32 v[18:19], v18, v[86:87]
	s_delay_alu instid0(VALU_DEP_1)
	v_dual_sub_nc_u32 v16, 29, v16 :: v_dual_bitop2_b32 v86, 7, v18 bitop3:0x40
; %bb.7416:                             ;   in Loop: Header=BB6_6467 Depth=2
	s_or_b32 exec_lo, exec_lo, s29
	v_lshlrev_b32_e32 v18, 24, v50
	s_delay_alu instid0(VALU_DEP_2) | instskip(NEXT) | instid1(VALU_DEP_3)
	v_lshlrev_b32_e32 v19, 20, v86
	v_lshl_add_u32 v16, v16, 23, 0x3c000000
	s_delay_alu instid0(VALU_DEP_3) | instskip(NEXT) | instid1(VALU_DEP_1)
	v_and_b32_e32 v18, 0x80000000, v18
	v_or3_b32 v16, v19, v18, v16
.LBB6_7417:                             ;   in Loop: Header=BB6_6467 Depth=2
	s_or_b32 exec_lo, exec_lo, s28
.LBB6_7418:                             ;   in Loop: Header=BB6_6467 Depth=2
	s_delay_alu instid0(SALU_CYCLE_1)
	s_or_b32 exec_lo, exec_lo, s27
.LBB6_7419:                             ;   in Loop: Header=BB6_6467 Depth=2
	s_delay_alu instid0(SALU_CYCLE_1) | instskip(NEXT) | instid1(VALU_DEP_1)
	s_or_b32 exec_lo, exec_lo, s7
	v_mul_f32_e32 v16, v17, v16
                                        ; implicit-def: $vgpr50
	s_mov_b32 s7, exec_lo
	s_delay_alu instid0(VALU_DEP_1) | instskip(SKIP_1) | instid1(VALU_DEP_2)
	v_and_b32_e32 v86, 0x7f800000, v16
	v_lshrrev_b32_e32 v17, 24, v16
	v_cmpx_ne_u64_e32 0x7f800000, v[86:87]
	s_xor_b32 s27, exec_lo, s7
	s_cbranch_execz .LBB6_7437
; %bb.7420:                             ;   in Loop: Header=BB6_6467 Depth=2
	v_and_b32_e32 v86, 0x7fffffff, v16
	v_and_b32_e32 v31, 0x80, v17
                                        ; implicit-def: $vgpr50
	s_mov_b32 s7, exec_lo
	s_delay_alu instid0(VALU_DEP_2)
	v_cmpx_gt_u64_e32 0x43e00001, v[86:87]
	s_xor_b32 s28, exec_lo, s7
	s_cbranch_execz .LBB6_7434
; %bb.7421:                             ;   in Loop: Header=BB6_6467 Depth=2
	v_mov_b32_e32 v50, 0
	s_mov_b32 s29, exec_lo
	v_cmpx_ne_u32_e32 0, v16
	s_cbranch_execz .LBB6_7433
; %bb.7422:                             ;   in Loop: Header=BB6_6467 Depth=2
	v_bfe_u32 v50, v16, 23, 8
	v_and_b32_e32 v18, 0x7fffff, v16
	s_delay_alu instid0(VALU_DEP_2) | instskip(SKIP_1) | instid1(VALU_DEP_3)
	v_sub_nc_u32_e32 v17, 0x79, v50
	v_cmp_gt_u32_e32 vcc_lo, 0x7a, v50
	v_or_b32_e32 v19, 0x800000, v18
	s_delay_alu instid0(VALU_DEP_3) | instskip(SKIP_1) | instid1(VALU_DEP_2)
	v_cndmask_b32_e32 v17, 0, v17, vcc_lo
	v_cmp_eq_u32_e32 vcc_lo, 0, v50
	v_cndmask_b32_e64 v51, v17, 0x78, vcc_lo
	s_delay_alu instid0(VALU_DEP_1) | instskip(SKIP_1) | instid1(VALU_DEP_2)
	v_dual_cndmask_b32 v86, v19, v18, vcc_lo :: v_dual_add_nc_u32 v54, 19, v51
	v_add_nc_u32_e32 v16, 20, v51
	v_lshlrev_b64_e64 v[18:19], v54, 1
	s_delay_alu instid0(VALU_DEP_2) | instskip(NEXT) | instid1(VALU_DEP_1)
	v_lshlrev_b64_e64 v[16:17], v16, -1
	v_bfi_b32 v55, v17, 0, 0
	s_delay_alu instid0(VALU_DEP_2) | instskip(SKIP_1) | instid1(VALU_DEP_2)
	v_bfi_b32 v54, v16, 0, v86
	v_lshrrev_b64 v[16:17], v51, v[86:87]
	v_cmp_eq_u64_e64 s7, v[54:55], v[18:19]
	s_delay_alu instid0(VALU_DEP_2)
	v_mov_b64_e32 v[18:19], v[16:17]
	s_and_saveexec_b32 s40, s7
; %bb.7423:                             ;   in Loop: Header=BB6_6467 Depth=2
	v_bfe_u32 v86, v16, 20, 1
	s_delay_alu instid0(VALU_DEP_1) | instskip(NEXT) | instid1(VALU_DEP_1)
	v_add_nc_u64_e32 v[18:19], v[16:17], v[86:87]
	v_add_nc_u64_e32 v[18:19], -1, v[18:19]
; %bb.7424:                             ;   in Loop: Header=BB6_6467 Depth=2
	s_or_b32 exec_lo, exec_lo, s40
	v_add_nc_u32_e32 v17, 0xffffff81, v50
	v_lshrrev_b32_e32 v19, 23, v16
	s_mov_b32 s7, exec_lo
	s_delay_alu instid0(VALU_DEP_2) | instskip(NEXT) | instid1(VALU_DEP_1)
	v_cndmask_b32_e64 v17, v17, 0xffffff82, vcc_lo
	v_add3_u32 v19, v51, v17, v19
	v_and_b32_e32 v17, 0xfffff, v18
                                        ; implicit-def: $vgpr18
	s_delay_alu instid0(VALU_DEP_1) | instskip(NEXT) | instid1(VALU_DEP_1)
	v_dual_add_nc_u32 v50, 6, v19 :: v_dual_add_nc_u32 v86, v17, v16
                                        ; implicit-def: $vgpr16_vgpr17
	v_cmpx_ne_u32_e32 0, v50
	s_xor_b32 s7, exec_lo, s7
; %bb.7425:                             ;   in Loop: Header=BB6_6467 Depth=2
	s_delay_alu instid0(VALU_DEP_2) | instskip(SKIP_1) | instid1(VALU_DEP_1)
	v_cmp_lt_u64_e32 vcc_lo, 0xffffff, v[86:87]
	v_add_nc_u32_e32 v16, 7, v19
	v_cndmask_b32_e32 v18, v50, v16, vcc_lo
	v_cndmask_b32_e64 v16, 0, 1, vcc_lo
	s_delay_alu instid0(VALU_DEP_1)
	v_lshrrev_b64 v[16:17], v16, v[86:87]
; %bb.7426:                             ;   in Loop: Header=BB6_6467 Depth=2
	s_and_not1_saveexec_b32 s7, s7
; %bb.7427:                             ;   in Loop: Header=BB6_6467 Depth=2
	v_mov_b64_e32 v[16:17], v[86:87]
	v_bfe_u32 v18, v86, 23, 1
; %bb.7428:                             ;   in Loop: Header=BB6_6467 Depth=2
	s_or_b32 exec_lo, exec_lo, s7
	s_delay_alu instid0(VALU_DEP_2) | instskip(NEXT) | instid1(VALU_DEP_2)
	v_lshrrev_b64 v[16:17], 20, v[16:17]
	v_cmp_gt_i32_e32 vcc_lo, 16, v18
	v_cmp_ne_u32_e64 s7, 0, v18
                                        ; implicit-def: $vgpr50
	s_delay_alu instid0(VALU_DEP_3) | instskip(NEXT) | instid1(VALU_DEP_1)
	v_dual_cndmask_b32 v17, 0, v17 :: v_dual_cndmask_b32 v16, 7, v16
	v_cmp_ne_u64_e32 vcc_lo, 0, v[16:17]
	s_or_b32 s7, s7, vcc_lo
	s_delay_alu instid0(SALU_CYCLE_1) | instskip(NEXT) | instid1(SALU_CYCLE_1)
	s_and_saveexec_b32 s40, s7
	s_xor_b32 s7, exec_lo, s40
; %bb.7429:                             ;   in Loop: Header=BB6_6467 Depth=2
	v_min_i32_e32 v17, 15, v18
	s_delay_alu instid0(VALU_DEP_1) | instskip(NEXT) | instid1(VALU_DEP_1)
	v_lshl_or_b32 v17, v17, 3, v31
                                        ; implicit-def: $vgpr31
	v_and_or_b32 v50, v16, 7, v17
; %bb.7430:                             ;   in Loop: Header=BB6_6467 Depth=2
	s_and_not1_saveexec_b32 s7, s7
; %bb.7431:                             ;   in Loop: Header=BB6_6467 Depth=2
	v_mov_b32_e32 v50, v31
; %bb.7432:                             ;   in Loop: Header=BB6_6467 Depth=2
	s_or_b32 exec_lo, exec_lo, s7
.LBB6_7433:                             ;   in Loop: Header=BB6_6467 Depth=2
	s_delay_alu instid0(SALU_CYCLE_1)
	s_or_b32 exec_lo, exec_lo, s29
                                        ; implicit-def: $vgpr31
.LBB6_7434:                             ;   in Loop: Header=BB6_6467 Depth=2
	s_and_not1_saveexec_b32 s7, s28
; %bb.7435:                             ;   in Loop: Header=BB6_6467 Depth=2
	v_or_b32_e32 v50, 0x7e, v31
; %bb.7436:                             ;   in Loop: Header=BB6_6467 Depth=2
	s_or_b32 exec_lo, exec_lo, s7
                                        ; implicit-def: $vgpr17
.LBB6_7437:                             ;   in Loop: Header=BB6_6467 Depth=2
	s_and_not1_saveexec_b32 s7, s27
; %bb.7438:                             ;   in Loop: Header=BB6_6467 Depth=2
	v_or_b32_e32 v50, 0x7f, v17
; %bb.7439:                             ;   in Loop: Header=BB6_6467 Depth=2
	s_or_b32 exec_lo, exec_lo, s7
	v_and_b32_e32 v18, 0xff, v48
	v_dual_mov_b32 v16, 0 :: v_dual_mov_b32 v17, 0
	s_mov_b32 s7, exec_lo
	s_delay_alu instid0(VALU_DEP_2)
	v_cmpx_ne_u16_e32 0, v18
	s_cbranch_execz .LBB6_7447
; %bb.7440:                             ;   in Loop: Header=BB6_6467 Depth=2
	v_bfrev_b32_e32 v17, 1
	s_mov_b32 s27, exec_lo
	v_cmpx_ne_u16_e32 0x80, v18
	s_cbranch_execz .LBB6_7446
; %bb.7441:                             ;   in Loop: Header=BB6_6467 Depth=2
	v_and_b32_e32 v19, 0x7f, v48
	v_mov_b32_e32 v17, 0x7f800001
	s_mov_b32 s28, exec_lo
	s_delay_alu instid0(VALU_DEP_2)
	v_cmpx_ne_u32_e32 0x7f, v19
	s_cbranch_execz .LBB6_7445
; %bb.7442:                             ;   in Loop: Header=BB6_6467 Depth=2
	v_dual_lshrrev_b32 v17, 3, v19 :: v_dual_bitop2_b32 v86, 7, v18 bitop3:0x40
	s_mov_b32 s29, exec_lo
	v_cmpx_gt_u32_e32 8, v19
; %bb.7443:                             ;   in Loop: Header=BB6_6467 Depth=2
	s_delay_alu instid0(VALU_DEP_2) | instskip(NEXT) | instid1(VALU_DEP_1)
	v_clz_i32_u32_e32 v17, v86
	v_min_u32_e32 v17, 32, v17
	s_delay_alu instid0(VALU_DEP_1) | instskip(NEXT) | instid1(VALU_DEP_1)
	v_subrev_nc_u32_e32 v18, 28, v17
	v_lshlrev_b64_e32 v[18:19], v18, v[86:87]
	s_delay_alu instid0(VALU_DEP_1)
	v_dual_sub_nc_u32 v17, 29, v17 :: v_dual_bitop2_b32 v86, 7, v18 bitop3:0x40
; %bb.7444:                             ;   in Loop: Header=BB6_6467 Depth=2
	s_or_b32 exec_lo, exec_lo, s29
	s_delay_alu instid0(VALU_DEP_1) | instskip(NEXT) | instid1(VALU_DEP_2)
	v_dual_lshlrev_b32 v18, 24, v48 :: v_dual_lshlrev_b32 v19, 20, v86
	v_lshl_add_u32 v17, v17, 23, 0x3c000000
	s_delay_alu instid0(VALU_DEP_2) | instskip(NEXT) | instid1(VALU_DEP_1)
	v_and_b32_e32 v18, 0x80000000, v18
	v_or3_b32 v17, v19, v18, v17
.LBB6_7445:                             ;   in Loop: Header=BB6_6467 Depth=2
	s_or_b32 exec_lo, exec_lo, s28
.LBB6_7446:                             ;   in Loop: Header=BB6_6467 Depth=2
	s_delay_alu instid0(SALU_CYCLE_1)
	s_or_b32 exec_lo, exec_lo, s27
.LBB6_7447:                             ;   in Loop: Header=BB6_6467 Depth=2
	s_delay_alu instid0(SALU_CYCLE_1) | instskip(SKIP_3) | instid1(VALU_DEP_1)
	s_or_b32 exec_lo, exec_lo, s7
	s_wait_loadcnt_dscnt 0x404
	v_and_b32_e32 v18, 0xff, v39
	s_mov_b32 s7, exec_lo
	v_cmpx_ne_u16_e32 0, v18
	s_cbranch_execz .LBB6_7455
; %bb.7448:                             ;   in Loop: Header=BB6_6467 Depth=2
	v_bfrev_b32_e32 v16, 1
	s_mov_b32 s27, exec_lo
	v_cmpx_ne_u16_e32 0x80, v18
	s_cbranch_execz .LBB6_7454
; %bb.7449:                             ;   in Loop: Header=BB6_6467 Depth=2
	v_and_b32_e32 v19, 0x7f, v39
	v_mov_b32_e32 v16, 0x7f800001
	s_mov_b32 s28, exec_lo
	s_delay_alu instid0(VALU_DEP_2)
	v_cmpx_ne_u32_e32 0x7f, v19
	s_cbranch_execz .LBB6_7453
; %bb.7450:                             ;   in Loop: Header=BB6_6467 Depth=2
	v_dual_lshrrev_b32 v16, 3, v19 :: v_dual_bitop2_b32 v86, 7, v18 bitop3:0x40
	s_mov_b32 s29, exec_lo
	v_cmpx_gt_u32_e32 8, v19
; %bb.7451:                             ;   in Loop: Header=BB6_6467 Depth=2
	s_delay_alu instid0(VALU_DEP_2) | instskip(NEXT) | instid1(VALU_DEP_1)
	v_clz_i32_u32_e32 v16, v86
	v_min_u32_e32 v16, 32, v16
	s_delay_alu instid0(VALU_DEP_1) | instskip(NEXT) | instid1(VALU_DEP_1)
	v_subrev_nc_u32_e32 v18, 28, v16
	v_lshlrev_b64_e32 v[18:19], v18, v[86:87]
	s_delay_alu instid0(VALU_DEP_1)
	v_dual_sub_nc_u32 v16, 29, v16 :: v_dual_bitop2_b32 v86, 7, v18 bitop3:0x40
; %bb.7452:                             ;   in Loop: Header=BB6_6467 Depth=2
	s_or_b32 exec_lo, exec_lo, s29
	s_delay_alu instid0(VALU_DEP_1) | instskip(NEXT) | instid1(VALU_DEP_2)
	v_dual_lshlrev_b32 v18, 24, v39 :: v_dual_lshlrev_b32 v19, 20, v86
	v_lshl_add_u32 v16, v16, 23, 0x3c000000
	s_delay_alu instid0(VALU_DEP_2) | instskip(NEXT) | instid1(VALU_DEP_1)
	v_and_b32_e32 v18, 0x80000000, v18
	v_or3_b32 v16, v19, v18, v16
.LBB6_7453:                             ;   in Loop: Header=BB6_6467 Depth=2
	s_or_b32 exec_lo, exec_lo, s28
.LBB6_7454:                             ;   in Loop: Header=BB6_6467 Depth=2
	s_delay_alu instid0(SALU_CYCLE_1)
	s_or_b32 exec_lo, exec_lo, s27
.LBB6_7455:                             ;   in Loop: Header=BB6_6467 Depth=2
	s_delay_alu instid0(SALU_CYCLE_1) | instskip(NEXT) | instid1(VALU_DEP_1)
	s_or_b32 exec_lo, exec_lo, s7
	v_mul_f32_e32 v16, v17, v16
                                        ; implicit-def: $vgpr39
	s_mov_b32 s7, exec_lo
	s_delay_alu instid0(VALU_DEP_1) | instskip(SKIP_1) | instid1(VALU_DEP_2)
	v_and_b32_e32 v86, 0x7f800000, v16
	v_lshrrev_b32_e32 v17, 24, v16
	v_cmpx_ne_u64_e32 0x7f800000, v[86:87]
	s_xor_b32 s27, exec_lo, s7
	s_cbranch_execz .LBB6_7473
; %bb.7456:                             ;   in Loop: Header=BB6_6467 Depth=2
	v_and_b32_e32 v86, 0x7fffffff, v16
	v_and_b32_e32 v31, 0x80, v17
                                        ; implicit-def: $vgpr39
	s_mov_b32 s7, exec_lo
	s_delay_alu instid0(VALU_DEP_2)
	v_cmpx_gt_u64_e32 0x43e00001, v[86:87]
	s_xor_b32 s28, exec_lo, s7
	s_cbranch_execz .LBB6_7470
; %bb.7457:                             ;   in Loop: Header=BB6_6467 Depth=2
	v_mov_b32_e32 v39, 0
	s_mov_b32 s29, exec_lo
	v_cmpx_ne_u32_e32 0, v16
	s_cbranch_execz .LBB6_7469
; %bb.7458:                             ;   in Loop: Header=BB6_6467 Depth=2
	v_bfe_u32 v39, v16, 23, 8
	v_and_b32_e32 v18, 0x7fffff, v16
	s_delay_alu instid0(VALU_DEP_2) | instskip(NEXT) | instid1(VALU_DEP_2)
	v_cmp_gt_u32_e32 vcc_lo, 0x7a, v39
	v_or_b32_e32 v19, 0x800000, v18
	v_sub_nc_u32_e32 v17, 0x79, v39
	s_delay_alu instid0(VALU_DEP_1) | instskip(SKIP_1) | instid1(VALU_DEP_2)
	v_cndmask_b32_e32 v17, 0, v17, vcc_lo
	v_cmp_eq_u32_e32 vcc_lo, 0, v39
	v_cndmask_b32_e64 v48, v17, 0x78, vcc_lo
	s_delay_alu instid0(VALU_DEP_1) | instskip(SKIP_1) | instid1(VALU_DEP_2)
	v_dual_cndmask_b32 v86, v19, v18, vcc_lo :: v_dual_add_nc_u32 v16, 20, v48
	v_add_nc_u32_e32 v51, 19, v48
	v_lshlrev_b64_e64 v[16:17], v16, -1
	s_delay_alu instid0(VALU_DEP_2) | instskip(NEXT) | instid1(VALU_DEP_2)
	v_lshlrev_b64_e64 v[18:19], v51, 1
	v_bfi_b32 v55, v17, 0, 0
	s_delay_alu instid0(VALU_DEP_3) | instskip(SKIP_1) | instid1(VALU_DEP_2)
	v_bfi_b32 v54, v16, 0, v86
	v_lshrrev_b64 v[16:17], v48, v[86:87]
	v_cmp_eq_u64_e64 s7, v[54:55], v[18:19]
	s_delay_alu instid0(VALU_DEP_2)
	v_mov_b64_e32 v[18:19], v[16:17]
	s_and_saveexec_b32 s40, s7
; %bb.7459:                             ;   in Loop: Header=BB6_6467 Depth=2
	v_bfe_u32 v86, v16, 20, 1
	s_delay_alu instid0(VALU_DEP_1) | instskip(NEXT) | instid1(VALU_DEP_1)
	v_add_nc_u64_e32 v[18:19], v[16:17], v[86:87]
	v_add_nc_u64_e32 v[18:19], -1, v[18:19]
; %bb.7460:                             ;   in Loop: Header=BB6_6467 Depth=2
	s_or_b32 exec_lo, exec_lo, s40
	v_add_nc_u32_e32 v17, 0xffffff81, v39
	v_lshrrev_b32_e32 v19, 23, v16
	s_mov_b32 s7, exec_lo
	s_delay_alu instid0(VALU_DEP_2) | instskip(NEXT) | instid1(VALU_DEP_1)
	v_cndmask_b32_e64 v17, v17, 0xffffff82, vcc_lo
	v_add3_u32 v19, v48, v17, v19
	v_and_b32_e32 v17, 0xfffff, v18
                                        ; implicit-def: $vgpr18
	s_delay_alu instid0(VALU_DEP_1) | instskip(NEXT) | instid1(VALU_DEP_1)
	v_dual_add_nc_u32 v39, 6, v19 :: v_dual_add_nc_u32 v86, v17, v16
                                        ; implicit-def: $vgpr16_vgpr17
	v_cmpx_ne_u32_e32 0, v39
	s_xor_b32 s7, exec_lo, s7
; %bb.7461:                             ;   in Loop: Header=BB6_6467 Depth=2
	s_delay_alu instid0(VALU_DEP_2) | instskip(SKIP_1) | instid1(VALU_DEP_1)
	v_cmp_lt_u64_e32 vcc_lo, 0xffffff, v[86:87]
	v_add_nc_u32_e32 v16, 7, v19
	v_cndmask_b32_e32 v18, v39, v16, vcc_lo
	v_cndmask_b32_e64 v16, 0, 1, vcc_lo
	s_delay_alu instid0(VALU_DEP_1)
	v_lshrrev_b64 v[16:17], v16, v[86:87]
; %bb.7462:                             ;   in Loop: Header=BB6_6467 Depth=2
	s_and_not1_saveexec_b32 s7, s7
; %bb.7463:                             ;   in Loop: Header=BB6_6467 Depth=2
	v_mov_b64_e32 v[16:17], v[86:87]
	v_bfe_u32 v18, v86, 23, 1
; %bb.7464:                             ;   in Loop: Header=BB6_6467 Depth=2
	s_or_b32 exec_lo, exec_lo, s7
	s_delay_alu instid0(VALU_DEP_2) | instskip(NEXT) | instid1(VALU_DEP_2)
	v_lshrrev_b64 v[16:17], 20, v[16:17]
	v_cmp_gt_i32_e32 vcc_lo, 16, v18
	v_cmp_ne_u32_e64 s7, 0, v18
                                        ; implicit-def: $vgpr39
	s_delay_alu instid0(VALU_DEP_3) | instskip(NEXT) | instid1(VALU_DEP_1)
	v_dual_cndmask_b32 v17, 0, v17 :: v_dual_cndmask_b32 v16, 7, v16
	v_cmp_ne_u64_e32 vcc_lo, 0, v[16:17]
	s_or_b32 s7, s7, vcc_lo
	s_delay_alu instid0(SALU_CYCLE_1) | instskip(NEXT) | instid1(SALU_CYCLE_1)
	s_and_saveexec_b32 s40, s7
	s_xor_b32 s7, exec_lo, s40
; %bb.7465:                             ;   in Loop: Header=BB6_6467 Depth=2
	v_min_i32_e32 v17, 15, v18
	s_delay_alu instid0(VALU_DEP_1) | instskip(NEXT) | instid1(VALU_DEP_1)
	v_lshl_or_b32 v17, v17, 3, v31
                                        ; implicit-def: $vgpr31
	v_and_or_b32 v39, v16, 7, v17
; %bb.7466:                             ;   in Loop: Header=BB6_6467 Depth=2
	s_and_not1_saveexec_b32 s7, s7
; %bb.7467:                             ;   in Loop: Header=BB6_6467 Depth=2
	v_mov_b32_e32 v39, v31
; %bb.7468:                             ;   in Loop: Header=BB6_6467 Depth=2
	s_or_b32 exec_lo, exec_lo, s7
.LBB6_7469:                             ;   in Loop: Header=BB6_6467 Depth=2
	s_delay_alu instid0(SALU_CYCLE_1)
	s_or_b32 exec_lo, exec_lo, s29
                                        ; implicit-def: $vgpr31
.LBB6_7470:                             ;   in Loop: Header=BB6_6467 Depth=2
	s_and_not1_saveexec_b32 s7, s28
; %bb.7471:                             ;   in Loop: Header=BB6_6467 Depth=2
	v_or_b32_e32 v39, 0x7e, v31
; %bb.7472:                             ;   in Loop: Header=BB6_6467 Depth=2
	s_or_b32 exec_lo, exec_lo, s7
                                        ; implicit-def: $vgpr17
.LBB6_7473:                             ;   in Loop: Header=BB6_6467 Depth=2
	s_and_not1_saveexec_b32 s7, s27
; %bb.7474:                             ;   in Loop: Header=BB6_6467 Depth=2
	v_or_b32_e32 v39, 0x7f, v17
; %bb.7475:                             ;   in Loop: Header=BB6_6467 Depth=2
	s_or_b32 exec_lo, exec_lo, s7
	v_and_b32_e32 v18, 0xff, v37
	v_dual_mov_b32 v16, 0 :: v_dual_mov_b32 v17, 0
	s_mov_b32 s7, exec_lo
	s_delay_alu instid0(VALU_DEP_2)
	v_cmpx_ne_u16_e32 0, v18
	s_cbranch_execz .LBB6_7483
; %bb.7476:                             ;   in Loop: Header=BB6_6467 Depth=2
	v_bfrev_b32_e32 v17, 1
	s_mov_b32 s27, exec_lo
	v_cmpx_ne_u16_e32 0x80, v18
	s_cbranch_execz .LBB6_7482
; %bb.7477:                             ;   in Loop: Header=BB6_6467 Depth=2
	v_and_b32_e32 v19, 0x7f, v37
	v_mov_b32_e32 v17, 0x7f800001
	s_mov_b32 s28, exec_lo
	s_delay_alu instid0(VALU_DEP_2)
	v_cmpx_ne_u32_e32 0x7f, v19
	s_cbranch_execz .LBB6_7481
; %bb.7478:                             ;   in Loop: Header=BB6_6467 Depth=2
	v_dual_lshrrev_b32 v17, 3, v19 :: v_dual_bitop2_b32 v86, 7, v18 bitop3:0x40
	s_mov_b32 s29, exec_lo
	v_cmpx_gt_u32_e32 8, v19
; %bb.7479:                             ;   in Loop: Header=BB6_6467 Depth=2
	s_delay_alu instid0(VALU_DEP_2) | instskip(NEXT) | instid1(VALU_DEP_1)
	v_clz_i32_u32_e32 v17, v86
	v_min_u32_e32 v17, 32, v17
	s_delay_alu instid0(VALU_DEP_1) | instskip(NEXT) | instid1(VALU_DEP_1)
	v_subrev_nc_u32_e32 v18, 28, v17
	v_lshlrev_b64_e32 v[18:19], v18, v[86:87]
	s_delay_alu instid0(VALU_DEP_1)
	v_dual_sub_nc_u32 v17, 29, v17 :: v_dual_bitop2_b32 v86, 7, v18 bitop3:0x40
; %bb.7480:                             ;   in Loop: Header=BB6_6467 Depth=2
	s_or_b32 exec_lo, exec_lo, s29
	s_delay_alu instid0(VALU_DEP_1) | instskip(NEXT) | instid1(VALU_DEP_2)
	v_dual_lshlrev_b32 v18, 24, v37 :: v_dual_lshlrev_b32 v19, 20, v86
	v_lshl_add_u32 v17, v17, 23, 0x3c000000
	s_delay_alu instid0(VALU_DEP_2) | instskip(NEXT) | instid1(VALU_DEP_1)
	v_and_b32_e32 v18, 0x80000000, v18
	v_or3_b32 v17, v19, v18, v17
.LBB6_7481:                             ;   in Loop: Header=BB6_6467 Depth=2
	s_or_b32 exec_lo, exec_lo, s28
.LBB6_7482:                             ;   in Loop: Header=BB6_6467 Depth=2
	s_delay_alu instid0(SALU_CYCLE_1)
	s_or_b32 exec_lo, exec_lo, s27
.LBB6_7483:                             ;   in Loop: Header=BB6_6467 Depth=2
	s_delay_alu instid0(SALU_CYCLE_1) | instskip(SKIP_3) | instid1(VALU_DEP_1)
	s_or_b32 exec_lo, exec_lo, s7
	s_wait_loadcnt_dscnt 0x303
	v_and_b32_e32 v18, 0xff, v36
	s_mov_b32 s7, exec_lo
	v_cmpx_ne_u16_e32 0, v18
	s_cbranch_execz .LBB6_7491
; %bb.7484:                             ;   in Loop: Header=BB6_6467 Depth=2
	v_bfrev_b32_e32 v16, 1
	s_mov_b32 s27, exec_lo
	v_cmpx_ne_u16_e32 0x80, v18
	s_cbranch_execz .LBB6_7490
; %bb.7485:                             ;   in Loop: Header=BB6_6467 Depth=2
	v_and_b32_e32 v19, 0x7f, v36
	v_mov_b32_e32 v16, 0x7f800001
	s_mov_b32 s28, exec_lo
	s_delay_alu instid0(VALU_DEP_2)
	v_cmpx_ne_u32_e32 0x7f, v19
	s_cbranch_execz .LBB6_7489
; %bb.7486:                             ;   in Loop: Header=BB6_6467 Depth=2
	v_dual_lshrrev_b32 v16, 3, v19 :: v_dual_bitop2_b32 v86, 7, v18 bitop3:0x40
	s_mov_b32 s29, exec_lo
	v_cmpx_gt_u32_e32 8, v19
; %bb.7487:                             ;   in Loop: Header=BB6_6467 Depth=2
	s_delay_alu instid0(VALU_DEP_2) | instskip(NEXT) | instid1(VALU_DEP_1)
	v_clz_i32_u32_e32 v16, v86
	v_min_u32_e32 v16, 32, v16
	s_delay_alu instid0(VALU_DEP_1) | instskip(NEXT) | instid1(VALU_DEP_1)
	v_subrev_nc_u32_e32 v18, 28, v16
	v_lshlrev_b64_e32 v[18:19], v18, v[86:87]
	s_delay_alu instid0(VALU_DEP_1)
	v_dual_sub_nc_u32 v16, 29, v16 :: v_dual_bitop2_b32 v86, 7, v18 bitop3:0x40
; %bb.7488:                             ;   in Loop: Header=BB6_6467 Depth=2
	s_or_b32 exec_lo, exec_lo, s29
	s_delay_alu instid0(VALU_DEP_1) | instskip(NEXT) | instid1(VALU_DEP_2)
	v_dual_lshlrev_b32 v18, 24, v36 :: v_dual_lshlrev_b32 v19, 20, v86
	v_lshl_add_u32 v16, v16, 23, 0x3c000000
	s_delay_alu instid0(VALU_DEP_2) | instskip(NEXT) | instid1(VALU_DEP_1)
	v_and_b32_e32 v18, 0x80000000, v18
	v_or3_b32 v16, v19, v18, v16
.LBB6_7489:                             ;   in Loop: Header=BB6_6467 Depth=2
	s_or_b32 exec_lo, exec_lo, s28
.LBB6_7490:                             ;   in Loop: Header=BB6_6467 Depth=2
	s_delay_alu instid0(SALU_CYCLE_1)
	s_or_b32 exec_lo, exec_lo, s27
.LBB6_7491:                             ;   in Loop: Header=BB6_6467 Depth=2
	s_delay_alu instid0(SALU_CYCLE_1) | instskip(NEXT) | instid1(VALU_DEP_1)
	s_or_b32 exec_lo, exec_lo, s7
	v_mul_f32_e32 v16, v17, v16
                                        ; implicit-def: $vgpr36
	s_mov_b32 s7, exec_lo
	s_delay_alu instid0(VALU_DEP_1) | instskip(SKIP_1) | instid1(VALU_DEP_2)
	v_and_b32_e32 v86, 0x7f800000, v16
	v_lshrrev_b32_e32 v17, 24, v16
	v_cmpx_ne_u64_e32 0x7f800000, v[86:87]
	s_xor_b32 s27, exec_lo, s7
	s_cbranch_execz .LBB6_7509
; %bb.7492:                             ;   in Loop: Header=BB6_6467 Depth=2
	v_and_b32_e32 v86, 0x7fffffff, v16
	v_and_b32_e32 v31, 0x80, v17
                                        ; implicit-def: $vgpr36
	s_mov_b32 s7, exec_lo
	s_delay_alu instid0(VALU_DEP_2)
	v_cmpx_gt_u64_e32 0x43e00001, v[86:87]
	s_xor_b32 s28, exec_lo, s7
	s_cbranch_execz .LBB6_7506
; %bb.7493:                             ;   in Loop: Header=BB6_6467 Depth=2
	v_mov_b32_e32 v36, 0
	s_mov_b32 s29, exec_lo
	v_cmpx_ne_u32_e32 0, v16
	s_cbranch_execz .LBB6_7505
; %bb.7494:                             ;   in Loop: Header=BB6_6467 Depth=2
	v_bfe_u32 v36, v16, 23, 8
	v_and_b32_e32 v18, 0x7fffff, v16
	s_delay_alu instid0(VALU_DEP_2) | instskip(NEXT) | instid1(VALU_DEP_2)
	v_cmp_gt_u32_e32 vcc_lo, 0x7a, v36
	v_or_b32_e32 v19, 0x800000, v18
	v_sub_nc_u32_e32 v17, 0x79, v36
	s_delay_alu instid0(VALU_DEP_1) | instskip(SKIP_1) | instid1(VALU_DEP_2)
	v_cndmask_b32_e32 v17, 0, v17, vcc_lo
	v_cmp_eq_u32_e32 vcc_lo, 0, v36
	v_cndmask_b32_e64 v37, v17, 0x78, vcc_lo
	s_delay_alu instid0(VALU_DEP_1) | instskip(SKIP_1) | instid1(VALU_DEP_2)
	v_dual_cndmask_b32 v86, v19, v18, vcc_lo :: v_dual_add_nc_u32 v16, 20, v37
	v_add_nc_u32_e32 v48, 19, v37
	v_lshlrev_b64_e64 v[16:17], v16, -1
	s_delay_alu instid0(VALU_DEP_2) | instskip(NEXT) | instid1(VALU_DEP_2)
	v_lshlrev_b64_e64 v[18:19], v48, 1
	v_bfi_b32 v55, v17, 0, 0
	s_delay_alu instid0(VALU_DEP_3) | instskip(SKIP_1) | instid1(VALU_DEP_2)
	v_bfi_b32 v54, v16, 0, v86
	v_lshrrev_b64 v[16:17], v37, v[86:87]
	v_cmp_eq_u64_e64 s7, v[54:55], v[18:19]
	s_delay_alu instid0(VALU_DEP_2)
	v_mov_b64_e32 v[18:19], v[16:17]
	s_and_saveexec_b32 s40, s7
; %bb.7495:                             ;   in Loop: Header=BB6_6467 Depth=2
	v_bfe_u32 v86, v16, 20, 1
	s_delay_alu instid0(VALU_DEP_1) | instskip(NEXT) | instid1(VALU_DEP_1)
	v_add_nc_u64_e32 v[18:19], v[16:17], v[86:87]
	v_add_nc_u64_e32 v[18:19], -1, v[18:19]
; %bb.7496:                             ;   in Loop: Header=BB6_6467 Depth=2
	s_or_b32 exec_lo, exec_lo, s40
	v_add_nc_u32_e32 v17, 0xffffff81, v36
	v_lshrrev_b32_e32 v19, 23, v16
	s_mov_b32 s7, exec_lo
	s_delay_alu instid0(VALU_DEP_2) | instskip(NEXT) | instid1(VALU_DEP_1)
	v_cndmask_b32_e64 v17, v17, 0xffffff82, vcc_lo
	v_add3_u32 v19, v37, v17, v19
	v_and_b32_e32 v17, 0xfffff, v18
                                        ; implicit-def: $vgpr18
	s_delay_alu instid0(VALU_DEP_1) | instskip(NEXT) | instid1(VALU_DEP_1)
	v_dual_add_nc_u32 v36, 6, v19 :: v_dual_add_nc_u32 v86, v17, v16
                                        ; implicit-def: $vgpr16_vgpr17
	v_cmpx_ne_u32_e32 0, v36
	s_xor_b32 s7, exec_lo, s7
; %bb.7497:                             ;   in Loop: Header=BB6_6467 Depth=2
	s_delay_alu instid0(VALU_DEP_2) | instskip(SKIP_1) | instid1(VALU_DEP_1)
	v_cmp_lt_u64_e32 vcc_lo, 0xffffff, v[86:87]
	v_add_nc_u32_e32 v16, 7, v19
	v_cndmask_b32_e32 v18, v36, v16, vcc_lo
	v_cndmask_b32_e64 v16, 0, 1, vcc_lo
	s_delay_alu instid0(VALU_DEP_1)
	v_lshrrev_b64 v[16:17], v16, v[86:87]
; %bb.7498:                             ;   in Loop: Header=BB6_6467 Depth=2
	s_and_not1_saveexec_b32 s7, s7
; %bb.7499:                             ;   in Loop: Header=BB6_6467 Depth=2
	v_mov_b64_e32 v[16:17], v[86:87]
	v_bfe_u32 v18, v86, 23, 1
; %bb.7500:                             ;   in Loop: Header=BB6_6467 Depth=2
	s_or_b32 exec_lo, exec_lo, s7
	s_delay_alu instid0(VALU_DEP_2) | instskip(NEXT) | instid1(VALU_DEP_2)
	v_lshrrev_b64 v[16:17], 20, v[16:17]
	v_cmp_gt_i32_e32 vcc_lo, 16, v18
	v_cmp_ne_u32_e64 s7, 0, v18
                                        ; implicit-def: $vgpr36
	s_delay_alu instid0(VALU_DEP_3) | instskip(NEXT) | instid1(VALU_DEP_1)
	v_dual_cndmask_b32 v17, 0, v17 :: v_dual_cndmask_b32 v16, 7, v16
	v_cmp_ne_u64_e32 vcc_lo, 0, v[16:17]
	s_or_b32 s7, s7, vcc_lo
	s_delay_alu instid0(SALU_CYCLE_1) | instskip(NEXT) | instid1(SALU_CYCLE_1)
	s_and_saveexec_b32 s40, s7
	s_xor_b32 s7, exec_lo, s40
; %bb.7501:                             ;   in Loop: Header=BB6_6467 Depth=2
	v_min_i32_e32 v17, 15, v18
	s_delay_alu instid0(VALU_DEP_1) | instskip(NEXT) | instid1(VALU_DEP_1)
	v_lshl_or_b32 v17, v17, 3, v31
                                        ; implicit-def: $vgpr31
	v_and_or_b32 v36, v16, 7, v17
; %bb.7502:                             ;   in Loop: Header=BB6_6467 Depth=2
	s_and_not1_saveexec_b32 s7, s7
; %bb.7503:                             ;   in Loop: Header=BB6_6467 Depth=2
	v_mov_b32_e32 v36, v31
; %bb.7504:                             ;   in Loop: Header=BB6_6467 Depth=2
	s_or_b32 exec_lo, exec_lo, s7
.LBB6_7505:                             ;   in Loop: Header=BB6_6467 Depth=2
	s_delay_alu instid0(SALU_CYCLE_1)
	s_or_b32 exec_lo, exec_lo, s29
                                        ; implicit-def: $vgpr31
.LBB6_7506:                             ;   in Loop: Header=BB6_6467 Depth=2
	s_and_not1_saveexec_b32 s7, s28
; %bb.7507:                             ;   in Loop: Header=BB6_6467 Depth=2
	v_or_b32_e32 v36, 0x7e, v31
; %bb.7508:                             ;   in Loop: Header=BB6_6467 Depth=2
	s_or_b32 exec_lo, exec_lo, s7
                                        ; implicit-def: $vgpr17
.LBB6_7509:                             ;   in Loop: Header=BB6_6467 Depth=2
	s_and_not1_saveexec_b32 s7, s27
; %bb.7510:                             ;   in Loop: Header=BB6_6467 Depth=2
	v_or_b32_e32 v36, 0x7f, v17
; %bb.7511:                             ;   in Loop: Header=BB6_6467 Depth=2
	s_or_b32 exec_lo, exec_lo, s7
	v_and_b32_e32 v18, 0xff, v34
	v_dual_mov_b32 v16, 0 :: v_dual_mov_b32 v17, 0
	s_mov_b32 s7, exec_lo
	s_delay_alu instid0(VALU_DEP_2)
	v_cmpx_ne_u16_e32 0, v18
	s_cbranch_execz .LBB6_7519
; %bb.7512:                             ;   in Loop: Header=BB6_6467 Depth=2
	v_bfrev_b32_e32 v17, 1
	s_mov_b32 s27, exec_lo
	v_cmpx_ne_u16_e32 0x80, v18
	s_cbranch_execz .LBB6_7518
; %bb.7513:                             ;   in Loop: Header=BB6_6467 Depth=2
	v_and_b32_e32 v19, 0x7f, v34
	v_mov_b32_e32 v17, 0x7f800001
	s_mov_b32 s28, exec_lo
	s_delay_alu instid0(VALU_DEP_2)
	v_cmpx_ne_u32_e32 0x7f, v19
	s_cbranch_execz .LBB6_7517
; %bb.7514:                             ;   in Loop: Header=BB6_6467 Depth=2
	v_dual_lshrrev_b32 v17, 3, v19 :: v_dual_bitop2_b32 v86, 7, v18 bitop3:0x40
	s_mov_b32 s29, exec_lo
	v_cmpx_gt_u32_e32 8, v19
; %bb.7515:                             ;   in Loop: Header=BB6_6467 Depth=2
	s_delay_alu instid0(VALU_DEP_2) | instskip(NEXT) | instid1(VALU_DEP_1)
	v_clz_i32_u32_e32 v17, v86
	v_min_u32_e32 v17, 32, v17
	s_delay_alu instid0(VALU_DEP_1) | instskip(NEXT) | instid1(VALU_DEP_1)
	v_subrev_nc_u32_e32 v18, 28, v17
	v_lshlrev_b64_e32 v[18:19], v18, v[86:87]
	s_delay_alu instid0(VALU_DEP_1)
	v_dual_sub_nc_u32 v17, 29, v17 :: v_dual_bitop2_b32 v86, 7, v18 bitop3:0x40
; %bb.7516:                             ;   in Loop: Header=BB6_6467 Depth=2
	s_or_b32 exec_lo, exec_lo, s29
	v_lshlrev_b32_e32 v18, 24, v34
	s_delay_alu instid0(VALU_DEP_2) | instskip(NEXT) | instid1(VALU_DEP_3)
	v_lshlrev_b32_e32 v19, 20, v86
	v_lshl_add_u32 v17, v17, 23, 0x3c000000
	s_delay_alu instid0(VALU_DEP_3) | instskip(NEXT) | instid1(VALU_DEP_1)
	v_and_b32_e32 v18, 0x80000000, v18
	v_or3_b32 v17, v19, v18, v17
.LBB6_7517:                             ;   in Loop: Header=BB6_6467 Depth=2
	s_or_b32 exec_lo, exec_lo, s28
.LBB6_7518:                             ;   in Loop: Header=BB6_6467 Depth=2
	s_delay_alu instid0(SALU_CYCLE_1)
	s_or_b32 exec_lo, exec_lo, s27
.LBB6_7519:                             ;   in Loop: Header=BB6_6467 Depth=2
	s_delay_alu instid0(SALU_CYCLE_1) | instskip(SKIP_3) | instid1(VALU_DEP_1)
	s_or_b32 exec_lo, exec_lo, s7
	s_wait_loadcnt_dscnt 0x202
	v_and_b32_e32 v18, 0xff, v33
	s_mov_b32 s7, exec_lo
	v_cmpx_ne_u16_e32 0, v18
	s_cbranch_execz .LBB6_7527
; %bb.7520:                             ;   in Loop: Header=BB6_6467 Depth=2
	v_bfrev_b32_e32 v16, 1
	s_mov_b32 s27, exec_lo
	v_cmpx_ne_u16_e32 0x80, v18
	s_cbranch_execz .LBB6_7526
; %bb.7521:                             ;   in Loop: Header=BB6_6467 Depth=2
	v_and_b32_e32 v19, 0x7f, v33
	v_mov_b32_e32 v16, 0x7f800001
	s_mov_b32 s28, exec_lo
	s_delay_alu instid0(VALU_DEP_2)
	v_cmpx_ne_u32_e32 0x7f, v19
	s_cbranch_execz .LBB6_7525
; %bb.7522:                             ;   in Loop: Header=BB6_6467 Depth=2
	v_dual_lshrrev_b32 v16, 3, v19 :: v_dual_bitop2_b32 v86, 7, v18 bitop3:0x40
	s_mov_b32 s29, exec_lo
	v_cmpx_gt_u32_e32 8, v19
; %bb.7523:                             ;   in Loop: Header=BB6_6467 Depth=2
	s_delay_alu instid0(VALU_DEP_2) | instskip(NEXT) | instid1(VALU_DEP_1)
	v_clz_i32_u32_e32 v16, v86
	v_min_u32_e32 v16, 32, v16
	s_delay_alu instid0(VALU_DEP_1) | instskip(NEXT) | instid1(VALU_DEP_1)
	v_subrev_nc_u32_e32 v18, 28, v16
	v_lshlrev_b64_e32 v[18:19], v18, v[86:87]
	s_delay_alu instid0(VALU_DEP_1)
	v_dual_sub_nc_u32 v16, 29, v16 :: v_dual_bitop2_b32 v86, 7, v18 bitop3:0x40
; %bb.7524:                             ;   in Loop: Header=BB6_6467 Depth=2
	s_or_b32 exec_lo, exec_lo, s29
	s_delay_alu instid0(VALU_DEP_1) | instskip(NEXT) | instid1(VALU_DEP_2)
	v_dual_lshlrev_b32 v18, 24, v33 :: v_dual_lshlrev_b32 v19, 20, v86
	v_lshl_add_u32 v16, v16, 23, 0x3c000000
	s_delay_alu instid0(VALU_DEP_2) | instskip(NEXT) | instid1(VALU_DEP_1)
	v_and_b32_e32 v18, 0x80000000, v18
	v_or3_b32 v16, v19, v18, v16
.LBB6_7525:                             ;   in Loop: Header=BB6_6467 Depth=2
	s_or_b32 exec_lo, exec_lo, s28
.LBB6_7526:                             ;   in Loop: Header=BB6_6467 Depth=2
	s_delay_alu instid0(SALU_CYCLE_1)
	s_or_b32 exec_lo, exec_lo, s27
.LBB6_7527:                             ;   in Loop: Header=BB6_6467 Depth=2
	s_delay_alu instid0(SALU_CYCLE_1) | instskip(NEXT) | instid1(VALU_DEP_1)
	s_or_b32 exec_lo, exec_lo, s7
	v_mul_f32_e32 v16, v17, v16
                                        ; implicit-def: $vgpr31
	s_mov_b32 s7, exec_lo
	s_delay_alu instid0(VALU_DEP_1) | instskip(SKIP_1) | instid1(VALU_DEP_2)
	v_and_b32_e32 v86, 0x7f800000, v16
	v_lshrrev_b32_e32 v17, 24, v16
	v_cmpx_ne_u64_e32 0x7f800000, v[86:87]
	s_xor_b32 s27, exec_lo, s7
	s_cbranch_execz .LBB6_7545
; %bb.7528:                             ;   in Loop: Header=BB6_6467 Depth=2
	v_and_b32_e32 v86, 0x7fffffff, v16
	v_and_b32_e32 v33, 0x80, v17
                                        ; implicit-def: $vgpr31
	s_mov_b32 s7, exec_lo
	s_delay_alu instid0(VALU_DEP_2)
	v_cmpx_gt_u64_e32 0x43e00001, v[86:87]
	s_xor_b32 s28, exec_lo, s7
	s_cbranch_execz .LBB6_7542
; %bb.7529:                             ;   in Loop: Header=BB6_6467 Depth=2
	v_mov_b32_e32 v31, 0
	s_mov_b32 s29, exec_lo
	v_cmpx_ne_u32_e32 0, v16
	s_cbranch_execz .LBB6_7541
; %bb.7530:                             ;   in Loop: Header=BB6_6467 Depth=2
	v_bfe_u32 v31, v16, 23, 8
	v_and_b32_e32 v18, 0x7fffff, v16
	s_delay_alu instid0(VALU_DEP_2) | instskip(NEXT) | instid1(VALU_DEP_2)
	v_cmp_gt_u32_e32 vcc_lo, 0x7a, v31
	v_or_b32_e32 v19, 0x800000, v18
	v_sub_nc_u32_e32 v17, 0x79, v31
	s_delay_alu instid0(VALU_DEP_1) | instskip(SKIP_1) | instid1(VALU_DEP_2)
	v_cndmask_b32_e32 v17, 0, v17, vcc_lo
	v_cmp_eq_u32_e32 vcc_lo, 0, v31
	v_cndmask_b32_e64 v34, v17, 0x78, vcc_lo
	v_cndmask_b32_e32 v86, v19, v18, vcc_lo
	s_delay_alu instid0(VALU_DEP_2) | instskip(NEXT) | instid1(VALU_DEP_1)
	v_dual_add_nc_u32 v16, 20, v34 :: v_dual_add_nc_u32 v37, 19, v34
	v_lshlrev_b64_e64 v[16:17], v16, -1
	s_delay_alu instid0(VALU_DEP_2) | instskip(NEXT) | instid1(VALU_DEP_2)
	v_lshlrev_b64_e64 v[18:19], v37, 1
	v_bfi_b32 v55, v17, 0, 0
	s_delay_alu instid0(VALU_DEP_3) | instskip(SKIP_1) | instid1(VALU_DEP_2)
	v_bfi_b32 v54, v16, 0, v86
	v_lshrrev_b64 v[16:17], v34, v[86:87]
	v_cmp_eq_u64_e64 s7, v[54:55], v[18:19]
	s_delay_alu instid0(VALU_DEP_2)
	v_mov_b64_e32 v[18:19], v[16:17]
	s_and_saveexec_b32 s40, s7
; %bb.7531:                             ;   in Loop: Header=BB6_6467 Depth=2
	v_bfe_u32 v86, v16, 20, 1
	s_delay_alu instid0(VALU_DEP_1) | instskip(NEXT) | instid1(VALU_DEP_1)
	v_add_nc_u64_e32 v[18:19], v[16:17], v[86:87]
	v_add_nc_u64_e32 v[18:19], -1, v[18:19]
; %bb.7532:                             ;   in Loop: Header=BB6_6467 Depth=2
	s_or_b32 exec_lo, exec_lo, s40
	v_add_nc_u32_e32 v17, 0xffffff81, v31
	v_lshrrev_b32_e32 v19, 23, v16
	s_mov_b32 s7, exec_lo
	s_delay_alu instid0(VALU_DEP_2) | instskip(NEXT) | instid1(VALU_DEP_1)
	v_cndmask_b32_e64 v17, v17, 0xffffff82, vcc_lo
	v_add3_u32 v19, v34, v17, v19
	v_and_b32_e32 v17, 0xfffff, v18
                                        ; implicit-def: $vgpr18
	s_delay_alu instid0(VALU_DEP_1) | instskip(NEXT) | instid1(VALU_DEP_1)
	v_dual_add_nc_u32 v31, 6, v19 :: v_dual_add_nc_u32 v86, v17, v16
                                        ; implicit-def: $vgpr16_vgpr17
	v_cmpx_ne_u32_e32 0, v31
	s_xor_b32 s7, exec_lo, s7
; %bb.7533:                             ;   in Loop: Header=BB6_6467 Depth=2
	s_delay_alu instid0(VALU_DEP_2) | instskip(SKIP_1) | instid1(VALU_DEP_1)
	v_cmp_lt_u64_e32 vcc_lo, 0xffffff, v[86:87]
	v_add_nc_u32_e32 v16, 7, v19
	v_cndmask_b32_e32 v18, v31, v16, vcc_lo
	v_cndmask_b32_e64 v16, 0, 1, vcc_lo
	s_delay_alu instid0(VALU_DEP_1)
	v_lshrrev_b64 v[16:17], v16, v[86:87]
; %bb.7534:                             ;   in Loop: Header=BB6_6467 Depth=2
	s_and_not1_saveexec_b32 s7, s7
; %bb.7535:                             ;   in Loop: Header=BB6_6467 Depth=2
	v_mov_b64_e32 v[16:17], v[86:87]
	v_bfe_u32 v18, v86, 23, 1
; %bb.7536:                             ;   in Loop: Header=BB6_6467 Depth=2
	s_or_b32 exec_lo, exec_lo, s7
	s_delay_alu instid0(VALU_DEP_2) | instskip(NEXT) | instid1(VALU_DEP_2)
	v_lshrrev_b64 v[16:17], 20, v[16:17]
	v_cmp_gt_i32_e32 vcc_lo, 16, v18
	v_cmp_ne_u32_e64 s7, 0, v18
                                        ; implicit-def: $vgpr31
	s_delay_alu instid0(VALU_DEP_3) | instskip(NEXT) | instid1(VALU_DEP_1)
	v_dual_cndmask_b32 v17, 0, v17 :: v_dual_cndmask_b32 v16, 7, v16
	v_cmp_ne_u64_e32 vcc_lo, 0, v[16:17]
	s_or_b32 s7, s7, vcc_lo
	s_delay_alu instid0(SALU_CYCLE_1) | instskip(NEXT) | instid1(SALU_CYCLE_1)
	s_and_saveexec_b32 s40, s7
	s_xor_b32 s7, exec_lo, s40
; %bb.7537:                             ;   in Loop: Header=BB6_6467 Depth=2
	v_min_i32_e32 v17, 15, v18
	s_delay_alu instid0(VALU_DEP_1) | instskip(NEXT) | instid1(VALU_DEP_1)
	v_lshl_or_b32 v17, v17, 3, v33
                                        ; implicit-def: $vgpr33
	v_and_or_b32 v31, v16, 7, v17
; %bb.7538:                             ;   in Loop: Header=BB6_6467 Depth=2
	s_and_not1_saveexec_b32 s7, s7
; %bb.7539:                             ;   in Loop: Header=BB6_6467 Depth=2
	v_mov_b32_e32 v31, v33
; %bb.7540:                             ;   in Loop: Header=BB6_6467 Depth=2
	s_or_b32 exec_lo, exec_lo, s7
.LBB6_7541:                             ;   in Loop: Header=BB6_6467 Depth=2
	s_delay_alu instid0(SALU_CYCLE_1)
	s_or_b32 exec_lo, exec_lo, s29
                                        ; implicit-def: $vgpr33
.LBB6_7542:                             ;   in Loop: Header=BB6_6467 Depth=2
	s_and_not1_saveexec_b32 s7, s28
; %bb.7543:                             ;   in Loop: Header=BB6_6467 Depth=2
	v_or_b32_e32 v31, 0x7e, v33
; %bb.7544:                             ;   in Loop: Header=BB6_6467 Depth=2
	s_or_b32 exec_lo, exec_lo, s7
                                        ; implicit-def: $vgpr17
.LBB6_7545:                             ;   in Loop: Header=BB6_6467 Depth=2
	s_and_not1_saveexec_b32 s7, s27
; %bb.7546:                             ;   in Loop: Header=BB6_6467 Depth=2
	v_or_b32_e32 v31, 0x7f, v17
; %bb.7547:                             ;   in Loop: Header=BB6_6467 Depth=2
	s_or_b32 exec_lo, exec_lo, s7
	v_and_b32_e32 v18, 0xff, v29
	v_dual_mov_b32 v16, 0 :: v_dual_mov_b32 v17, 0
	s_mov_b32 s7, exec_lo
	s_delay_alu instid0(VALU_DEP_2)
	v_cmpx_ne_u16_e32 0, v18
	s_cbranch_execz .LBB6_7555
; %bb.7548:                             ;   in Loop: Header=BB6_6467 Depth=2
	v_bfrev_b32_e32 v17, 1
	s_mov_b32 s27, exec_lo
	v_cmpx_ne_u16_e32 0x80, v18
	s_cbranch_execz .LBB6_7554
; %bb.7549:                             ;   in Loop: Header=BB6_6467 Depth=2
	v_and_b32_e32 v19, 0x7f, v29
	v_mov_b32_e32 v17, 0x7f800001
	s_mov_b32 s28, exec_lo
	s_delay_alu instid0(VALU_DEP_2)
	v_cmpx_ne_u32_e32 0x7f, v19
	s_cbranch_execz .LBB6_7553
; %bb.7550:                             ;   in Loop: Header=BB6_6467 Depth=2
	v_dual_lshrrev_b32 v17, 3, v19 :: v_dual_bitop2_b32 v86, 7, v18 bitop3:0x40
	s_mov_b32 s29, exec_lo
	v_cmpx_gt_u32_e32 8, v19
; %bb.7551:                             ;   in Loop: Header=BB6_6467 Depth=2
	s_delay_alu instid0(VALU_DEP_2) | instskip(NEXT) | instid1(VALU_DEP_1)
	v_clz_i32_u32_e32 v17, v86
	v_min_u32_e32 v17, 32, v17
	s_delay_alu instid0(VALU_DEP_1) | instskip(NEXT) | instid1(VALU_DEP_1)
	v_subrev_nc_u32_e32 v18, 28, v17
	v_lshlrev_b64_e32 v[18:19], v18, v[86:87]
	s_delay_alu instid0(VALU_DEP_1)
	v_dual_sub_nc_u32 v17, 29, v17 :: v_dual_bitop2_b32 v86, 7, v18 bitop3:0x40
; %bb.7552:                             ;   in Loop: Header=BB6_6467 Depth=2
	s_or_b32 exec_lo, exec_lo, s29
	s_delay_alu instid0(VALU_DEP_1) | instskip(NEXT) | instid1(VALU_DEP_2)
	v_dual_lshlrev_b32 v18, 24, v29 :: v_dual_lshlrev_b32 v19, 20, v86
	v_lshl_add_u32 v17, v17, 23, 0x3c000000
	s_delay_alu instid0(VALU_DEP_2) | instskip(NEXT) | instid1(VALU_DEP_1)
	v_and_b32_e32 v18, 0x80000000, v18
	v_or3_b32 v17, v19, v18, v17
.LBB6_7553:                             ;   in Loop: Header=BB6_6467 Depth=2
	s_or_b32 exec_lo, exec_lo, s28
.LBB6_7554:                             ;   in Loop: Header=BB6_6467 Depth=2
	s_delay_alu instid0(SALU_CYCLE_1)
	s_or_b32 exec_lo, exec_lo, s27
.LBB6_7555:                             ;   in Loop: Header=BB6_6467 Depth=2
	s_delay_alu instid0(SALU_CYCLE_1) | instskip(SKIP_3) | instid1(VALU_DEP_1)
	s_or_b32 exec_lo, exec_lo, s7
	s_wait_loadcnt_dscnt 0x101
	v_and_b32_e32 v18, 0xff, v28
	s_mov_b32 s7, exec_lo
	v_cmpx_ne_u16_e32 0, v18
	s_cbranch_execz .LBB6_7563
; %bb.7556:                             ;   in Loop: Header=BB6_6467 Depth=2
	v_bfrev_b32_e32 v16, 1
	s_mov_b32 s27, exec_lo
	v_cmpx_ne_u16_e32 0x80, v18
	s_cbranch_execz .LBB6_7562
; %bb.7557:                             ;   in Loop: Header=BB6_6467 Depth=2
	v_and_b32_e32 v19, 0x7f, v28
	v_mov_b32_e32 v16, 0x7f800001
	s_mov_b32 s28, exec_lo
	s_delay_alu instid0(VALU_DEP_2)
	v_cmpx_ne_u32_e32 0x7f, v19
	s_cbranch_execz .LBB6_7561
; %bb.7558:                             ;   in Loop: Header=BB6_6467 Depth=2
	v_dual_lshrrev_b32 v16, 3, v19 :: v_dual_bitop2_b32 v86, 7, v18 bitop3:0x40
	s_mov_b32 s29, exec_lo
	v_cmpx_gt_u32_e32 8, v19
; %bb.7559:                             ;   in Loop: Header=BB6_6467 Depth=2
	s_delay_alu instid0(VALU_DEP_2) | instskip(NEXT) | instid1(VALU_DEP_1)
	v_clz_i32_u32_e32 v16, v86
	v_min_u32_e32 v16, 32, v16
	s_delay_alu instid0(VALU_DEP_1) | instskip(NEXT) | instid1(VALU_DEP_1)
	v_subrev_nc_u32_e32 v18, 28, v16
	v_lshlrev_b64_e32 v[18:19], v18, v[86:87]
	s_delay_alu instid0(VALU_DEP_1)
	v_dual_sub_nc_u32 v16, 29, v16 :: v_dual_bitop2_b32 v86, 7, v18 bitop3:0x40
; %bb.7560:                             ;   in Loop: Header=BB6_6467 Depth=2
	s_or_b32 exec_lo, exec_lo, s29
	s_delay_alu instid0(VALU_DEP_1) | instskip(NEXT) | instid1(VALU_DEP_2)
	v_dual_lshlrev_b32 v18, 24, v28 :: v_dual_lshlrev_b32 v19, 20, v86
	v_lshl_add_u32 v16, v16, 23, 0x3c000000
	s_delay_alu instid0(VALU_DEP_2) | instskip(NEXT) | instid1(VALU_DEP_1)
	v_and_b32_e32 v18, 0x80000000, v18
	v_or3_b32 v16, v19, v18, v16
.LBB6_7561:                             ;   in Loop: Header=BB6_6467 Depth=2
	s_or_b32 exec_lo, exec_lo, s28
.LBB6_7562:                             ;   in Loop: Header=BB6_6467 Depth=2
	s_delay_alu instid0(SALU_CYCLE_1)
	s_or_b32 exec_lo, exec_lo, s27
.LBB6_7563:                             ;   in Loop: Header=BB6_6467 Depth=2
	s_delay_alu instid0(SALU_CYCLE_1) | instskip(NEXT) | instid1(VALU_DEP_1)
	s_or_b32 exec_lo, exec_lo, s7
	v_mul_f32_e32 v16, v17, v16
                                        ; implicit-def: $vgpr28
	s_mov_b32 s7, exec_lo
	s_delay_alu instid0(VALU_DEP_1) | instskip(SKIP_1) | instid1(VALU_DEP_2)
	v_and_b32_e32 v86, 0x7f800000, v16
	v_lshrrev_b32_e32 v17, 24, v16
	v_cmpx_ne_u64_e32 0x7f800000, v[86:87]
	s_xor_b32 s27, exec_lo, s7
	s_cbranch_execz .LBB6_7581
; %bb.7564:                             ;   in Loop: Header=BB6_6467 Depth=2
	v_and_b32_e32 v86, 0x7fffffff, v16
	v_and_b32_e32 v29, 0x80, v17
                                        ; implicit-def: $vgpr28
	s_mov_b32 s7, exec_lo
	s_delay_alu instid0(VALU_DEP_2)
	v_cmpx_gt_u64_e32 0x43e00001, v[86:87]
	s_xor_b32 s28, exec_lo, s7
	s_cbranch_execz .LBB6_7578
; %bb.7565:                             ;   in Loop: Header=BB6_6467 Depth=2
	v_mov_b32_e32 v28, 0
	s_mov_b32 s29, exec_lo
	v_cmpx_ne_u32_e32 0, v16
	s_cbranch_execz .LBB6_7577
; %bb.7566:                             ;   in Loop: Header=BB6_6467 Depth=2
	v_bfe_u32 v28, v16, 23, 8
	v_and_b32_e32 v18, 0x7fffff, v16
	s_delay_alu instid0(VALU_DEP_2) | instskip(NEXT) | instid1(VALU_DEP_2)
	v_cmp_gt_u32_e32 vcc_lo, 0x7a, v28
	v_or_b32_e32 v19, 0x800000, v18
	v_sub_nc_u32_e32 v17, 0x79, v28
	s_delay_alu instid0(VALU_DEP_1) | instskip(SKIP_1) | instid1(VALU_DEP_2)
	v_cndmask_b32_e32 v17, 0, v17, vcc_lo
	v_cmp_eq_u32_e32 vcc_lo, 0, v28
	v_cndmask_b32_e64 v33, v17, 0x78, vcc_lo
	s_delay_alu instid0(VALU_DEP_1) | instskip(SKIP_1) | instid1(VALU_DEP_2)
	v_dual_cndmask_b32 v86, v19, v18, vcc_lo :: v_dual_add_nc_u32 v16, 20, v33
	v_add_nc_u32_e32 v34, 19, v33
	v_lshlrev_b64_e64 v[16:17], v16, -1
	s_delay_alu instid0(VALU_DEP_2) | instskip(NEXT) | instid1(VALU_DEP_2)
	v_lshlrev_b64_e64 v[18:19], v34, 1
	v_bfi_b32 v55, v17, 0, 0
	s_delay_alu instid0(VALU_DEP_3) | instskip(SKIP_1) | instid1(VALU_DEP_2)
	v_bfi_b32 v54, v16, 0, v86
	v_lshrrev_b64 v[16:17], v33, v[86:87]
	v_cmp_eq_u64_e64 s7, v[54:55], v[18:19]
	s_delay_alu instid0(VALU_DEP_2)
	v_mov_b64_e32 v[18:19], v[16:17]
	s_and_saveexec_b32 s40, s7
; %bb.7567:                             ;   in Loop: Header=BB6_6467 Depth=2
	v_bfe_u32 v86, v16, 20, 1
	s_delay_alu instid0(VALU_DEP_1) | instskip(NEXT) | instid1(VALU_DEP_1)
	v_add_nc_u64_e32 v[18:19], v[16:17], v[86:87]
	v_add_nc_u64_e32 v[18:19], -1, v[18:19]
; %bb.7568:                             ;   in Loop: Header=BB6_6467 Depth=2
	s_or_b32 exec_lo, exec_lo, s40
	v_add_nc_u32_e32 v17, 0xffffff81, v28
	v_lshrrev_b32_e32 v19, 23, v16
	s_mov_b32 s7, exec_lo
	s_delay_alu instid0(VALU_DEP_2) | instskip(NEXT) | instid1(VALU_DEP_1)
	v_cndmask_b32_e64 v17, v17, 0xffffff82, vcc_lo
	v_add3_u32 v19, v33, v17, v19
	v_and_b32_e32 v17, 0xfffff, v18
                                        ; implicit-def: $vgpr18
	s_delay_alu instid0(VALU_DEP_1) | instskip(NEXT) | instid1(VALU_DEP_1)
	v_dual_add_nc_u32 v28, 6, v19 :: v_dual_add_nc_u32 v86, v17, v16
                                        ; implicit-def: $vgpr16_vgpr17
	v_cmpx_ne_u32_e32 0, v28
	s_xor_b32 s7, exec_lo, s7
; %bb.7569:                             ;   in Loop: Header=BB6_6467 Depth=2
	s_delay_alu instid0(VALU_DEP_2) | instskip(SKIP_1) | instid1(VALU_DEP_1)
	v_cmp_lt_u64_e32 vcc_lo, 0xffffff, v[86:87]
	v_add_nc_u32_e32 v16, 7, v19
	v_cndmask_b32_e32 v18, v28, v16, vcc_lo
	v_cndmask_b32_e64 v16, 0, 1, vcc_lo
	s_delay_alu instid0(VALU_DEP_1)
	v_lshrrev_b64 v[16:17], v16, v[86:87]
; %bb.7570:                             ;   in Loop: Header=BB6_6467 Depth=2
	s_and_not1_saveexec_b32 s7, s7
; %bb.7571:                             ;   in Loop: Header=BB6_6467 Depth=2
	v_mov_b64_e32 v[16:17], v[86:87]
	v_bfe_u32 v18, v86, 23, 1
; %bb.7572:                             ;   in Loop: Header=BB6_6467 Depth=2
	s_or_b32 exec_lo, exec_lo, s7
	s_delay_alu instid0(VALU_DEP_2) | instskip(NEXT) | instid1(VALU_DEP_2)
	v_lshrrev_b64 v[16:17], 20, v[16:17]
	v_cmp_gt_i32_e32 vcc_lo, 16, v18
	v_cmp_ne_u32_e64 s7, 0, v18
                                        ; implicit-def: $vgpr28
	s_delay_alu instid0(VALU_DEP_3) | instskip(NEXT) | instid1(VALU_DEP_1)
	v_dual_cndmask_b32 v17, 0, v17 :: v_dual_cndmask_b32 v16, 7, v16
	v_cmp_ne_u64_e32 vcc_lo, 0, v[16:17]
	s_or_b32 s7, s7, vcc_lo
	s_delay_alu instid0(SALU_CYCLE_1) | instskip(NEXT) | instid1(SALU_CYCLE_1)
	s_and_saveexec_b32 s40, s7
	s_xor_b32 s7, exec_lo, s40
; %bb.7573:                             ;   in Loop: Header=BB6_6467 Depth=2
	v_min_i32_e32 v17, 15, v18
	s_delay_alu instid0(VALU_DEP_1) | instskip(NEXT) | instid1(VALU_DEP_1)
	v_lshl_or_b32 v17, v17, 3, v29
                                        ; implicit-def: $vgpr29
	v_and_or_b32 v28, v16, 7, v17
; %bb.7574:                             ;   in Loop: Header=BB6_6467 Depth=2
	s_and_not1_saveexec_b32 s7, s7
; %bb.7575:                             ;   in Loop: Header=BB6_6467 Depth=2
	v_mov_b32_e32 v28, v29
; %bb.7576:                             ;   in Loop: Header=BB6_6467 Depth=2
	s_or_b32 exec_lo, exec_lo, s7
.LBB6_7577:                             ;   in Loop: Header=BB6_6467 Depth=2
	s_delay_alu instid0(SALU_CYCLE_1)
	s_or_b32 exec_lo, exec_lo, s29
                                        ; implicit-def: $vgpr29
.LBB6_7578:                             ;   in Loop: Header=BB6_6467 Depth=2
	s_and_not1_saveexec_b32 s7, s28
; %bb.7579:                             ;   in Loop: Header=BB6_6467 Depth=2
	v_or_b32_e32 v28, 0x7e, v29
; %bb.7580:                             ;   in Loop: Header=BB6_6467 Depth=2
	s_or_b32 exec_lo, exec_lo, s7
                                        ; implicit-def: $vgpr17
.LBB6_7581:                             ;   in Loop: Header=BB6_6467 Depth=2
	s_and_not1_saveexec_b32 s7, s27
; %bb.7582:                             ;   in Loop: Header=BB6_6467 Depth=2
	v_or_b32_e32 v28, 0x7f, v17
; %bb.7583:                             ;   in Loop: Header=BB6_6467 Depth=2
	s_or_b32 exec_lo, exec_lo, s7
	v_and_b32_e32 v18, 0xff, v26
	v_dual_mov_b32 v16, 0 :: v_dual_mov_b32 v17, 0
	s_mov_b32 s7, exec_lo
	s_delay_alu instid0(VALU_DEP_2)
	v_cmpx_ne_u16_e32 0, v18
	s_cbranch_execz .LBB6_7591
; %bb.7584:                             ;   in Loop: Header=BB6_6467 Depth=2
	v_bfrev_b32_e32 v17, 1
	s_mov_b32 s27, exec_lo
	v_cmpx_ne_u16_e32 0x80, v18
	s_cbranch_execz .LBB6_7590
; %bb.7585:                             ;   in Loop: Header=BB6_6467 Depth=2
	v_and_b32_e32 v19, 0x7f, v26
	v_mov_b32_e32 v17, 0x7f800001
	s_mov_b32 s28, exec_lo
	s_delay_alu instid0(VALU_DEP_2)
	v_cmpx_ne_u32_e32 0x7f, v19
	s_cbranch_execz .LBB6_7589
; %bb.7586:                             ;   in Loop: Header=BB6_6467 Depth=2
	v_dual_lshrrev_b32 v17, 3, v19 :: v_dual_bitop2_b32 v86, 7, v18 bitop3:0x40
	s_mov_b32 s29, exec_lo
	v_cmpx_gt_u32_e32 8, v19
; %bb.7587:                             ;   in Loop: Header=BB6_6467 Depth=2
	s_delay_alu instid0(VALU_DEP_2) | instskip(NEXT) | instid1(VALU_DEP_1)
	v_clz_i32_u32_e32 v17, v86
	v_min_u32_e32 v17, 32, v17
	s_delay_alu instid0(VALU_DEP_1) | instskip(NEXT) | instid1(VALU_DEP_1)
	v_subrev_nc_u32_e32 v18, 28, v17
	v_lshlrev_b64_e32 v[18:19], v18, v[86:87]
	s_delay_alu instid0(VALU_DEP_1)
	v_dual_sub_nc_u32 v17, 29, v17 :: v_dual_bitop2_b32 v86, 7, v18 bitop3:0x40
; %bb.7588:                             ;   in Loop: Header=BB6_6467 Depth=2
	s_or_b32 exec_lo, exec_lo, s29
	v_lshlrev_b32_e32 v18, 24, v26
	s_delay_alu instid0(VALU_DEP_2) | instskip(NEXT) | instid1(VALU_DEP_3)
	v_lshlrev_b32_e32 v19, 20, v86
	v_lshl_add_u32 v17, v17, 23, 0x3c000000
	s_delay_alu instid0(VALU_DEP_3) | instskip(NEXT) | instid1(VALU_DEP_1)
	v_and_b32_e32 v18, 0x80000000, v18
	v_or3_b32 v17, v19, v18, v17
.LBB6_7589:                             ;   in Loop: Header=BB6_6467 Depth=2
	s_or_b32 exec_lo, exec_lo, s28
.LBB6_7590:                             ;   in Loop: Header=BB6_6467 Depth=2
	s_delay_alu instid0(SALU_CYCLE_1)
	s_or_b32 exec_lo, exec_lo, s27
.LBB6_7591:                             ;   in Loop: Header=BB6_6467 Depth=2
	s_delay_alu instid0(SALU_CYCLE_1) | instskip(SKIP_3) | instid1(VALU_DEP_1)
	s_or_b32 exec_lo, exec_lo, s7
	s_wait_loadcnt_dscnt 0x0
	v_and_b32_e32 v18, 0xff, v25
	s_mov_b32 s7, exec_lo
	v_cmpx_ne_u16_e32 0, v18
	s_cbranch_execz .LBB6_7599
; %bb.7592:                             ;   in Loop: Header=BB6_6467 Depth=2
	v_bfrev_b32_e32 v16, 1
	s_mov_b32 s27, exec_lo
	v_cmpx_ne_u16_e32 0x80, v18
	s_cbranch_execz .LBB6_7598
; %bb.7593:                             ;   in Loop: Header=BB6_6467 Depth=2
	v_and_b32_e32 v19, 0x7f, v25
	v_mov_b32_e32 v16, 0x7f800001
	s_mov_b32 s28, exec_lo
	s_delay_alu instid0(VALU_DEP_2)
	v_cmpx_ne_u32_e32 0x7f, v19
	s_cbranch_execz .LBB6_7597
; %bb.7594:                             ;   in Loop: Header=BB6_6467 Depth=2
	v_dual_lshrrev_b32 v16, 3, v19 :: v_dual_bitop2_b32 v86, 7, v18 bitop3:0x40
	s_mov_b32 s29, exec_lo
	v_cmpx_gt_u32_e32 8, v19
; %bb.7595:                             ;   in Loop: Header=BB6_6467 Depth=2
	s_delay_alu instid0(VALU_DEP_2) | instskip(NEXT) | instid1(VALU_DEP_1)
	v_clz_i32_u32_e32 v16, v86
	v_min_u32_e32 v16, 32, v16
	s_delay_alu instid0(VALU_DEP_1) | instskip(NEXT) | instid1(VALU_DEP_1)
	v_subrev_nc_u32_e32 v18, 28, v16
	v_lshlrev_b64_e32 v[18:19], v18, v[86:87]
	s_delay_alu instid0(VALU_DEP_1)
	v_dual_sub_nc_u32 v16, 29, v16 :: v_dual_bitop2_b32 v86, 7, v18 bitop3:0x40
; %bb.7596:                             ;   in Loop: Header=BB6_6467 Depth=2
	s_or_b32 exec_lo, exec_lo, s29
	s_delay_alu instid0(VALU_DEP_1) | instskip(NEXT) | instid1(VALU_DEP_2)
	v_dual_lshlrev_b32 v18, 24, v25 :: v_dual_lshlrev_b32 v19, 20, v86
	v_lshl_add_u32 v16, v16, 23, 0x3c000000
	s_delay_alu instid0(VALU_DEP_2) | instskip(NEXT) | instid1(VALU_DEP_1)
	v_and_b32_e32 v18, 0x80000000, v18
	v_or3_b32 v16, v19, v18, v16
.LBB6_7597:                             ;   in Loop: Header=BB6_6467 Depth=2
	s_or_b32 exec_lo, exec_lo, s28
.LBB6_7598:                             ;   in Loop: Header=BB6_6467 Depth=2
	s_delay_alu instid0(SALU_CYCLE_1)
	s_or_b32 exec_lo, exec_lo, s27
.LBB6_7599:                             ;   in Loop: Header=BB6_6467 Depth=2
	s_delay_alu instid0(SALU_CYCLE_1) | instskip(NEXT) | instid1(VALU_DEP_1)
	s_or_b32 exec_lo, exec_lo, s7
	v_mul_f32_e32 v16, v17, v16
                                        ; implicit-def: $vgpr17
	s_mov_b32 s7, exec_lo
	s_delay_alu instid0(VALU_DEP_1) | instskip(SKIP_1) | instid1(VALU_DEP_2)
	v_and_b32_e32 v86, 0x7f800000, v16
	v_lshrrev_b32_e32 v18, 24, v16
	v_cmpx_ne_u64_e32 0x7f800000, v[86:87]
	s_xor_b32 s27, exec_lo, s7
	s_cbranch_execz .LBB6_7617
; %bb.7600:                             ;   in Loop: Header=BB6_6467 Depth=2
	v_and_b32_e32 v86, 0x7fffffff, v16
	v_and_b32_e32 v25, 0x80, v18
                                        ; implicit-def: $vgpr17
	s_mov_b32 s7, exec_lo
	s_delay_alu instid0(VALU_DEP_2)
	v_cmpx_gt_u64_e32 0x43e00001, v[86:87]
	s_xor_b32 s28, exec_lo, s7
	s_cbranch_execz .LBB6_7614
; %bb.7601:                             ;   in Loop: Header=BB6_6467 Depth=2
	v_mov_b32_e32 v17, 0
	s_mov_b32 s29, exec_lo
	v_cmpx_ne_u32_e32 0, v16
	s_cbranch_execz .LBB6_7613
; %bb.7602:                             ;   in Loop: Header=BB6_6467 Depth=2
	v_bfe_u32 v26, v16, 23, 8
	v_and_b32_e32 v18, 0x7fffff, v16
	s_delay_alu instid0(VALU_DEP_2) | instskip(SKIP_1) | instid1(VALU_DEP_3)
	v_sub_nc_u32_e32 v17, 0x79, v26
	v_cmp_gt_u32_e32 vcc_lo, 0x7a, v26
	v_or_b32_e32 v19, 0x800000, v18
	s_delay_alu instid0(VALU_DEP_3) | instskip(SKIP_1) | instid1(VALU_DEP_3)
	v_cndmask_b32_e32 v17, 0, v17, vcc_lo
	v_cmp_eq_u32_e32 vcc_lo, 0, v26
	v_cndmask_b32_e32 v86, v19, v18, vcc_lo
	s_delay_alu instid0(VALU_DEP_3) | instskip(NEXT) | instid1(VALU_DEP_1)
	v_cndmask_b32_e64 v29, v17, 0x78, vcc_lo
	v_dual_add_nc_u32 v16, 20, v29 :: v_dual_add_nc_u32 v33, 19, v29
	s_delay_alu instid0(VALU_DEP_1) | instskip(NEXT) | instid1(VALU_DEP_2)
	v_lshlrev_b64_e64 v[16:17], v16, -1
	v_lshlrev_b64_e64 v[18:19], v33, 1
	s_delay_alu instid0(VALU_DEP_2) | instskip(NEXT) | instid1(VALU_DEP_3)
	v_bfi_b32 v55, v17, 0, 0
	v_bfi_b32 v54, v16, 0, v86
	v_lshrrev_b64 v[16:17], v29, v[86:87]
	s_delay_alu instid0(VALU_DEP_2) | instskip(NEXT) | instid1(VALU_DEP_2)
	v_cmp_eq_u64_e64 s7, v[54:55], v[18:19]
	v_mov_b64_e32 v[18:19], v[16:17]
	s_and_saveexec_b32 s40, s7
; %bb.7603:                             ;   in Loop: Header=BB6_6467 Depth=2
	v_bfe_u32 v86, v16, 20, 1
	s_delay_alu instid0(VALU_DEP_1) | instskip(NEXT) | instid1(VALU_DEP_1)
	v_add_nc_u64_e32 v[18:19], v[16:17], v[86:87]
	v_add_nc_u64_e32 v[18:19], -1, v[18:19]
; %bb.7604:                             ;   in Loop: Header=BB6_6467 Depth=2
	s_or_b32 exec_lo, exec_lo, s40
	v_add_nc_u32_e32 v17, 0xffffff81, v26
	v_lshrrev_b32_e32 v19, 23, v16
	s_mov_b32 s7, exec_lo
	s_delay_alu instid0(VALU_DEP_2) | instskip(NEXT) | instid1(VALU_DEP_1)
	v_cndmask_b32_e64 v17, v17, 0xffffff82, vcc_lo
	v_add3_u32 v19, v29, v17, v19
	v_and_b32_e32 v17, 0xfffff, v18
                                        ; implicit-def: $vgpr18
	s_delay_alu instid0(VALU_DEP_1) | instskip(NEXT) | instid1(VALU_DEP_1)
	v_dual_add_nc_u32 v26, 6, v19 :: v_dual_add_nc_u32 v86, v17, v16
                                        ; implicit-def: $vgpr16_vgpr17
	v_cmpx_ne_u32_e32 0, v26
	s_xor_b32 s7, exec_lo, s7
; %bb.7605:                             ;   in Loop: Header=BB6_6467 Depth=2
	s_delay_alu instid0(VALU_DEP_2) | instskip(SKIP_1) | instid1(VALU_DEP_1)
	v_cmp_lt_u64_e32 vcc_lo, 0xffffff, v[86:87]
	v_add_nc_u32_e32 v16, 7, v19
	v_cndmask_b32_e32 v18, v26, v16, vcc_lo
	v_cndmask_b32_e64 v16, 0, 1, vcc_lo
	s_delay_alu instid0(VALU_DEP_1)
	v_lshrrev_b64 v[16:17], v16, v[86:87]
; %bb.7606:                             ;   in Loop: Header=BB6_6467 Depth=2
	s_and_not1_saveexec_b32 s7, s7
; %bb.7607:                             ;   in Loop: Header=BB6_6467 Depth=2
	v_mov_b64_e32 v[16:17], v[86:87]
	v_bfe_u32 v18, v86, 23, 1
; %bb.7608:                             ;   in Loop: Header=BB6_6467 Depth=2
	s_or_b32 exec_lo, exec_lo, s7
	s_delay_alu instid0(VALU_DEP_2) | instskip(NEXT) | instid1(VALU_DEP_2)
	v_lshrrev_b64 v[16:17], 20, v[16:17]
	v_cmp_gt_i32_e32 vcc_lo, 16, v18
	v_cmp_ne_u32_e64 s7, 0, v18
	s_delay_alu instid0(VALU_DEP_3) | instskip(NEXT) | instid1(VALU_DEP_1)
	v_dual_cndmask_b32 v17, 0, v17 :: v_dual_cndmask_b32 v16, 7, v16
	v_cmp_ne_u64_e32 vcc_lo, 0, v[16:17]
                                        ; implicit-def: $vgpr17
	s_or_b32 s7, s7, vcc_lo
	s_delay_alu instid0(SALU_CYCLE_1) | instskip(NEXT) | instid1(SALU_CYCLE_1)
	s_and_saveexec_b32 s40, s7
	s_xor_b32 s7, exec_lo, s40
; %bb.7609:                             ;   in Loop: Header=BB6_6467 Depth=2
	v_min_i32_e32 v17, 15, v18
	s_delay_alu instid0(VALU_DEP_1) | instskip(NEXT) | instid1(VALU_DEP_1)
	v_lshl_or_b32 v17, v17, 3, v25
                                        ; implicit-def: $vgpr25
	v_and_or_b32 v17, v16, 7, v17
; %bb.7610:                             ;   in Loop: Header=BB6_6467 Depth=2
	s_and_not1_saveexec_b32 s7, s7
; %bb.7611:                             ;   in Loop: Header=BB6_6467 Depth=2
	v_mov_b32_e32 v17, v25
; %bb.7612:                             ;   in Loop: Header=BB6_6467 Depth=2
	s_or_b32 exec_lo, exec_lo, s7
.LBB6_7613:                             ;   in Loop: Header=BB6_6467 Depth=2
	s_delay_alu instid0(SALU_CYCLE_1)
	s_or_b32 exec_lo, exec_lo, s29
                                        ; implicit-def: $vgpr25
.LBB6_7614:                             ;   in Loop: Header=BB6_6467 Depth=2
	s_and_not1_saveexec_b32 s7, s28
; %bb.7615:                             ;   in Loop: Header=BB6_6467 Depth=2
	v_or_b32_e32 v17, 0x7e, v25
; %bb.7616:                             ;   in Loop: Header=BB6_6467 Depth=2
	s_or_b32 exec_lo, exec_lo, s7
                                        ; implicit-def: $vgpr18
.LBB6_7617:                             ;   in Loop: Header=BB6_6467 Depth=2
	s_and_not1_saveexec_b32 s7, s27
	s_cbranch_execz .LBB6_6466
; %bb.7618:                             ;   in Loop: Header=BB6_6467 Depth=2
	v_or_b32_e32 v17, 0x7f, v18
	s_branch .LBB6_6466
.LBB6_7619:                             ;   in Loop: Header=BB6_3899 Depth=1
	s_or_b32 exec_lo, exec_lo, s26
.LBB6_7620:                             ;   in Loop: Header=BB6_3899 Depth=1
	s_delay_alu instid0(SALU_CYCLE_1) | instskip(SKIP_1) | instid1(VALU_DEP_1)
	s_or_b32 exec_lo, exec_lo, s11
	v_and_b32_e32 v3, 0xfffffc00, v21
	v_cmp_ne_u32_e32 vcc_lo, v21, v3
	s_and_b32 exec_lo, exec_lo, vcc_lo
	s_cbranch_execz .LBB6_7660
; %bb.7621:                             ;   in Loop: Header=BB6_3899 Depth=1
	v_dual_add_nc_u32 v2, v22, v24 :: v_dual_lshlrev_b32 v10, 5, v23
	s_delay_alu instid0(VALU_DEP_1) | instskip(NEXT) | instid1(VALU_DEP_1)
	v_and_b32_e32 v2, 0xffffffe0, v2
	v_sub_nc_u32_e32 v2, v22, v2
	s_delay_alu instid0(VALU_DEP_1) | instskip(SKIP_1) | instid1(VALU_DEP_1)
	v_sub_nc_u32_e32 v10, v2, v10
	v_and_b32_e32 v2, 0x3ff, v21
	v_sub_nc_u32_e32 v2, v2, v10
	s_delay_alu instid0(VALU_DEP_1)
	v_cmp_lt_i32_e32 vcc_lo, 0, v2
	s_and_b32 exec_lo, exec_lo, vcc_lo
	s_cbranch_execz .LBB6_7660
; %bb.7622:                             ;   in Loop: Header=BB6_3899 Depth=1
	s_trap 2
	ds_load_b128 v[12:15], v0
	ds_load_b64 v[16:17], v0
	v_add3_u32 v18, v3, v20, v10
	s_mov_b32 s11, 0
	s_delay_alu instid0(VALU_DEP_1) | instskip(SKIP_1) | instid1(VALU_DEP_1)
	v_ashrrev_i32_e32 v19, 31, v18
	s_wait_dscnt 0x1
	v_add_nc_u64_e32 v[10:11], v[12:13], v[18:19]
	v_add_nc_u64_e32 v[12:13], v[14:15], v[18:19]
	s_wait_dscnt 0x0
	v_add_nc_u64_e32 v[14:15], v[16:17], v[18:19]
	s_branch .LBB6_7624
.LBB6_7623:                             ;   in Loop: Header=BB6_7624 Depth=2
	s_or_b32 exec_lo, exec_lo, s7
	v_sub_nc_u32_e32 v2, v2, v96
	flat_store_b8 v[14:15], v17 th:TH_STORE_NT
	v_add_nc_u64_e32 v[10:11], v[10:11], v[96:97]
	v_add_nc_u64_e32 v[12:13], v[12:13], v[96:97]
	s_wait_xcnt 0x0
	v_add_nc_u64_e32 v[14:15], v[14:15], v[96:97]
	v_cmp_gt_i32_e32 vcc_lo, 1, v2
	s_or_b32 s11, vcc_lo, s11
	s_delay_alu instid0(SALU_CYCLE_1)
	s_and_not1_b32 exec_lo, exec_lo, s11
	s_cbranch_execz .LBB6_7660
.LBB6_7624:                             ;   Parent Loop BB6_3899 Depth=1
                                        ; =>  This Inner Loop Header: Depth=2
	flat_load_u8 v18, v[10:11] th:TH_LOAD_NT
	flat_load_u8 v3, v[12:13] th:TH_LOAD_NT
	v_dual_mov_b32 v16, 0 :: v_dual_mov_b32 v17, 0
	s_mov_b32 s7, exec_lo
	s_wait_loadcnt_dscnt 0x101
	s_wait_xcnt 0x0
	v_cmpx_ne_u16_e32 0, v18
	s_cbranch_execz .LBB6_7632
; %bb.7625:                             ;   in Loop: Header=BB6_7624 Depth=2
	v_bfrev_b32_e32 v17, 1
	s_mov_b32 s26, exec_lo
	v_cmpx_ne_u16_e32 0x80, v18
	s_cbranch_execz .LBB6_7631
; %bb.7626:                             ;   in Loop: Header=BB6_7624 Depth=2
	v_and_b32_e32 v20, 0xffff, v18
	v_mov_b32_e32 v17, 0x7f800001
	s_mov_b32 s27, exec_lo
	s_delay_alu instid0(VALU_DEP_2) | instskip(NEXT) | instid1(VALU_DEP_1)
	v_and_b32_e32 v19, 0x7f, v20
	v_cmpx_ne_u32_e32 0x7f, v19
	s_cbranch_execz .LBB6_7630
; %bb.7627:                             ;   in Loop: Header=BB6_7624 Depth=2
	v_dual_lshrrev_b32 v17, 3, v19 :: v_dual_bitop2_b32 v86, 7, v20 bitop3:0x40
	s_mov_b32 s28, exec_lo
	v_cmpx_gt_u32_e32 8, v19
; %bb.7628:                             ;   in Loop: Header=BB6_7624 Depth=2
	s_delay_alu instid0(VALU_DEP_2) | instskip(NEXT) | instid1(VALU_DEP_1)
	v_clz_i32_u32_e32 v17, v86
	v_min_u32_e32 v17, 32, v17
	s_delay_alu instid0(VALU_DEP_1) | instskip(NEXT) | instid1(VALU_DEP_1)
	v_subrev_nc_u32_e32 v19, 28, v17
	v_lshlrev_b64_e32 v[20:21], v19, v[86:87]
	s_delay_alu instid0(VALU_DEP_1)
	v_dual_sub_nc_u32 v17, 29, v17 :: v_dual_bitop2_b32 v86, 7, v20 bitop3:0x40
; %bb.7629:                             ;   in Loop: Header=BB6_7624 Depth=2
	s_or_b32 exec_lo, exec_lo, s28
	v_lshlrev_b32_e32 v18, 24, v18
	s_delay_alu instid0(VALU_DEP_2) | instskip(NEXT) | instid1(VALU_DEP_3)
	v_lshlrev_b32_e32 v19, 20, v86
	v_lshl_add_u32 v17, v17, 23, 0x3c000000
	s_delay_alu instid0(VALU_DEP_3) | instskip(NEXT) | instid1(VALU_DEP_1)
	v_and_b32_e32 v18, 0x80000000, v18
	v_or3_b32 v17, v19, v18, v17
.LBB6_7630:                             ;   in Loop: Header=BB6_7624 Depth=2
	s_or_b32 exec_lo, exec_lo, s27
.LBB6_7631:                             ;   in Loop: Header=BB6_7624 Depth=2
	s_delay_alu instid0(SALU_CYCLE_1)
	s_or_b32 exec_lo, exec_lo, s26
.LBB6_7632:                             ;   in Loop: Header=BB6_7624 Depth=2
	s_delay_alu instid0(SALU_CYCLE_1) | instskip(SKIP_3) | instid1(VALU_DEP_1)
	s_or_b32 exec_lo, exec_lo, s7
	s_wait_loadcnt_dscnt 0x0
	v_and_b32_e32 v18, 0xff, v3
	s_mov_b32 s7, exec_lo
	v_cmpx_ne_u16_e32 0, v18
	s_cbranch_execz .LBB6_7640
; %bb.7633:                             ;   in Loop: Header=BB6_7624 Depth=2
	v_bfrev_b32_e32 v16, 1
	s_mov_b32 s26, exec_lo
	v_cmpx_ne_u16_e32 0x80, v18
	s_cbranch_execz .LBB6_7639
; %bb.7634:                             ;   in Loop: Header=BB6_7624 Depth=2
	v_and_b32_e32 v19, 0x7f, v3
	v_mov_b32_e32 v16, 0x7f800001
	s_mov_b32 s27, exec_lo
	s_delay_alu instid0(VALU_DEP_2)
	v_cmpx_ne_u32_e32 0x7f, v19
	s_cbranch_execz .LBB6_7638
; %bb.7635:                             ;   in Loop: Header=BB6_7624 Depth=2
	v_dual_lshrrev_b32 v16, 3, v19 :: v_dual_bitop2_b32 v86, 7, v18 bitop3:0x40
	s_mov_b32 s28, exec_lo
	v_cmpx_gt_u32_e32 8, v19
; %bb.7636:                             ;   in Loop: Header=BB6_7624 Depth=2
	s_delay_alu instid0(VALU_DEP_2) | instskip(NEXT) | instid1(VALU_DEP_1)
	v_clz_i32_u32_e32 v16, v86
	v_min_u32_e32 v16, 32, v16
	s_delay_alu instid0(VALU_DEP_1) | instskip(NEXT) | instid1(VALU_DEP_1)
	v_subrev_nc_u32_e32 v18, 28, v16
	v_lshlrev_b64_e32 v[18:19], v18, v[86:87]
	s_delay_alu instid0(VALU_DEP_1)
	v_dual_sub_nc_u32 v16, 29, v16 :: v_dual_bitop2_b32 v86, 7, v18 bitop3:0x40
; %bb.7637:                             ;   in Loop: Header=BB6_7624 Depth=2
	s_or_b32 exec_lo, exec_lo, s28
	s_delay_alu instid0(VALU_DEP_1) | instskip(NEXT) | instid1(VALU_DEP_2)
	v_dual_lshlrev_b32 v3, 24, v3 :: v_dual_lshlrev_b32 v18, 20, v86
	v_lshl_add_u32 v16, v16, 23, 0x3c000000
	s_delay_alu instid0(VALU_DEP_2) | instskip(NEXT) | instid1(VALU_DEP_1)
	v_and_b32_e32 v3, 0x80000000, v3
	v_or3_b32 v16, v18, v3, v16
.LBB6_7638:                             ;   in Loop: Header=BB6_7624 Depth=2
	s_or_b32 exec_lo, exec_lo, s27
.LBB6_7639:                             ;   in Loop: Header=BB6_7624 Depth=2
	s_delay_alu instid0(SALU_CYCLE_1)
	s_or_b32 exec_lo, exec_lo, s26
.LBB6_7640:                             ;   in Loop: Header=BB6_7624 Depth=2
	s_delay_alu instid0(SALU_CYCLE_1) | instskip(NEXT) | instid1(VALU_DEP_1)
	s_or_b32 exec_lo, exec_lo, s7
	v_mul_f32_e32 v16, v17, v16
                                        ; implicit-def: $vgpr17
	s_mov_b32 s7, exec_lo
	s_delay_alu instid0(VALU_DEP_1) | instskip(SKIP_1) | instid1(VALU_DEP_2)
	v_and_b32_e32 v86, 0x7f800000, v16
	v_lshrrev_b32_e32 v3, 24, v16
	v_cmpx_ne_u64_e32 0x7f800000, v[86:87]
	s_xor_b32 s26, exec_lo, s7
	s_cbranch_execz .LBB6_7658
; %bb.7641:                             ;   in Loop: Header=BB6_7624 Depth=2
	v_and_b32_e32 v86, 0x7fffffff, v16
	v_and_b32_e32 v3, 0x80, v3
                                        ; implicit-def: $vgpr17
	s_mov_b32 s7, exec_lo
	s_delay_alu instid0(VALU_DEP_2)
	v_cmpx_gt_u64_e32 0x43e00001, v[86:87]
	s_xor_b32 s27, exec_lo, s7
	s_cbranch_execz .LBB6_7655
; %bb.7642:                             ;   in Loop: Header=BB6_7624 Depth=2
	v_mov_b32_e32 v17, 0
	s_mov_b32 s28, exec_lo
	v_cmpx_ne_u32_e32 0, v16
	s_cbranch_execz .LBB6_7654
; %bb.7643:                             ;   in Loop: Header=BB6_7624 Depth=2
	v_bfe_u32 v20, v16, 23, 8
	v_and_b32_e32 v18, 0x7fffff, v16
	s_delay_alu instid0(VALU_DEP_2) | instskip(NEXT) | instid1(VALU_DEP_2)
	v_cmp_gt_u32_e32 vcc_lo, 0x7a, v20
	v_or_b32_e32 v19, 0x800000, v18
	v_sub_nc_u32_e32 v17, 0x79, v20
	s_delay_alu instid0(VALU_DEP_1) | instskip(SKIP_1) | instid1(VALU_DEP_2)
	v_cndmask_b32_e32 v17, 0, v17, vcc_lo
	v_cmp_eq_u32_e32 vcc_lo, 0, v20
	v_cndmask_b32_e64 v21, v17, 0x78, vcc_lo
	s_delay_alu instid0(VALU_DEP_1) | instskip(SKIP_1) | instid1(VALU_DEP_2)
	v_dual_cndmask_b32 v86, v19, v18, vcc_lo :: v_dual_add_nc_u32 v16, 20, v21
	v_add_nc_u32_e32 v22, 19, v21
	v_lshlrev_b64_e64 v[16:17], v16, -1
	s_delay_alu instid0(VALU_DEP_2) | instskip(NEXT) | instid1(VALU_DEP_2)
	v_lshlrev_b64_e64 v[18:19], v22, 1
	v_bfi_b32 v23, v17, 0, 0
	s_delay_alu instid0(VALU_DEP_3) | instskip(SKIP_1) | instid1(VALU_DEP_2)
	v_bfi_b32 v22, v16, 0, v86
	v_lshrrev_b64 v[16:17], v21, v[86:87]
	v_cmp_eq_u64_e64 s7, v[22:23], v[18:19]
	s_delay_alu instid0(VALU_DEP_2)
	v_mov_b64_e32 v[18:19], v[16:17]
	s_and_saveexec_b32 s29, s7
; %bb.7644:                             ;   in Loop: Header=BB6_7624 Depth=2
	v_bfe_u32 v86, v16, 20, 1
	s_delay_alu instid0(VALU_DEP_1) | instskip(NEXT) | instid1(VALU_DEP_1)
	v_add_nc_u64_e32 v[18:19], v[16:17], v[86:87]
	v_add_nc_u64_e32 v[18:19], -1, v[18:19]
; %bb.7645:                             ;   in Loop: Header=BB6_7624 Depth=2
	s_or_b32 exec_lo, exec_lo, s29
	v_add_nc_u32_e32 v17, 0xffffff81, v20
	v_lshrrev_b32_e32 v19, 23, v16
	s_mov_b32 s7, exec_lo
	s_delay_alu instid0(VALU_DEP_2) | instskip(NEXT) | instid1(VALU_DEP_1)
	v_cndmask_b32_e64 v17, v17, 0xffffff82, vcc_lo
	v_add3_u32 v19, v21, v17, v19
	v_and_b32_e32 v17, 0xfffff, v18
                                        ; implicit-def: $vgpr18
	s_delay_alu instid0(VALU_DEP_1) | instskip(NEXT) | instid1(VALU_DEP_1)
	v_dual_add_nc_u32 v20, 6, v19 :: v_dual_add_nc_u32 v86, v17, v16
                                        ; implicit-def: $vgpr16_vgpr17
	v_cmpx_ne_u32_e32 0, v20
	s_xor_b32 s7, exec_lo, s7
; %bb.7646:                             ;   in Loop: Header=BB6_7624 Depth=2
	s_delay_alu instid0(VALU_DEP_2) | instskip(SKIP_1) | instid1(VALU_DEP_1)
	v_cmp_lt_u64_e32 vcc_lo, 0xffffff, v[86:87]
	v_add_nc_u32_e32 v16, 7, v19
	v_cndmask_b32_e32 v18, v20, v16, vcc_lo
	v_cndmask_b32_e64 v16, 0, 1, vcc_lo
	s_delay_alu instid0(VALU_DEP_1)
	v_lshrrev_b64 v[16:17], v16, v[86:87]
; %bb.7647:                             ;   in Loop: Header=BB6_7624 Depth=2
	s_and_not1_saveexec_b32 s7, s7
; %bb.7648:                             ;   in Loop: Header=BB6_7624 Depth=2
	v_mov_b64_e32 v[16:17], v[86:87]
	v_bfe_u32 v18, v86, 23, 1
; %bb.7649:                             ;   in Loop: Header=BB6_7624 Depth=2
	s_or_b32 exec_lo, exec_lo, s7
	s_delay_alu instid0(VALU_DEP_2) | instskip(NEXT) | instid1(VALU_DEP_2)
	v_lshrrev_b64 v[16:17], 20, v[16:17]
	v_cmp_gt_i32_e32 vcc_lo, 16, v18
	v_cmp_ne_u32_e64 s7, 0, v18
	s_delay_alu instid0(VALU_DEP_3) | instskip(NEXT) | instid1(VALU_DEP_1)
	v_dual_cndmask_b32 v17, 0, v17 :: v_dual_cndmask_b32 v16, 7, v16
	v_cmp_ne_u64_e32 vcc_lo, 0, v[16:17]
                                        ; implicit-def: $vgpr17
	s_or_b32 s7, s7, vcc_lo
	s_delay_alu instid0(SALU_CYCLE_1) | instskip(NEXT) | instid1(SALU_CYCLE_1)
	s_and_saveexec_b32 s29, s7
	s_xor_b32 s7, exec_lo, s29
; %bb.7650:                             ;   in Loop: Header=BB6_7624 Depth=2
	v_min_i32_e32 v17, 15, v18
	s_delay_alu instid0(VALU_DEP_1) | instskip(NEXT) | instid1(VALU_DEP_1)
	v_lshl_or_b32 v3, v17, 3, v3
	v_and_or_b32 v17, v16, 7, v3
                                        ; implicit-def: $vgpr3
; %bb.7651:                             ;   in Loop: Header=BB6_7624 Depth=2
	s_and_not1_saveexec_b32 s7, s7
; %bb.7652:                             ;   in Loop: Header=BB6_7624 Depth=2
	v_mov_b32_e32 v17, v3
; %bb.7653:                             ;   in Loop: Header=BB6_7624 Depth=2
	s_or_b32 exec_lo, exec_lo, s7
.LBB6_7654:                             ;   in Loop: Header=BB6_7624 Depth=2
	s_delay_alu instid0(SALU_CYCLE_1)
	s_or_b32 exec_lo, exec_lo, s28
                                        ; implicit-def: $vgpr3
.LBB6_7655:                             ;   in Loop: Header=BB6_7624 Depth=2
	s_and_not1_saveexec_b32 s7, s27
; %bb.7656:                             ;   in Loop: Header=BB6_7624 Depth=2
	v_or_b32_e32 v17, 0x7e, v3
; %bb.7657:                             ;   in Loop: Header=BB6_7624 Depth=2
	s_or_b32 exec_lo, exec_lo, s7
                                        ; implicit-def: $vgpr3
.LBB6_7658:                             ;   in Loop: Header=BB6_7624 Depth=2
	s_and_not1_saveexec_b32 s7, s26
	s_cbranch_execz .LBB6_7623
; %bb.7659:                             ;   in Loop: Header=BB6_7624 Depth=2
	v_or_b32_e32 v17, 0x7f, v3
	s_branch .LBB6_7623
.LBB6_7660:                             ;   in Loop: Header=BB6_3899 Depth=1
	s_or_b32 exec_lo, exec_lo, s10
	v_cmp_ne_u32_e64 s7, 0, v73
	s_and_saveexec_b32 s10, s2
	s_cbranch_execz .LBB6_7679
.LBB6_7661:                             ;   in Loop: Header=BB6_3899 Depth=1
	s_and_saveexec_b32 s11, s3
	s_delay_alu instid0(SALU_CYCLE_1)
	s_xor_b32 s11, exec_lo, s11
	s_cbranch_execz .LBB6_7676
; %bb.7662:                             ;   in Loop: Header=BB6_3899 Depth=1
	s_and_saveexec_b32 s26, s4
	s_cbranch_execz .LBB6_7675
; %bb.7663:                             ;   in Loop: Header=BB6_3899 Depth=1
	s_mov_b32 s28, exec_lo
	s_mov_b32 s27, exec_lo
	v_mbcnt_lo_u32_b32 v2, s28, 0
	global_wb scope:SCOPE_DEV
	s_wait_storecnt 0x0
	s_wait_loadcnt_dscnt 0x0
	global_inv scope:SCOPE_DEV
	v_cmpx_eq_u32_e32 0, v2
	s_cbranch_execz .LBB6_7665
; %bb.7664:                             ;   in Loop: Header=BB6_3899 Depth=1
	s_bcnt1_i32_b32 s28, s28
	s_delay_alu instid0(SALU_CYCLE_1)
	v_mov_b32_e32 v86, s28
	s_wait_loadcnt 0x0
	ds_add_u64 v0, v[86:87]
	s_trap 2
.LBB6_7665:                             ;   in Loop: Header=BB6_3899 Depth=1
	s_or_b32 exec_lo, exec_lo, s27
	s_trap 2
	ds_load_b64 v[2:3], v0
	s_wait_dscnt 0x0
	v_add_nc_u64_e32 v[80:81], v[80:81], v[84:85]
	s_mov_b32 s27, exec_lo
	s_delay_alu instid0(VALU_DEP_1)
	v_cmpx_lt_u64_e64 v[2:3], v[80:81]
	s_cbranch_execz .LBB6_7674
; %bb.7666:                             ;   in Loop: Header=BB6_3899 Depth=1
	s_mov_b32 s28, 0
	s_mov_b32 s41, 0
                                        ; implicit-def: $sgpr29
                                        ; implicit-def: $sgpr40
	s_branch .LBB6_7668
.LBB6_7667:                             ;   in Loop: Header=BB6_7668 Depth=2
	s_or_b32 exec_lo, exec_lo, s43
	s_delay_alu instid0(SALU_CYCLE_1) | instskip(NEXT) | instid1(SALU_CYCLE_1)
	s_and_b32 s42, exec_lo, s44
	s_or_b32 s28, s42, s28
	s_and_not1_b32 s29, s29, exec_lo
	s_and_b32 s42, s40, exec_lo
	s_delay_alu instid0(SALU_CYCLE_1)
	s_or_b32 s29, s29, s42
	s_and_not1_b32 exec_lo, exec_lo, s28
	s_cbranch_execz .LBB6_7672
.LBB6_7668:                             ;   Parent Loop BB6_3899 Depth=1
                                        ; =>  This Inner Loop Header: Depth=2
	s_add_co_i32 s41, s41, 1
	s_delay_alu instid0(SALU_CYCLE_1) | instskip(SKIP_1) | instid1(SALU_CYCLE_1)
	s_cmp_lg_u32 s41, 0x2710
	s_cselect_b32 s42, -1, 0
	s_and_b32 vcc_lo, exec_lo, s42
	s_cbranch_vccz .LBB6_7670
; %bb.7669:                             ;   in Loop: Header=BB6_7668 Depth=2
	s_mov_b32 s44, -1
	s_or_b32 s40, s40, exec_lo
	s_and_saveexec_b32 s43, s42
	s_cbranch_execz .LBB6_7667
	s_branch .LBB6_7671
.LBB6_7670:                             ;   in Loop: Header=BB6_7668 Depth=2
	s_trap 2
	ds_load_b64 v[2:3], v0
	s_and_not1_b32 s42, s42, exec_lo
	s_mov_b32 s41, 0
	s_wait_loadcnt_dscnt 0x0
	flat_load_b32 v2, v[2:3] scope:SCOPE_SYS
	s_wait_loadcnt_dscnt 0x0
	global_inv scope:SCOPE_SYS
	v_cmp_eq_u32_e32 vcc_lo, 0, v2
	s_and_b32 s43, vcc_lo, exec_lo
	s_delay_alu instid0(SALU_CYCLE_1)
	s_or_b32 s42, s42, s43
	s_mov_b32 s44, -1
	s_or_b32 s40, s40, exec_lo
	s_and_saveexec_b32 s43, s42
	s_cbranch_execz .LBB6_7667
.LBB6_7671:                             ;   in Loop: Header=BB6_7668 Depth=2
	s_sleep 1
	s_trap 2
	ds_load_b64 v[2:3], v0
	s_wait_dscnt 0x0
	s_and_not1_b32 s40, s40, exec_lo
	v_cmp_ge_u64_e32 vcc_lo, v[2:3], v[80:81]
	s_or_not1_b32 s44, vcc_lo, exec_lo
	s_branch .LBB6_7667
.LBB6_7672:                             ;   in Loop: Header=BB6_3899 Depth=1
	s_or_b32 exec_lo, exec_lo, s28
	s_and_saveexec_b32 s28, s29
	s_delay_alu instid0(SALU_CYCLE_1)
	s_xor_b32 s28, exec_lo, s28
	s_cbranch_execz .LBB6_7674
; %bb.7673:                             ;   in Loop: Header=BB6_3899 Depth=1
	v_mov_b32_e32 v2, 1
	ds_store_b32 v0, v2
	s_trap 2
.LBB6_7674:                             ;   in Loop: Header=BB6_3899 Depth=1
	s_or_b32 exec_lo, exec_lo, s27
	;;#ASMSTART
	s_wakeup
	;;#ASMEND
.LBB6_7675:                             ;   in Loop: Header=BB6_3899 Depth=1
	s_or_b32 exec_lo, exec_lo, s26
.LBB6_7676:                             ;   in Loop: Header=BB6_3899 Depth=1
	s_and_not1_saveexec_b32 s11, s11
	s_cbranch_execz .LBB6_7678
; %bb.7677:                             ;   in Loop: Header=BB6_3899 Depth=1
	global_wb scope:SCOPE_DEV
	s_wait_storecnt 0x0
	s_wait_loadcnt_dscnt 0x0
	global_inv scope:SCOPE_DEV
	s_barrier_signal -1
	s_barrier_wait -1
.LBB6_7678:                             ;   in Loop: Header=BB6_3899 Depth=1
	s_or_b32 exec_lo, exec_lo, s11
.LBB6_7679:                             ;   in Loop: Header=BB6_3899 Depth=1
	s_delay_alu instid0(SALU_CYCLE_1) | instskip(SKIP_1) | instid1(VALU_DEP_1)
	s_or_b32 exec_lo, exec_lo, s10
	v_and_b32_e32 v2, 16, v30
	v_cmp_ne_u32_e32 vcc_lo, 0, v2
	s_and_b32 s10, vcc_lo, s7
	s_delay_alu instid0(SALU_CYCLE_1)
	s_and_saveexec_b32 s7, s10
	s_cbranch_execz .LBB6_7681
; %bb.7680:                             ;   in Loop: Header=BB6_3899 Depth=1
	global_wb scope:SCOPE_SYS
	s_wait_storecnt 0x0
	s_wait_loadcnt_dscnt 0x0
	global_inv scope:SCOPE_SYS
.LBB6_7681:                             ;   in Loop: Header=BB6_3899 Depth=1
	s_or_b32 exec_lo, exec_lo, s7
	v_and_b32_e32 v2, 32, v30
	s_mov_b32 s7, exec_lo
	s_delay_alu instid0(VALU_DEP_1)
	v_cmpx_ne_u32_e32 0, v2
	s_cbranch_execz .LBB6_7683
; %bb.7682:                             ;   in Loop: Header=BB6_3899 Depth=1
	v_add_nc_u64_e32 v[8:9], 1, v[8:9]
	global_wb scope:SCOPE_SYS
	s_wait_storecnt 0x0
	s_wait_loadcnt_dscnt 0x0
	flat_store_b64 v[64:65], v[8:9] scope:SCOPE_SYS
.LBB6_7683:                             ;   in Loop: Header=BB6_3899 Depth=1
	s_wait_xcnt 0x0
	s_or_b32 exec_lo, exec_lo, s7
	v_mov_b32_e32 v2, v117
.LBB6_7684:                             ;   in Loop: Header=BB6_3899 Depth=1
	s_or_b32 exec_lo, exec_lo, s25
	s_and_saveexec_b32 s10, s24
	s_cbranch_execz .LBB6_3898
; %bb.7685:                             ;   in Loop: Header=BB6_3899 Depth=1
	v_and_b32_e32 v3, 4, v30
	s_mov_b32 s11, exec_lo
	s_delay_alu instid0(VALU_DEP_1)
	v_cmpx_ne_u32_e32 0, v3
	s_cbranch_execz .LBB6_7707
; %bb.7686:                             ;   in Loop: Header=BB6_3899 Depth=1
	v_add_nc_u64_e32 v[10:11], 1, v[8:9]
	s_mov_b32 s24, exec_lo
	s_wait_loadcnt 0x0
	s_delay_alu instid0(VALU_DEP_1)
	v_cmpx_lt_u64_e64 v[70:71], v[10:11]
	s_cbranch_execz .LBB6_7698
; %bb.7687:                             ;   in Loop: Header=BB6_3899 Depth=1
	v_and_b32_e32 v3, 64, v30
	s_mov_b32 s25, 0
	s_mov_b32 s29, 0
                                        ; implicit-def: $sgpr26
                                        ; implicit-def: $sgpr27
                                        ; implicit-def: $sgpr28
	s_delay_alu instid0(VALU_DEP_1)
	v_cmp_eq_u32_e32 vcc_lo, 0, v3
	s_branch .LBB6_7691
.LBB6_7688:                             ;   in Loop: Header=BB6_7691 Depth=2
	s_wait_loadcnt_dscnt 0x0
	v_cmp_ge_u64_e64 s7, v[70:71], v[10:11]
	s_or_b32 s42, s42, exec_lo
	s_or_not1_b32 s41, s7, exec_lo
.LBB6_7689:                             ;   in Loop: Header=BB6_7691 Depth=2
	s_or_b32 exec_lo, exec_lo, s44
	s_delay_alu instid0(SALU_CYCLE_1)
	s_and_not1_b32 s7, s28, exec_lo
	s_and_b32 s28, s42, exec_lo
	s_and_not1_b32 s27, s27, exec_lo
	s_and_b32 s41, s41, exec_lo
	s_or_b32 s28, s7, s28
	s_or_b32 s27, s27, s41
.LBB6_7690:                             ;   in Loop: Header=BB6_7691 Depth=2
	s_or_b32 exec_lo, exec_lo, s40
	s_delay_alu instid0(SALU_CYCLE_1) | instskip(NEXT) | instid1(SALU_CYCLE_1)
	s_and_b32 s7, exec_lo, s27
	s_or_b32 s25, s7, s25
	s_and_not1_b32 s7, s26, exec_lo
	s_and_b32 s26, s28, exec_lo
	s_delay_alu instid0(SALU_CYCLE_1)
	s_or_b32 s26, s7, s26
	s_and_not1_b32 exec_lo, exec_lo, s25
	s_cbranch_execz .LBB6_7695
.LBB6_7691:                             ;   Parent Loop BB6_3899 Depth=1
                                        ; =>  This Inner Loop Header: Depth=2
	s_sleep 1
	s_wait_loadcnt_dscnt 0x0
	flat_load_b64 v[70:71], v[64:65] scope:SCOPE_SYS
	s_or_b32 s28, s28, exec_lo
	s_or_b32 s27, s27, exec_lo
                                        ; implicit-def: $vgpr3
	s_wait_xcnt 0x0
	s_and_saveexec_b32 s40, vcc_lo
	s_cbranch_execz .LBB6_7690
; %bb.7692:                             ;   in Loop: Header=BB6_7691 Depth=2
	s_cmp_lt_i32 s29, 0x270f
	s_mov_b32 s41, -1
	s_cselect_b32 s43, -1, 0
	s_cmp_gt_i32 s29, 0x270e
	s_cbranch_scc0 .LBB6_7694
; %bb.7693:                             ;   in Loop: Header=BB6_7691 Depth=2
	s_trap 2
	ds_load_b64 v[12:13], v0
	s_and_not1_b32 s29, s43, exec_lo
	s_mov_b32 s42, 0
	s_wait_storecnt 0x0
	s_wait_loadcnt_dscnt 0x0
	flat_load_b32 v3, v[12:13] scope:SCOPE_SYS
	s_wait_loadcnt_dscnt 0x0
	global_inv scope:SCOPE_SYS
	v_cmp_eq_u32_e64 s7, 0, v3
	s_and_b32 s7, s7, exec_lo
	s_delay_alu instid0(SALU_CYCLE_1)
	s_or_b32 s43, s29, s7
	s_mov_b32 s29, 0
	s_and_saveexec_b32 s44, s43
	s_cbranch_execz .LBB6_7689
	s_branch .LBB6_7688
.LBB6_7694:                             ;   in Loop: Header=BB6_7691 Depth=2
	s_add_co_i32 s29, s29, 1
	s_mov_b32 s42, -1
                                        ; implicit-def: $vgpr3
	s_and_saveexec_b32 s44, s43
	s_cbranch_execz .LBB6_7689
	s_branch .LBB6_7688
.LBB6_7695:                             ;   in Loop: Header=BB6_3899 Depth=1
	s_or_b32 exec_lo, exec_lo, s25
	s_xor_b32 s7, s26, -1
	s_delay_alu instid0(SALU_CYCLE_1) | instskip(NEXT) | instid1(SALU_CYCLE_1)
	s_and_saveexec_b32 s25, s7
	s_xor_b32 s7, exec_lo, s25
	s_cbranch_execz .LBB6_7697
; %bb.7696:                             ;   in Loop: Header=BB6_3899 Depth=1
	v_or_b32_e32 v30, 64, v30
	s_wait_storecnt 0x0
	s_wait_loadcnt_dscnt 0x0
	ds_store_b32 v0, v3
	s_trap 2
.LBB6_7697:                             ;   in Loop: Header=BB6_3899 Depth=1
	s_or_b32 exec_lo, exec_lo, s7
.LBB6_7698:                             ;   in Loop: Header=BB6_3899 Depth=1
	s_delay_alu instid0(SALU_CYCLE_1)
	s_or_b32 exec_lo, exec_lo, s24
	v_and_b32_e32 v3, 0x100, v30
	v_and_b32_e32 v86, 7, v8
	s_mov_b32 s7, -1
	s_mov_b32 s24, exec_lo
	;;#ASMSTART
	s_wakeup
	;;#ASMEND
                                        ; implicit-def: $vgpr8_vgpr9
	v_cmpx_ne_u32_e32 0, v3
	s_cbranch_execz .LBB6_7702
; %bb.7699:                             ;   in Loop: Header=BB6_3899 Depth=1
	v_mad_nc_u64_u32 v[12:13], v86, 24, v[6:7]
	s_mov_b32 s25, exec_lo
                                        ; implicit-def: $vgpr8_vgpr9
	flat_load_b32 v3, v[12:13]
	s_wait_loadcnt_dscnt 0x0
	v_cmp_ne_u32_e32 vcc_lo, 1, v3
	s_wait_xcnt 0x0
	v_cmpx_eq_u32_e32 1, v3
	s_cbranch_execz .LBB6_7701
; %bb.7700:                             ;   in Loop: Header=BB6_3899 Depth=1
	flat_load_b32 v8, v[12:13] offset:4 scope:SCOPE_SYS
	s_wait_loadcnt_dscnt 0x0
	v_ashrrev_i32_e32 v9, 31, v8
.LBB6_7701:                             ;   in Loop: Header=BB6_3899 Depth=1
	s_wait_xcnt 0x0
	s_or_b32 exec_lo, exec_lo, s25
	s_delay_alu instid0(SALU_CYCLE_1)
	s_or_not1_b32 s7, vcc_lo, exec_lo
.LBB6_7702:                             ;   in Loop: Header=BB6_3899 Depth=1
	s_or_b32 exec_lo, exec_lo, s24
	s_and_saveexec_b32 s24, s7
	s_cbranch_execz .LBB6_7704
; %bb.7703:                             ;   in Loop: Header=BB6_3899 Depth=1
	scratch_load_b64 v[8:9], off, s33 offset:188 ; 8-byte Folded Reload
	s_wait_loadcnt 0x0
	v_mul_u64_e32 v[8:9], v[86:87], v[8:9]
.LBB6_7704:                             ;   in Loop: Header=BB6_3899 Depth=1
	s_wait_xcnt 0x0
	s_or_b32 exec_lo, exec_lo, s24
	s_delay_alu instid0(VALU_DEP_1)
	v_add_nc_u64_e32 v[8:9], v[68:69], v[8:9]
	v_and_b32_e32 v3, 0x2000, v30
	s_mov_b32 s7, exec_lo
	ds_store_b64 v0, v[8:9] offset:728
	v_cmpx_ne_u32_e32 0, v3
	s_cbranch_execz .LBB6_7706
; %bb.7705:                             ;   in Loop: Header=BB6_3899 Depth=1
	ds_load_b64 v[8:9], v0 offset:872
	s_wait_dscnt 0x0
	v_add_nc_u64_e32 v[8:9], 1, v[8:9]
	ds_store_b64 v0, v[8:9] offset:872
.LBB6_7706:                             ;   in Loop: Header=BB6_3899 Depth=1
	s_or_b32 exec_lo, exec_lo, s7
	v_mov_b64_e32 v[8:9], v[10:11]
.LBB6_7707:                             ;   in Loop: Header=BB6_3899 Depth=1
	s_or_b32 exec_lo, exec_lo, s11
	s_and_saveexec_b32 s7, s2
	s_cbranch_execz .LBB6_7726
; %bb.7708:                             ;   in Loop: Header=BB6_3899 Depth=1
	s_and_saveexec_b32 s11, s3
	s_delay_alu instid0(SALU_CYCLE_1)
	s_xor_b32 s11, exec_lo, s11
	s_cbranch_execz .LBB6_7723
; %bb.7709:                             ;   in Loop: Header=BB6_3899 Depth=1
	s_and_saveexec_b32 s24, s4
	s_cbranch_execz .LBB6_7722
; %bb.7710:                             ;   in Loop: Header=BB6_3899 Depth=1
	s_mov_b32 s26, exec_lo
	s_mov_b32 s25, exec_lo
	v_mbcnt_lo_u32_b32 v3, s26, 0
	global_wb scope:SCOPE_DEV
	s_wait_storecnt 0x0
	s_wait_loadcnt_dscnt 0x0
	global_inv scope:SCOPE_DEV
	v_cmpx_eq_u32_e32 0, v3
	s_cbranch_execz .LBB6_7712
; %bb.7711:                             ;   in Loop: Header=BB6_3899 Depth=1
	s_bcnt1_i32_b32 s26, s26
	s_delay_alu instid0(SALU_CYCLE_1)
	v_mov_b32_e32 v86, s26
	s_wait_loadcnt 0x0
	ds_add_u64 v0, v[86:87]
	s_trap 2
.LBB6_7712:                             ;   in Loop: Header=BB6_3899 Depth=1
	s_or_b32 exec_lo, exec_lo, s25
	s_trap 2
	ds_load_b64 v[10:11], v0
	s_wait_dscnt 0x0
	v_add_nc_u64_e32 v[80:81], v[80:81], v[84:85]
	s_mov_b32 s25, exec_lo
	s_delay_alu instid0(VALU_DEP_1)
	v_cmpx_lt_u64_e64 v[10:11], v[80:81]
	s_cbranch_execz .LBB6_7721
; %bb.7713:                             ;   in Loop: Header=BB6_3899 Depth=1
	s_mov_b32 s26, 0
	s_mov_b32 s29, 0
                                        ; implicit-def: $sgpr27
                                        ; implicit-def: $sgpr28
	s_branch .LBB6_7715
.LBB6_7714:                             ;   in Loop: Header=BB6_7715 Depth=2
	s_or_b32 exec_lo, exec_lo, s41
	s_delay_alu instid0(SALU_CYCLE_1) | instskip(NEXT) | instid1(SALU_CYCLE_1)
	s_and_b32 s40, exec_lo, s42
	s_or_b32 s26, s40, s26
	s_and_not1_b32 s27, s27, exec_lo
	s_and_b32 s40, s28, exec_lo
	s_delay_alu instid0(SALU_CYCLE_1)
	s_or_b32 s27, s27, s40
	s_and_not1_b32 exec_lo, exec_lo, s26
	s_cbranch_execz .LBB6_7719
.LBB6_7715:                             ;   Parent Loop BB6_3899 Depth=1
                                        ; =>  This Inner Loop Header: Depth=2
	s_add_co_i32 s29, s29, 1
	s_delay_alu instid0(SALU_CYCLE_1) | instskip(SKIP_1) | instid1(SALU_CYCLE_1)
	s_cmp_lg_u32 s29, 0x2710
	s_cselect_b32 s40, -1, 0
	s_and_b32 vcc_lo, exec_lo, s40
	s_cbranch_vccz .LBB6_7717
; %bb.7716:                             ;   in Loop: Header=BB6_7715 Depth=2
	s_mov_b32 s42, -1
	s_or_b32 s28, s28, exec_lo
	s_and_saveexec_b32 s41, s40
	s_cbranch_execz .LBB6_7714
	s_branch .LBB6_7718
.LBB6_7717:                             ;   in Loop: Header=BB6_7715 Depth=2
	s_trap 2
	ds_load_b64 v[10:11], v0
	s_and_not1_b32 s40, s40, exec_lo
	s_mov_b32 s29, 0
	s_wait_loadcnt_dscnt 0x0
	flat_load_b32 v3, v[10:11] scope:SCOPE_SYS
	s_wait_loadcnt_dscnt 0x0
	global_inv scope:SCOPE_SYS
	v_cmp_eq_u32_e32 vcc_lo, 0, v3
	s_and_b32 s41, vcc_lo, exec_lo
	s_delay_alu instid0(SALU_CYCLE_1)
	s_or_b32 s40, s40, s41
	s_mov_b32 s42, -1
	s_or_b32 s28, s28, exec_lo
	s_and_saveexec_b32 s41, s40
	s_cbranch_execz .LBB6_7714
.LBB6_7718:                             ;   in Loop: Header=BB6_7715 Depth=2
	s_sleep 1
	s_trap 2
	ds_load_b64 v[10:11], v0
	s_wait_dscnt 0x0
	s_and_not1_b32 s28, s28, exec_lo
	v_cmp_ge_u64_e32 vcc_lo, v[10:11], v[80:81]
	s_or_not1_b32 s42, vcc_lo, exec_lo
	s_branch .LBB6_7714
.LBB6_7719:                             ;   in Loop: Header=BB6_3899 Depth=1
	s_or_b32 exec_lo, exec_lo, s26
	s_and_saveexec_b32 s26, s27
	s_delay_alu instid0(SALU_CYCLE_1)
	s_xor_b32 s26, exec_lo, s26
	s_cbranch_execz .LBB6_7721
; %bb.7720:                             ;   in Loop: Header=BB6_3899 Depth=1
	v_mov_b32_e32 v3, 1
	ds_store_b32 v0, v3
	s_trap 2
.LBB6_7721:                             ;   in Loop: Header=BB6_3899 Depth=1
	s_or_b32 exec_lo, exec_lo, s25
	;;#ASMSTART
	s_wakeup
	;;#ASMEND
.LBB6_7722:                             ;   in Loop: Header=BB6_3899 Depth=1
	s_or_b32 exec_lo, exec_lo, s24
.LBB6_7723:                             ;   in Loop: Header=BB6_3899 Depth=1
	s_and_not1_saveexec_b32 s11, s11
	s_cbranch_execz .LBB6_7725
; %bb.7724:                             ;   in Loop: Header=BB6_3899 Depth=1
	global_wb scope:SCOPE_DEV
	s_wait_storecnt 0x0
	s_wait_loadcnt_dscnt 0x0
	global_inv scope:SCOPE_DEV
	s_barrier_signal -1
	s_barrier_wait -1
.LBB6_7725:                             ;   in Loop: Header=BB6_3899 Depth=1
	s_or_b32 exec_lo, exec_lo, s11
.LBB6_7726:                             ;   in Loop: Header=BB6_3899 Depth=1
	s_delay_alu instid0(SALU_CYCLE_1) | instskip(SKIP_3) | instid1(VALU_DEP_1)
	s_or_b32 exec_lo, exec_lo, s7
	s_trap 2
	ds_load_b32 v3, v0
	v_sub_nc_u32_e32 v2, v116, v2
	v_min_i32_e32 v2, v117, v2
	s_delay_alu instid0(VALU_DEP_1) | instskip(SKIP_4) | instid1(VALU_DEP_1)
	v_cmp_lt_i32_e32 vcc_lo, 0, v2
	s_wait_dscnt 0x0
	v_readfirstlane_b32 s7, v3
	v_and_b32_e32 v3, 16, v30
	s_cmp_eq_u32 s7, 0
	v_cmp_ne_u32_e64 s7, 0, v3
	s_cselect_b32 s11, -1, 0
	s_delay_alu instid0(SALU_CYCLE_1) | instskip(NEXT) | instid1(SALU_CYCLE_1)
	s_and_b32 s11, vcc_lo, s11
	s_and_b32 s11, s7, s11
	s_delay_alu instid0(SALU_CYCLE_1)
	s_and_saveexec_b32 s7, s11
	s_cbranch_execz .LBB6_7728
; %bb.7727:                             ;   in Loop: Header=BB6_3899 Depth=1
	global_wb scope:SCOPE_SYS
	s_wait_loadcnt 0x0
	s_wait_storecnt 0x0
	global_inv scope:SCOPE_SYS
.LBB6_7728:                             ;   in Loop: Header=BB6_3899 Depth=1
	s_or_b32 exec_lo, exec_lo, s7
	v_and_b32_e32 v2, 32, v30
	s_mov_b32 s7, exec_lo
	s_delay_alu instid0(VALU_DEP_1)
	v_cmpx_ne_u32_e32 0, v2
	s_cbranch_execz .LBB6_3897
; %bb.7729:                             ;   in Loop: Header=BB6_3899 Depth=1
	v_add_nc_u64_e32 v[8:9], 1, v[8:9]
	global_wb scope:SCOPE_SYS
	s_wait_loadcnt 0x0
	s_wait_storecnt 0x0
	flat_store_b64 v[64:65], v[8:9] scope:SCOPE_SYS
	s_branch .LBB6_3897
.LBB6_7730:
	s_or_b32 exec_lo, exec_lo, s21
	s_clause 0x2
	scratch_load_b32 v66, off, s33 offset:196
	scratch_load_b64 v[86:87], off, s33 offset:208
	scratch_load_b32 v10, off, s33 offset:216
.LBB6_7731:
	s_wait_xcnt 0x0
	s_or_b32 exec_lo, exec_lo, s17
.LBB6_7732:
	s_delay_alu instid0(SALU_CYCLE_1)
	s_or_b32 exec_lo, exec_lo, s16
                                        ; implicit-def: $vgpr0
                                        ; implicit-def: $vgpr52_vgpr53
                                        ; implicit-def: $vgpr4_vgpr5
                                        ; implicit-def: $vgpr84_vgpr85
	scratch_store_b64 off, v[0:1], s33 offset:188 ; 8-byte Folded Spill
                                        ; implicit-def: $vgpr70_vgpr71
                                        ; implicit-def: $vgpr68_vgpr69
                                        ; implicit-def: $vgpr64_vgpr65
                                        ; implicit-def: $vgpr0
                                        ; implicit-def: $vgpr15
                                        ; implicit-def: $vgpr82_vgpr83
.LBB6_7733:
	s_wait_xcnt 0x0
	s_and_not1_saveexec_b32 s11, s20
	s_cbranch_execz .LBB6_7907
; %bb.7734:
	v_mov_b64_e32 v[80:81], 0
	s_mov_b32 s12, exec_lo
	v_cmpx_ne_u64_e32 0, v[4:5]
	s_cbranch_execz .LBB6_7906
; %bb.7735:
	scratch_load_b64 v[12:13], off, s33 offset:188 ; 8-byte Folded Reload
	s_wait_loadcnt 0x1
	v_dual_ashrrev_i32 v2, 31, v0 :: v_dual_mov_b32 v72, v10
	v_and_b32_e32 v3, 31, v66
	s_ashr_i32 s4, s19, 31
	v_cmp_ne_u32_e64 s3, v1, v10
	s_lshr_b32 s4, s4, 24
	v_lshrrev_b32_e32 v10, 5, v1
	s_add_co_i32 s19, s19, s4
	v_cmp_eq_u32_e64 s4, 0, v3
	v_cmp_eq_u32_e32 vcc_lo, 32, v1
	v_mov_b64_e32 v[24:25], 0
	v_cmp_ne_u64_e64 s7, 0, v[84:85]
	v_mov_b64_e32 v[26:27], 0
	v_mov_b64_e32 v[80:81], 0
	v_cmp_ge_i32_e64 s1, v0, v1
	v_cmp_ne_u32_e64 s2, 32, v1
	v_and_b32_e32 v14, 0x1fe0, v1
	v_mov_b32_e32 v50, 1
	s_ashr_i32 s14, s19, 8
	s_mov_b32 s13, 0
	s_xor_b32 s15, vcc_lo, -1
	v_lshrrev_b32_e32 v2, 27, v2
	s_wait_loadcnt 0x0
	s_delay_alu instid0(VALU_DEP_1)
	v_dual_add_nc_u32 v2, v0, v2 :: v_dual_ashrrev_i32 v13, 31, v12
	scratch_store_b64 off, v[12:13], s33 offset:188 ; 8-byte Folded Spill
	s_wait_xcnt 0x0
	v_dual_mov_b32 v13, 0 :: v_dual_lshlrev_b32 v16, 12, v10
	v_dual_lshlrev_b32 v18, 9, v10 :: v_dual_lshlrev_b32 v22, 10, v10
	v_and_b32_e32 v12, 0xffffffe0, v2
	s_delay_alu instid0(VALU_DEP_3) | instskip(SKIP_1) | instid1(VALU_DEP_2)
	v_dual_mov_b32 v11, v13 :: v_dual_ashrrev_i32 v2, 5, v2
	v_dual_mov_b32 v17, v13 :: v_dual_mov_b32 v19, v13
	v_dual_sub_nc_u32 v3, v0, v12 :: v_dual_lshlrev_b32 v12, 12, v2
	v_mov_b32_e32 v23, v13
	s_trap 2
	s_delay_alu instid0(VALU_DEP_2) | instskip(NEXT) | instid1(VALU_DEP_3)
	v_cmp_gt_i32_e64 s5, 1, v3
	v_lshl_add_u32 v20, v3, 4, v12
	v_cmp_lt_i32_e64 s6, v3, v15
	s_delay_alu instid0(VALU_DEP_2)
	v_dual_mov_b32 v15, v13 :: v_dual_ashrrev_i32 v21, 31, v20
	s_branch .LBB6_7739
.LBB6_7736:                             ;   in Loop: Header=BB6_7739 Depth=1
	s_wait_xcnt 0x0
	s_or_b32 exec_lo, exec_lo, s16
	v_add_nc_u64_e32 v[8:9], 1, v[8:9]
	global_wb scope:SCOPE_SYS
	s_wait_storecnt 0x0
	s_wait_loadcnt_dscnt 0x0
	flat_store_b64 v[64:65], v[8:9] scope:SCOPE_SYS
.LBB6_7737:                             ;   in Loop: Header=BB6_7739 Depth=1
	s_wait_xcnt 0x0
	s_or_b32 exec_lo, exec_lo, s10
.LBB6_7738:                             ;   in Loop: Header=BB6_7739 Depth=1
	s_delay_alu instid0(SALU_CYCLE_1) | instskip(SKIP_1) | instid1(VALU_DEP_1)
	s_or_b32 exec_lo, exec_lo, s17
	v_add_nc_u64_e32 v[26:27], v[26:27], v[82:83]
	v_cmp_ge_u64_e32 vcc_lo, v[26:27], v[4:5]
	s_or_b32 s13, vcc_lo, s13
	s_delay_alu instid0(SALU_CYCLE_1)
	s_and_not1_b32 exec_lo, exec_lo, s13
	s_cbranch_execz .LBB6_7905
.LBB6_7739:                             ; =>This Loop Header: Depth=1
                                        ;     Child Loop BB6_7748 Depth 2
                                        ;     Child Loop BB6_7772 Depth 2
	;; [unrolled: 1-line block ×10, first 2 shown]
	v_sub_nc_u64_e32 v[28:29], v[4:5], v[26:27]
	s_delay_alu instid0(VALU_DEP_1) | instskip(NEXT) | instid1(VALU_DEP_1)
	v_min_u64 v[28:29], v[82:83], v[28:29]
	v_add_nc_u32_e32 v12, 15, v28
	s_delay_alu instid0(VALU_DEP_2) | instskip(NEXT) | instid1(VALU_DEP_2)
	v_cmp_eq_u64_e32 vcc_lo, 0, v[28:29]
	v_and_b32_e32 v12, 0x7ffffff0, v12
	s_or_b32 s16, s1, vcc_lo
	s_delay_alu instid0(SALU_CYCLE_1) | instskip(NEXT) | instid1(VALU_DEP_1)
	s_xor_b32 s10, s16, -1
	v_dual_mov_b32 v12, 0 :: v_dual_max_i32 v32, s14, v12
	s_and_saveexec_b32 s17, s10
	s_cbranch_execz .LBB6_7858
; %bb.7740:                             ;   in Loop: Header=BB6_7739 Depth=1
	s_and_saveexec_b32 s10, s0
	s_cbranch_execz .LBB6_7742
; %bb.7741:                             ;   in Loop: Header=BB6_7739 Depth=1
	s_trap 2
	ds_load_b64 v[34:35], v0
	s_wait_dscnt 0x0
	v_add_nc_u64_e32 v[34:35], v[34:35], v[52:53]
	s_delay_alu instid0(VALU_DEP_1)
	v_add_nc_u64_e32 v[34:35], v[34:35], v[26:27]
	ds_store_b64 v0, v[34:35]
	ds_store_b64 v0, v[24:25]
.LBB6_7742:                             ;   in Loop: Header=BB6_7739 Depth=1
	s_or_b32 exec_lo, exec_lo, s10
	v_and_b32_e32 v12, 8, v30
	v_min_u32_e32 v32, v32, v28
	s_mov_b32 s19, exec_lo
	s_delay_alu instid0(VALU_DEP_2)
	v_cmpx_ne_u32_e32 0, v12
	s_cbranch_execz .LBB6_7764
; %bb.7743:                             ;   in Loop: Header=BB6_7739 Depth=1
	s_wait_loadcnt 0x0
	v_add_nc_u64_e32 v[36:37], 8, v[70:71]
	v_add_nc_u64_e32 v[34:35], 1, v[8:9]
	s_mov_b32 s20, exec_lo
	s_delay_alu instid0(VALU_DEP_1)
	v_cmpx_lt_u64_e64 v[36:37], v[34:35]
	s_cbranch_execz .LBB6_7755
; %bb.7744:                             ;   in Loop: Header=BB6_7739 Depth=1
	v_and_b32_e32 v9, 64, v30
	s_mov_b32 s21, 0
	s_mov_b32 s25, 0
                                        ; implicit-def: $sgpr22
                                        ; implicit-def: $sgpr23
                                        ; implicit-def: $sgpr24
	s_delay_alu instid0(VALU_DEP_1)
	v_cmp_eq_u32_e32 vcc_lo, 0, v9
	s_branch .LBB6_7748
.LBB6_7745:                             ;   in Loop: Header=BB6_7748 Depth=2
	s_wait_loadcnt_dscnt 0x0
	v_add_nc_u64_e32 v[36:37], 8, v[70:71]
	s_or_b32 s28, s28, exec_lo
	s_delay_alu instid0(VALU_DEP_1)
	v_cmp_ge_u64_e64 s10, v[36:37], v[34:35]
	s_or_not1_b32 s27, s10, exec_lo
.LBB6_7746:                             ;   in Loop: Header=BB6_7748 Depth=2
	s_or_b32 exec_lo, exec_lo, s40
	s_delay_alu instid0(SALU_CYCLE_1)
	s_and_not1_b32 s10, s24, exec_lo
	s_and_b32 s24, s28, exec_lo
	s_and_not1_b32 s23, s23, exec_lo
	s_and_b32 s27, s27, exec_lo
	s_or_b32 s24, s10, s24
	s_or_b32 s23, s23, s27
.LBB6_7747:                             ;   in Loop: Header=BB6_7748 Depth=2
	s_or_b32 exec_lo, exec_lo, s26
	s_delay_alu instid0(SALU_CYCLE_1) | instskip(NEXT) | instid1(SALU_CYCLE_1)
	s_and_b32 s10, exec_lo, s23
	s_or_b32 s21, s10, s21
	s_and_not1_b32 s10, s22, exec_lo
	s_and_b32 s22, s24, exec_lo
	s_delay_alu instid0(SALU_CYCLE_1)
	s_or_b32 s22, s10, s22
	s_and_not1_b32 exec_lo, exec_lo, s21
	s_cbranch_execz .LBB6_7752
.LBB6_7748:                             ;   Parent Loop BB6_7739 Depth=1
                                        ; =>  This Inner Loop Header: Depth=2
	s_sleep 1
	s_wait_loadcnt_dscnt 0x0
	flat_load_b64 v[70:71], v[64:65] scope:SCOPE_SYS
	s_or_b32 s24, s24, exec_lo
	s_or_b32 s23, s23, exec_lo
                                        ; implicit-def: $vgpr9
	s_wait_xcnt 0x0
	s_and_saveexec_b32 s26, vcc_lo
	s_cbranch_execz .LBB6_7747
; %bb.7749:                             ;   in Loop: Header=BB6_7748 Depth=2
	s_cmp_lt_i32 s25, 0x270f
	s_mov_b32 s27, -1
	s_cselect_b32 s29, -1, 0
	s_cmp_gt_i32 s25, 0x270e
	s_cbranch_scc0 .LBB6_7751
; %bb.7750:                             ;   in Loop: Header=BB6_7748 Depth=2
	s_trap 2
	ds_load_b64 v[36:37], v0
	s_and_not1_b32 s25, s29, exec_lo
	s_mov_b32 s28, 0
	s_wait_storecnt 0x0
	s_wait_loadcnt_dscnt 0x0
	flat_load_b32 v9, v[36:37] scope:SCOPE_SYS
	s_wait_loadcnt_dscnt 0x0
	global_inv scope:SCOPE_SYS
	v_cmp_eq_u32_e64 s10, 0, v9
	s_and_b32 s10, s10, exec_lo
	s_delay_alu instid0(SALU_CYCLE_1)
	s_or_b32 s29, s25, s10
	s_mov_b32 s25, 0
	s_and_saveexec_b32 s40, s29
	s_cbranch_execz .LBB6_7746
	s_branch .LBB6_7745
.LBB6_7751:                             ;   in Loop: Header=BB6_7748 Depth=2
	s_add_co_i32 s25, s25, 1
	s_mov_b32 s28, -1
                                        ; implicit-def: $vgpr9
	s_and_saveexec_b32 s40, s29
	s_cbranch_execz .LBB6_7746
	s_branch .LBB6_7745
.LBB6_7752:                             ;   in Loop: Header=BB6_7739 Depth=1
	s_or_b32 exec_lo, exec_lo, s21
	s_xor_b32 s10, s22, -1
	s_delay_alu instid0(SALU_CYCLE_1) | instskip(NEXT) | instid1(SALU_CYCLE_1)
	s_and_saveexec_b32 s21, s10
	s_xor_b32 s10, exec_lo, s21
	s_cbranch_execz .LBB6_7754
; %bb.7753:                             ;   in Loop: Header=BB6_7739 Depth=1
	v_or_b32_e32 v30, 64, v30
	s_wait_storecnt 0x0
	s_wait_loadcnt_dscnt 0x0
	ds_store_b32 v0, v9
	s_trap 2
.LBB6_7754:                             ;   in Loop: Header=BB6_7739 Depth=1
	s_or_b32 exec_lo, exec_lo, s10
.LBB6_7755:                             ;   in Loop: Header=BB6_7739 Depth=1
	s_delay_alu instid0(SALU_CYCLE_1) | instskip(SKIP_4) | instid1(VALU_DEP_2)
	s_or_b32 exec_lo, exec_lo, s20
	v_and_b32_e32 v9, 0x100, v30
	v_and_b32_e32 v12, 7, v8
	s_mov_b32 s10, -1
	;;#ASMSTART
	s_wakeup
	;;#ASMEND
	v_cmp_ne_u32_e32 vcc_lo, 0, v9
                                        ; implicit-def: $vgpr8_vgpr9
	s_and_saveexec_b32 s20, vcc_lo
	s_cbranch_execz .LBB6_7759
; %bb.7756:                             ;   in Loop: Header=BB6_7739 Depth=1
	v_mad_nc_u64_u32 v[36:37], v12, 24, v[6:7]
	v_mov_b32_e32 v33, v13
	s_clause 0x1
	flat_load_b32 v8, v[36:37]
	flat_store_b64 v[36:37], v[32:33] offset:8
	s_wait_loadcnt_dscnt 0x1
	v_cmp_eq_u32_e64 s10, 1, v8
	v_cmp_ne_u32_e32 vcc_lo, 1, v8
                                        ; implicit-def: $vgpr8_vgpr9
	s_wait_xcnt 0x0
	s_and_saveexec_b32 s21, s10
	s_cbranch_execz .LBB6_7758
; %bb.7757:                             ;   in Loop: Header=BB6_7739 Depth=1
	flat_load_b32 v8, v[36:37] offset:4 scope:SCOPE_SYS
	s_wait_loadcnt_dscnt 0x0
	v_ashrrev_i32_e32 v9, 31, v8
.LBB6_7758:                             ;   in Loop: Header=BB6_7739 Depth=1
	s_wait_xcnt 0x0
	s_or_b32 exec_lo, exec_lo, s21
	s_delay_alu instid0(SALU_CYCLE_1)
	s_or_not1_b32 s10, vcc_lo, exec_lo
.LBB6_7759:                             ;   in Loop: Header=BB6_7739 Depth=1
	s_or_b32 exec_lo, exec_lo, s20
	s_and_saveexec_b32 s20, s10
	s_cbranch_execz .LBB6_7761
; %bb.7760:                             ;   in Loop: Header=BB6_7739 Depth=1
	scratch_load_b64 v[8:9], off, s33 offset:188 ; 8-byte Folded Reload
	s_wait_loadcnt 0x0
	v_mul_u64_e32 v[8:9], v[12:13], v[8:9]
.LBB6_7761:                             ;   in Loop: Header=BB6_7739 Depth=1
	s_wait_xcnt 0x0
	s_or_b32 exec_lo, exec_lo, s20
	s_delay_alu instid0(VALU_DEP_1)
	v_add_nc_u64_e32 v[8:9], v[68:69], v[8:9]
	v_and_b32_e32 v12, 0x2000, v30
	s_mov_b32 s10, exec_lo
	ds_store_b64 v0, v[8:9] offset:784
	v_cmpx_ne_u32_e32 0, v12
	s_cbranch_execz .LBB6_7763
; %bb.7762:                             ;   in Loop: Header=BB6_7739 Depth=1
	ds_load_b64 v[8:9], v0 offset:872
	s_wait_dscnt 0x0
	v_add_nc_u64_e32 v[8:9], 1, v[8:9]
	ds_store_b64 v0, v[8:9] offset:872
.LBB6_7763:                             ;   in Loop: Header=BB6_7739 Depth=1
	s_or_b32 exec_lo, exec_lo, s10
	v_mov_b64_e32 v[8:9], v[34:35]
.LBB6_7764:                             ;   in Loop: Header=BB6_7739 Depth=1
	s_or_b32 exec_lo, exec_lo, s19
	s_and_saveexec_b32 s10, s2
	s_cbranch_execz .LBB6_7783
; %bb.7765:                             ;   in Loop: Header=BB6_7739 Depth=1
	s_and_saveexec_b32 s19, s3
	s_delay_alu instid0(SALU_CYCLE_1)
	s_xor_b32 s19, exec_lo, s19
	s_cbranch_execz .LBB6_7780
; %bb.7766:                             ;   in Loop: Header=BB6_7739 Depth=1
	s_and_saveexec_b32 s20, s4
	s_cbranch_execz .LBB6_7779
; %bb.7767:                             ;   in Loop: Header=BB6_7739 Depth=1
	s_mov_b32 s22, exec_lo
	s_mov_b32 s21, exec_lo
	v_mbcnt_lo_u32_b32 v12, s22, 0
	global_wb scope:SCOPE_DEV
	s_wait_storecnt 0x0
	s_wait_loadcnt_dscnt 0x0
	global_inv scope:SCOPE_DEV
	v_cmpx_eq_u32_e32 0, v12
	s_cbranch_execz .LBB6_7769
; %bb.7768:                             ;   in Loop: Header=BB6_7739 Depth=1
	s_bcnt1_i32_b32 s22, s22
	s_delay_alu instid0(SALU_CYCLE_1)
	v_mov_b32_e32 v12, s22
	s_wait_loadcnt 0x0
	ds_add_u64 v0, v[12:13]
	s_trap 2
.LBB6_7769:                             ;   in Loop: Header=BB6_7739 Depth=1
	s_or_b32 exec_lo, exec_lo, s21
	s_trap 2
	ds_load_b64 v[34:35], v0
	s_wait_dscnt 0x0
	v_add_nc_u64_e32 v[80:81], v[80:81], v[10:11]
	s_mov_b32 s21, exec_lo
	s_delay_alu instid0(VALU_DEP_1)
	v_cmpx_lt_u64_e64 v[34:35], v[80:81]
	s_cbranch_execz .LBB6_7778
; %bb.7770:                             ;   in Loop: Header=BB6_7739 Depth=1
	s_mov_b32 s22, 0
	s_mov_b32 s25, 0
                                        ; implicit-def: $sgpr23
                                        ; implicit-def: $sgpr24
	s_branch .LBB6_7772
.LBB6_7771:                             ;   in Loop: Header=BB6_7772 Depth=2
	s_or_b32 exec_lo, exec_lo, s27
	s_delay_alu instid0(SALU_CYCLE_1) | instskip(NEXT) | instid1(SALU_CYCLE_1)
	s_and_b32 s26, exec_lo, s28
	s_or_b32 s22, s26, s22
	s_and_not1_b32 s23, s23, exec_lo
	s_and_b32 s26, s24, exec_lo
	s_delay_alu instid0(SALU_CYCLE_1)
	s_or_b32 s23, s23, s26
	s_and_not1_b32 exec_lo, exec_lo, s22
	s_cbranch_execz .LBB6_7776
.LBB6_7772:                             ;   Parent Loop BB6_7739 Depth=1
                                        ; =>  This Inner Loop Header: Depth=2
	s_add_co_i32 s25, s25, 1
	s_delay_alu instid0(SALU_CYCLE_1) | instskip(SKIP_1) | instid1(SALU_CYCLE_1)
	s_cmp_lg_u32 s25, 0x2710
	s_cselect_b32 s26, -1, 0
	s_and_b32 vcc_lo, exec_lo, s26
	s_cbranch_vccz .LBB6_7774
; %bb.7773:                             ;   in Loop: Header=BB6_7772 Depth=2
	s_mov_b32 s28, -1
	s_or_b32 s24, s24, exec_lo
	s_and_saveexec_b32 s27, s26
	s_cbranch_execz .LBB6_7771
	s_branch .LBB6_7775
.LBB6_7774:                             ;   in Loop: Header=BB6_7772 Depth=2
	s_trap 2
	ds_load_b64 v[34:35], v0
	s_and_not1_b32 s26, s26, exec_lo
	s_mov_b32 s25, 0
	s_wait_loadcnt_dscnt 0x0
	flat_load_b32 v12, v[34:35] scope:SCOPE_SYS
	s_wait_loadcnt_dscnt 0x0
	global_inv scope:SCOPE_SYS
	v_cmp_eq_u32_e32 vcc_lo, 0, v12
	s_and_b32 s27, vcc_lo, exec_lo
	s_delay_alu instid0(SALU_CYCLE_1)
	s_or_b32 s26, s26, s27
	s_mov_b32 s28, -1
	s_or_b32 s24, s24, exec_lo
	s_and_saveexec_b32 s27, s26
	s_cbranch_execz .LBB6_7771
.LBB6_7775:                             ;   in Loop: Header=BB6_7772 Depth=2
	s_sleep 1
	s_trap 2
	ds_load_b64 v[34:35], v0
	s_wait_dscnt 0x0
	s_and_not1_b32 s24, s24, exec_lo
	v_cmp_ge_u64_e32 vcc_lo, v[34:35], v[80:81]
	s_or_not1_b32 s28, vcc_lo, exec_lo
	s_branch .LBB6_7771
.LBB6_7776:                             ;   in Loop: Header=BB6_7739 Depth=1
	s_or_b32 exec_lo, exec_lo, s22
	s_and_saveexec_b32 s22, s23
	s_delay_alu instid0(SALU_CYCLE_1)
	s_xor_b32 s22, exec_lo, s22
	s_cbranch_execz .LBB6_7778
; %bb.7777:                             ;   in Loop: Header=BB6_7739 Depth=1
	ds_store_b32 v0, v50
	s_trap 2
.LBB6_7778:                             ;   in Loop: Header=BB6_7739 Depth=1
	s_or_b32 exec_lo, exec_lo, s21
	;;#ASMSTART
	s_wakeup
	;;#ASMEND
.LBB6_7779:                             ;   in Loop: Header=BB6_7739 Depth=1
	s_or_b32 exec_lo, exec_lo, s20
.LBB6_7780:                             ;   in Loop: Header=BB6_7739 Depth=1
	s_and_not1_saveexec_b32 s19, s19
	s_cbranch_execz .LBB6_7782
; %bb.7781:                             ;   in Loop: Header=BB6_7739 Depth=1
	global_wb scope:SCOPE_DEV
	s_wait_storecnt 0x0
	s_wait_loadcnt_dscnt 0x0
	global_inv scope:SCOPE_DEV
	s_barrier_signal -1
	s_barrier_wait -1
.LBB6_7782:                             ;   in Loop: Header=BB6_7739 Depth=1
	s_or_b32 exec_lo, exec_lo, s19
.LBB6_7783:                             ;   in Loop: Header=BB6_7739 Depth=1
	s_delay_alu instid0(SALU_CYCLE_1) | instskip(SKIP_3) | instid1(VALU_DEP_1)
	s_or_b32 exec_lo, exec_lo, s10
	s_trap 2
	ds_load_b32 v29, v0
	v_and_b32_e32 v12, 0x4000, v30
	v_cmp_ne_u32_e32 vcc_lo, 0, v12
	s_and_b32 s19, s15, vcc_lo
	s_delay_alu instid0(SALU_CYCLE_1)
	s_and_saveexec_b32 s10, s19
	s_cbranch_execz .LBB6_7802
; %bb.7784:                             ;   in Loop: Header=BB6_7739 Depth=1
	s_and_saveexec_b32 s19, s3
	s_delay_alu instid0(SALU_CYCLE_1)
	s_xor_b32 s19, exec_lo, s19
	s_cbranch_execz .LBB6_7799
; %bb.7785:                             ;   in Loop: Header=BB6_7739 Depth=1
	s_and_saveexec_b32 s20, s4
	s_cbranch_execz .LBB6_7798
; %bb.7786:                             ;   in Loop: Header=BB6_7739 Depth=1
	s_mov_b32 s22, exec_lo
	s_mov_b32 s21, exec_lo
	v_mbcnt_lo_u32_b32 v12, s22, 0
	global_wb scope:SCOPE_DEV
	s_wait_storecnt 0x0
	s_wait_loadcnt_dscnt 0x0
	global_inv scope:SCOPE_DEV
	v_cmpx_eq_u32_e32 0, v12
	s_cbranch_execz .LBB6_7788
; %bb.7787:                             ;   in Loop: Header=BB6_7739 Depth=1
	s_bcnt1_i32_b32 s22, s22
	s_delay_alu instid0(SALU_CYCLE_1)
	v_mov_b32_e32 v12, s22
	s_wait_loadcnt 0x0
	ds_add_u64 v0, v[12:13]
	s_trap 2
.LBB6_7788:                             ;   in Loop: Header=BB6_7739 Depth=1
	s_or_b32 exec_lo, exec_lo, s21
	s_trap 2
	ds_load_b64 v[34:35], v0
	s_wait_dscnt 0x0
	v_add_nc_u64_e32 v[80:81], v[80:81], v[10:11]
	s_mov_b32 s21, exec_lo
	s_delay_alu instid0(VALU_DEP_1)
	v_cmpx_lt_u64_e64 v[34:35], v[80:81]
	s_cbranch_execz .LBB6_7797
; %bb.7789:                             ;   in Loop: Header=BB6_7739 Depth=1
	s_mov_b32 s22, 0
	s_mov_b32 s25, 0
                                        ; implicit-def: $sgpr23
                                        ; implicit-def: $sgpr24
	s_branch .LBB6_7791
.LBB6_7790:                             ;   in Loop: Header=BB6_7791 Depth=2
	s_or_b32 exec_lo, exec_lo, s27
	s_delay_alu instid0(SALU_CYCLE_1) | instskip(NEXT) | instid1(SALU_CYCLE_1)
	s_and_b32 s26, exec_lo, s28
	s_or_b32 s22, s26, s22
	s_and_not1_b32 s23, s23, exec_lo
	s_and_b32 s26, s24, exec_lo
	s_delay_alu instid0(SALU_CYCLE_1)
	s_or_b32 s23, s23, s26
	s_and_not1_b32 exec_lo, exec_lo, s22
	s_cbranch_execz .LBB6_7795
.LBB6_7791:                             ;   Parent Loop BB6_7739 Depth=1
                                        ; =>  This Inner Loop Header: Depth=2
	s_add_co_i32 s25, s25, 1
	s_delay_alu instid0(SALU_CYCLE_1) | instskip(SKIP_1) | instid1(SALU_CYCLE_1)
	s_cmp_lg_u32 s25, 0x2710
	s_cselect_b32 s26, -1, 0
	s_and_b32 vcc_lo, exec_lo, s26
	s_cbranch_vccz .LBB6_7793
; %bb.7792:                             ;   in Loop: Header=BB6_7791 Depth=2
	s_mov_b32 s28, -1
	s_or_b32 s24, s24, exec_lo
	s_and_saveexec_b32 s27, s26
	s_cbranch_execz .LBB6_7790
	s_branch .LBB6_7794
.LBB6_7793:                             ;   in Loop: Header=BB6_7791 Depth=2
	s_trap 2
	ds_load_b64 v[34:35], v0
	s_and_not1_b32 s26, s26, exec_lo
	s_mov_b32 s25, 0
	s_wait_loadcnt_dscnt 0x0
	flat_load_b32 v12, v[34:35] scope:SCOPE_SYS
	s_wait_loadcnt_dscnt 0x0
	global_inv scope:SCOPE_SYS
	v_cmp_eq_u32_e32 vcc_lo, 0, v12
	s_and_b32 s27, vcc_lo, exec_lo
	s_delay_alu instid0(SALU_CYCLE_1)
	s_or_b32 s26, s26, s27
	s_mov_b32 s28, -1
	s_or_b32 s24, s24, exec_lo
	s_and_saveexec_b32 s27, s26
	s_cbranch_execz .LBB6_7790
.LBB6_7794:                             ;   in Loop: Header=BB6_7791 Depth=2
	s_sleep 1
	s_trap 2
	ds_load_b64 v[34:35], v0
	s_wait_dscnt 0x0
	s_and_not1_b32 s24, s24, exec_lo
	v_cmp_ge_u64_e32 vcc_lo, v[34:35], v[80:81]
	s_or_not1_b32 s28, vcc_lo, exec_lo
	s_branch .LBB6_7790
.LBB6_7795:                             ;   in Loop: Header=BB6_7739 Depth=1
	s_or_b32 exec_lo, exec_lo, s22
	s_and_saveexec_b32 s22, s23
	s_delay_alu instid0(SALU_CYCLE_1)
	s_xor_b32 s22, exec_lo, s22
	s_cbranch_execz .LBB6_7797
; %bb.7796:                             ;   in Loop: Header=BB6_7739 Depth=1
	ds_store_b32 v0, v50
	s_trap 2
.LBB6_7797:                             ;   in Loop: Header=BB6_7739 Depth=1
	s_or_b32 exec_lo, exec_lo, s21
	;;#ASMSTART
	s_wakeup
	;;#ASMEND
.LBB6_7798:                             ;   in Loop: Header=BB6_7739 Depth=1
	s_or_b32 exec_lo, exec_lo, s20
.LBB6_7799:                             ;   in Loop: Header=BB6_7739 Depth=1
	s_and_not1_saveexec_b32 s19, s19
	s_cbranch_execz .LBB6_7801
; %bb.7800:                             ;   in Loop: Header=BB6_7739 Depth=1
	global_wb scope:SCOPE_DEV
	s_wait_storecnt 0x0
	s_wait_loadcnt_dscnt 0x0
	global_inv scope:SCOPE_DEV
	s_barrier_signal -1
	s_barrier_wait -1
.LBB6_7801:                             ;   in Loop: Header=BB6_7739 Depth=1
	s_or_b32 exec_lo, exec_lo, s19
.LBB6_7802:                             ;   in Loop: Header=BB6_7739 Depth=1
	s_delay_alu instid0(SALU_CYCLE_1)
	s_or_b32 exec_lo, exec_lo, s10
	s_trap 2
	ds_load_b64 v[34:35], v0
	s_wait_dscnt 0x0
	v_cmp_eq_u64_e32 vcc_lo, 0, v[34:35]
	s_cbranch_vccnz .LBB6_7810
; %bb.7803:                             ;   in Loop: Header=BB6_7739 Depth=1
	s_trap 2
	ds_load_b64 v[36:37], v0
	s_wait_dscnt 0x0
	v_cmp_eq_u64_e32 vcc_lo, 0, v[36:37]
	s_cbranch_vccnz .LBB6_7810
; %bb.7804:                             ;   in Loop: Header=BB6_7739 Depth=1
	s_mov_b32 s10, -1
	s_and_saveexec_b32 s19, s5
	s_cbranch_execz .LBB6_7806
; %bb.7805:                             ;   in Loop: Header=BB6_7739 Depth=1
	ds_load_b32 v12, v0 offset:720
	s_wait_dscnt 0x0
	v_and_b32_e32 v12, 15, v12
	s_delay_alu instid0(VALU_DEP_1)
	v_cmp_eq_u32_e32 vcc_lo, 0, v12
	s_or_not1_b32 s10, vcc_lo, exec_lo
.LBB6_7806:                             ;   in Loop: Header=BB6_7739 Depth=1
	s_or_b32 exec_lo, exec_lo, s19
	s_and_saveexec_b32 s19, s6
	s_cbranch_execz .LBB6_7808
; %bb.7807:                             ;   in Loop: Header=BB6_7739 Depth=1
	ds_load_b32 v12, v0 offset:784
	s_wait_dscnt 0x0
	v_and_b32_e32 v12, 15, v12
	s_delay_alu instid0(VALU_DEP_1) | instskip(SKIP_3) | instid1(SALU_CYCLE_1)
	v_cmp_eq_u32_e32 vcc_lo, 0, v12
	s_and_b32 s20, s10, vcc_lo
	s_and_not1_b32 s10, s10, exec_lo
	s_and_b32 s20, s20, exec_lo
	s_or_b32 s10, s10, s20
.LBB6_7808:                             ;   in Loop: Header=BB6_7739 Depth=1
	s_or_b32 exec_lo, exec_lo, s19
	v_cmp_eq_u32_e32 vcc_lo, 0, v29
	s_xor_b32 s10, s10, -1
	v_mov_b32_e32 v38, v2
	v_cndmask_b32_e64 v31, 0, 1, s10
	s_mov_b32 s20, -1
	v_dual_cndmask_b32 v12, 0, v32 :: v_dual_mov_b32 v29, 0
	v_mov_b32_e32 v33, v0
	s_delay_alu instid0(VALU_DEP_3) | instskip(NEXT) | instid1(VALU_DEP_3)
	v_cmp_ne_u32_e32 vcc_lo, 0, v31
	v_mov_b32_e32 v31, v12
	s_cbranch_vccz .LBB6_7811
; %bb.7809:                             ;   in Loop: Header=BB6_7739 Depth=1
	s_and_saveexec_b32 s10, s20
	s_cbranch_execnz .LBB6_7824
	s_branch .LBB6_7832
.LBB6_7810:                             ;   in Loop: Header=BB6_7739 Depth=1
	s_mov_b32 s10, 0
	s_and_saveexec_b32 s19, s2
	s_cbranch_execnz .LBB6_7833
	s_branch .LBB6_7851
.LBB6_7811:                             ;   in Loop: Header=BB6_7739 Depth=1
	v_lshrrev_b32_e32 v29, 12, v12
	s_mov_b32 s10, exec_lo
	s_delay_alu instid0(VALU_DEP_1) | instskip(NEXT) | instid1(VALU_DEP_1)
	v_sub_nc_u32_e32 v51, v29, v2
	v_cmpx_lt_i32_e32 0, v51
	s_cbranch_execz .LBB6_7815
; %bb.7812:                             ;   in Loop: Header=BB6_7739 Depth=1
	v_mov_b64_e32 v[62:63], v[86:87]
	v_mov_b64_e32 v[38:39], v[36:37]
	;; [unrolled: 1-line block ×3, first 2 shown]
	s_mov_b32 s19, 0
.LBB6_7813:                             ;   Parent Loop BB6_7739 Depth=1
                                        ; =>  This Inner Loop Header: Depth=2
	s_delay_alu instid0(VALU_DEP_1)
	v_add_nc_u64_e32 v[86:87], v[20:21], v[48:49]
	v_sub_nc_u32_e32 v51, v51, v10
	v_add_nc_u64_e32 v[48:49], v[48:49], v[16:17]
	s_clause 0x7
	global_load_b128 v[96:99], v[86:87], off th:TH_LOAD_NT
	global_load_b128 v[100:103], v[86:87], off offset:512 th:TH_LOAD_NT
	global_load_b128 v[112:115], v[86:87], off offset:1024 th:TH_LOAD_NT
	global_load_b128 v[116:119], v[86:87], off offset:1536 th:TH_LOAD_NT
	global_load_b128 v[40:43], v[86:87], off offset:2048 th:TH_LOAD_NT
	global_load_b128 v[44:47], v[86:87], off offset:2560 th:TH_LOAD_NT
	global_load_b128 v[54:57], v[86:87], off offset:3072 th:TH_LOAD_NT
	global_load_b128 v[58:61], v[86:87], off offset:3584 th:TH_LOAD_NT
	s_wait_xcnt 0x0
	v_add_nc_u64_e32 v[86:87], v[20:21], v[38:39]
	v_add_nc_u64_e32 v[38:39], v[38:39], v[16:17]
	v_cmp_gt_i32_e32 vcc_lo, 1, v51
	s_wait_loadcnt 0x7
	global_store_b128 v[86:87], v[96:99], off th:TH_STORE_NT
	s_wait_loadcnt 0x6
	global_store_b128 v[86:87], v[100:103], off offset:512 th:TH_STORE_NT
	s_wait_loadcnt 0x5
	global_store_b128 v[86:87], v[112:115], off offset:1024 th:TH_STORE_NT
	;; [unrolled: 2-line block ×7, first 2 shown]
	s_or_b32 s19, vcc_lo, s19
	s_wait_xcnt 0x0
	s_and_not1_b32 exec_lo, exec_lo, s19
	s_cbranch_execnz .LBB6_7813
; %bb.7814:                             ;   in Loop: Header=BB6_7739 Depth=1
	s_or_b32 exec_lo, exec_lo, s19
	v_mov_b64_e32 v[86:87], v[62:63]
.LBB6_7815:                             ;   in Loop: Header=BB6_7739 Depth=1
	s_or_b32 exec_lo, exec_lo, s10
	v_and_b32_e32 v39, 0x3ffff000, v12
	v_mov_b32_e32 v29, 0
	s_mov_b32 s20, 0
	s_mov_b32 s19, exec_lo
                                        ; implicit-def: $vgpr31
                                        ; implicit-def: $vgpr33
                                        ; implicit-def: $vgpr38
	s_delay_alu instid0(VALU_DEP_2)
	v_cmpx_ne_u32_e64 v12, v39
	s_cbranch_execz .LBB6_7823
; %bb.7816:                             ;   in Loop: Header=BB6_7739 Depth=1
	v_lshlrev_b32_e32 v29, 5, v51
	v_and_b32_e32 v49, 0xfff, v12
	v_bfe_u32 v51, v12, 9, 3
	s_mov_b32 s20, exec_lo
	s_delay_alu instid0(VALU_DEP_3) | instskip(NEXT) | instid1(VALU_DEP_1)
	v_sub_nc_u32_e32 v29, v3, v29
	v_ashrrev_i32_e32 v31, 31, v29
	s_delay_alu instid0(VALU_DEP_1) | instskip(NEXT) | instid1(VALU_DEP_1)
	v_lshrrev_b32_e32 v31, 27, v31
	v_add_nc_u32_e32 v31, v29, v31
	s_delay_alu instid0(VALU_DEP_1) | instskip(NEXT) | instid1(VALU_DEP_1)
	v_and_b32_e32 v33, 0xffffffe0, v31
	v_sub_nc_u32_e32 v48, v29, v33
	v_and_b32_e32 v29, 0x1ff, v12
	s_delay_alu instid0(VALU_DEP_2) | instskip(NEXT) | instid1(VALU_DEP_2)
	v_dual_ashrrev_i32 v38, 5, v31 :: v_dual_lshlrev_b32 v31, 4, v48
	v_cmp_lt_u32_e32 vcc_lo, 15, v29
	s_delay_alu instid0(VALU_DEP_2) | instskip(SKIP_1) | instid1(VALU_DEP_1)
	v_lshl_add_u32 v33, v38, 9, v31
	v_add_co_ci_u32_e64 v51, null, 0, v51, vcc_lo
	v_dual_sub_nc_u32 v31, v49, v33 :: v_dual_sub_nc_u32 v49, v51, v38
	s_delay_alu instid0(VALU_DEP_1)
	v_cmpx_lt_i32_e32 15, v31
	s_cbranch_execz .LBB6_7820
; %bb.7817:                             ;   in Loop: Header=BB6_7739 Depth=1
	v_add_nc_u32_e32 v38, v33, v39
	s_mov_b32 s21, 0
	s_delay_alu instid0(VALU_DEP_1)
	v_ashrrev_i32_e32 v39, 31, v38
.LBB6_7818:                             ;   Parent Loop BB6_7739 Depth=1
                                        ; =>  This Inner Loop Header: Depth=2
	s_delay_alu instid0(VALU_DEP_1) | instskip(SKIP_2) | instid1(VALU_DEP_2)
	v_add_nc_u64_e32 v[54:55], v[34:35], v[38:39]
	v_sub_nc_u32_e32 v31, v31, v18
	v_sub_nc_u32_e32 v49, v49, v10
	v_cmp_gt_i32_e64 s10, 16, v31
	global_load_b128 v[96:99], v[54:55], off th:TH_LOAD_NT
	s_wait_xcnt 0x0
	v_add_nc_u64_e32 v[54:55], v[36:37], v[38:39]
	v_add_nc_u64_e32 v[38:39], v[38:39], v[18:19]
	s_or_b32 s21, s10, s21
	s_wait_loadcnt 0x0
	global_store_b128 v[54:55], v[96:99], off th:TH_STORE_NT
	s_wait_xcnt 0x0
	s_and_not1_b32 exec_lo, exec_lo, s21
	s_cbranch_execnz .LBB6_7818
; %bb.7819:                             ;   in Loop: Header=BB6_7739 Depth=1
	s_or_b32 exec_lo, exec_lo, s21
.LBB6_7820:                             ;   in Loop: Header=BB6_7739 Depth=1
	s_delay_alu instid0(SALU_CYCLE_1) | instskip(SKIP_3) | instid1(VALU_DEP_1)
	s_or_b32 exec_lo, exec_lo, s20
	v_and_b32_e32 v31, 15, v12
	s_mov_b32 s20, 0
	s_mov_b32 s21, exec_lo
                                        ; implicit-def: $vgpr33
                                        ; implicit-def: $vgpr38
	v_dual_cndmask_b32 v31, v29, v31, vcc_lo :: v_dual_mov_b32 v29, 0
	s_delay_alu instid0(VALU_DEP_1)
	v_cmpx_ne_u32_e32 0, v31
	s_cbranch_execz .LBB6_7822
; %bb.7821:                             ;   in Loop: Header=BB6_7739 Depth=1
	v_cmp_lt_i32_e64 s10, 0, v49
	v_and_b32_e32 v38, 0x1f0, v12
	s_mov_b32 s20, exec_lo
	v_cndmask_b32_e64 v29, 0, v10, s10
	s_delay_alu instid0(VALU_DEP_1) | instskip(NEXT) | instid1(VALU_DEP_1)
	v_dual_cndmask_b32 v38, 0, v38 :: v_dual_sub_nc_u32 v29, v29, v49
	v_lshl_add_u32 v33, v29, 5, v48
	s_delay_alu instid0(VALU_DEP_1) | instskip(NEXT) | instid1(VALU_DEP_1)
	v_ashrrev_i32_e32 v29, 31, v33
	v_lshrrev_b32_e32 v29, 27, v29
	s_delay_alu instid0(VALU_DEP_1) | instskip(SKIP_1) | instid1(VALU_DEP_2)
	v_add_nc_u32_e32 v39, v33, v29
	v_and_or_b32 v29, 0x3ffffe00, v12, v38
	v_ashrrev_i32_e32 v38, 5, v39
.LBB6_7822:                             ;   in Loop: Header=BB6_7739 Depth=1
	s_or_b32 exec_lo, exec_lo, s21
	s_delay_alu instid0(SALU_CYCLE_1)
	s_and_b32 s20, s20, exec_lo
.LBB6_7823:                             ;   in Loop: Header=BB6_7739 Depth=1
	s_or_b32 exec_lo, exec_lo, s19
	s_and_saveexec_b32 s10, s20
	s_cbranch_execz .LBB6_7832
.LBB6_7824:                             ;   in Loop: Header=BB6_7739 Depth=1
	v_lshrrev_b32_e32 v39, 10, v31
	s_mov_b32 s19, exec_lo
	s_delay_alu instid0(VALU_DEP_1) | instskip(NEXT) | instid1(VALU_DEP_1)
	v_dual_sub_nc_u32 v48, v39, v38 :: v_dual_ashrrev_i32 v39, 31, v33
	v_lshrrev_b32_e32 v49, 27, v39
	s_delay_alu instid0(VALU_DEP_2)
	v_cmpx_lt_i32_e32 0, v48
	s_cbranch_execz .LBB6_7828
; %bb.7825:                             ;   in Loop: Header=BB6_7739 Depth=1
	s_delay_alu instid0(VALU_DEP_2) | instskip(SKIP_3) | instid1(VALU_DEP_3)
	v_dual_mov_b32 v59, v66 :: v_dual_add_nc_u32 v39, v33, v49
	v_mov_b64_e32 v[60:61], v[86:87]
	s_mov_b32 s20, 0
	v_lshlrev_b32_e32 v38, 10, v38
	v_and_b32_e32 v39, 0xffffffe0, v39
	s_delay_alu instid0(VALU_DEP_1) | instskip(NEXT) | instid1(VALU_DEP_1)
	v_sub_nc_u32_e32 v39, v33, v39
	v_add3_u32 v38, v29, v39, v38
	s_delay_alu instid0(VALU_DEP_1)
	v_ashrrev_i32_e32 v39, 31, v38
.LBB6_7826:                             ;   Parent Loop BB6_7739 Depth=1
                                        ; =>  This Inner Loop Header: Depth=2
	s_delay_alu instid0(VALU_DEP_1)
	v_add_nc_u64_e32 v[54:55], v[38:39], v[34:35]
	v_sub_nc_u32_e32 v48, v48, v10
	v_add_nc_u64_e32 v[34:35], v[34:35], v[22:23]
	s_clause 0x1f
	flat_load_u8 v51, v[54:55] th:TH_LOAD_NT
	flat_load_u8 v66, v[54:55] offset:32 th:TH_LOAD_NT
	flat_load_u8 v67, v[54:55] offset:64 th:TH_LOAD_NT
	;; [unrolled: 1-line block ×31, first 2 shown]
	s_wait_xcnt 0x0
	v_add_nc_u64_e32 v[54:55], v[38:39], v[36:37]
	v_add_nc_u64_e32 v[36:37], v[36:37], v[22:23]
	v_cmp_gt_i32_e32 vcc_lo, 1, v48
	s_wait_loadcnt_dscnt 0x1f1f
	flat_store_b8 v[54:55], v51 th:TH_STORE_NT
	s_wait_loadcnt_dscnt 0x1e1f
	flat_store_b8 v[54:55], v66 offset:32 th:TH_STORE_NT
	s_wait_loadcnt_dscnt 0x1d1f
	flat_store_b8 v[54:55], v67 offset:64 th:TH_STORE_NT
	;; [unrolled: 2-line block ×31, first 2 shown]
	s_or_b32 s20, vcc_lo, s20
	s_wait_xcnt 0x0
	s_and_not1_b32 exec_lo, exec_lo, s20
	s_cbranch_execnz .LBB6_7826
; %bb.7827:                             ;   in Loop: Header=BB6_7739 Depth=1
	s_or_b32 exec_lo, exec_lo, s20
	v_mov_b64_e32 v[86:87], v[60:61]
	v_mov_b32_e32 v66, v59
.LBB6_7828:                             ;   in Loop: Header=BB6_7739 Depth=1
	s_or_b32 exec_lo, exec_lo, s19
	v_and_b32_e32 v36, 0xfffffc00, v31
	s_delay_alu instid0(VALU_DEP_1)
	v_cmp_ne_u32_e32 vcc_lo, v31, v36
	s_and_b32 exec_lo, exec_lo, vcc_lo
	s_cbranch_execz .LBB6_7832
; %bb.7829:                             ;   in Loop: Header=BB6_7739 Depth=1
	v_dual_add_nc_u32 v34, v33, v49 :: v_dual_lshlrev_b32 v35, 5, v48
	v_and_b32_e32 v31, 0x3ff, v31
	s_delay_alu instid0(VALU_DEP_2) | instskip(NEXT) | instid1(VALU_DEP_1)
	v_and_b32_e32 v34, 0xffffffe0, v34
	v_sub_nc_u32_e32 v33, v33, v34
	s_delay_alu instid0(VALU_DEP_1) | instskip(NEXT) | instid1(VALU_DEP_1)
	v_sub_nc_u32_e32 v33, v33, v35
	v_sub_nc_u32_e32 v31, v31, v33
	s_delay_alu instid0(VALU_DEP_1)
	v_cmp_lt_i32_e32 vcc_lo, 0, v31
	s_and_b32 exec_lo, exec_lo, vcc_lo
	s_cbranch_execz .LBB6_7832
; %bb.7830:                             ;   in Loop: Header=BB6_7739 Depth=1
	s_trap 2
	ds_load_b64 v[34:35], v0
	v_add3_u32 v36, v36, v29, v33
	s_mov_b32 s19, 0
	s_delay_alu instid0(VALU_DEP_1)
	v_ashrrev_i32_e32 v37, 31, v36
.LBB6_7831:                             ;   Parent Loop BB6_7739 Depth=1
                                        ; =>  This Inner Loop Header: Depth=2
	s_wait_dscnt 0x0
	s_delay_alu instid0(VALU_DEP_1) | instskip(SKIP_2) | instid1(VALU_DEP_2)
	v_add_nc_u64_e32 v[38:39], v[34:35], v[36:37]
	v_sub_nc_u32_e32 v31, v31, v14
	v_add_nc_u64_e32 v[36:37], v[36:37], v[14:15]
	v_cmp_gt_i32_e32 vcc_lo, 1, v31
	flat_load_u8 v29, v[38:39] th:TH_LOAD_NT
	s_or_b32 s19, vcc_lo, s19
	s_wait_loadcnt_dscnt 0x0
	flat_store_b8 v[38:39], v29 th:TH_STORE_NT
	s_wait_xcnt 0x0
	s_and_not1_b32 exec_lo, exec_lo, s19
	s_cbranch_execnz .LBB6_7831
.LBB6_7832:                             ;   in Loop: Header=BB6_7739 Depth=1
	s_or_b32 exec_lo, exec_lo, s10
	v_cmp_ne_u32_e64 s10, 0, v12
	s_and_saveexec_b32 s19, s2
	s_cbranch_execz .LBB6_7851
.LBB6_7833:                             ;   in Loop: Header=BB6_7739 Depth=1
	s_and_saveexec_b32 s20, s3
	s_delay_alu instid0(SALU_CYCLE_1)
	s_xor_b32 s20, exec_lo, s20
	s_cbranch_execz .LBB6_7848
; %bb.7834:                             ;   in Loop: Header=BB6_7739 Depth=1
	s_and_saveexec_b32 s21, s4
	s_cbranch_execz .LBB6_7847
; %bb.7835:                             ;   in Loop: Header=BB6_7739 Depth=1
	s_mov_b32 s23, exec_lo
	s_mov_b32 s22, exec_lo
	v_mbcnt_lo_u32_b32 v12, s23, 0
	global_wb scope:SCOPE_DEV
	s_wait_storecnt 0x0
	s_wait_loadcnt_dscnt 0x0
	global_inv scope:SCOPE_DEV
	v_cmpx_eq_u32_e32 0, v12
	s_cbranch_execz .LBB6_7837
; %bb.7836:                             ;   in Loop: Header=BB6_7739 Depth=1
	s_bcnt1_i32_b32 s23, s23
	s_delay_alu instid0(SALU_CYCLE_1)
	v_mov_b32_e32 v12, s23
	s_wait_loadcnt 0x0
	ds_add_u64 v0, v[12:13]
	s_trap 2
.LBB6_7837:                             ;   in Loop: Header=BB6_7739 Depth=1
	s_or_b32 exec_lo, exec_lo, s22
	s_trap 2
	ds_load_b64 v[34:35], v0
	s_wait_dscnt 0x0
	v_add_nc_u64_e32 v[80:81], v[80:81], v[10:11]
	s_mov_b32 s22, exec_lo
	s_delay_alu instid0(VALU_DEP_1)
	v_cmpx_lt_u64_e64 v[34:35], v[80:81]
	s_cbranch_execz .LBB6_7846
; %bb.7838:                             ;   in Loop: Header=BB6_7739 Depth=1
	s_mov_b32 s23, 0
	s_mov_b32 s26, 0
                                        ; implicit-def: $sgpr24
                                        ; implicit-def: $sgpr25
	s_branch .LBB6_7840
.LBB6_7839:                             ;   in Loop: Header=BB6_7840 Depth=2
	s_or_b32 exec_lo, exec_lo, s28
	s_delay_alu instid0(SALU_CYCLE_1) | instskip(NEXT) | instid1(SALU_CYCLE_1)
	s_and_b32 s27, exec_lo, s29
	s_or_b32 s23, s27, s23
	s_and_not1_b32 s24, s24, exec_lo
	s_and_b32 s27, s25, exec_lo
	s_delay_alu instid0(SALU_CYCLE_1)
	s_or_b32 s24, s24, s27
	s_and_not1_b32 exec_lo, exec_lo, s23
	s_cbranch_execz .LBB6_7844
.LBB6_7840:                             ;   Parent Loop BB6_7739 Depth=1
                                        ; =>  This Inner Loop Header: Depth=2
	s_add_co_i32 s26, s26, 1
	s_delay_alu instid0(SALU_CYCLE_1) | instskip(SKIP_1) | instid1(SALU_CYCLE_1)
	s_cmp_lg_u32 s26, 0x2710
	s_cselect_b32 s27, -1, 0
	s_and_b32 vcc_lo, exec_lo, s27
	s_cbranch_vccz .LBB6_7842
; %bb.7841:                             ;   in Loop: Header=BB6_7840 Depth=2
	s_mov_b32 s29, -1
	s_or_b32 s25, s25, exec_lo
	s_and_saveexec_b32 s28, s27
	s_cbranch_execz .LBB6_7839
	s_branch .LBB6_7843
.LBB6_7842:                             ;   in Loop: Header=BB6_7840 Depth=2
	s_trap 2
	ds_load_b64 v[34:35], v0
	s_and_not1_b32 s27, s27, exec_lo
	s_mov_b32 s26, 0
	s_wait_loadcnt_dscnt 0x0
	flat_load_b32 v12, v[34:35] scope:SCOPE_SYS
	s_wait_loadcnt_dscnt 0x0
	global_inv scope:SCOPE_SYS
	v_cmp_eq_u32_e32 vcc_lo, 0, v12
	s_and_b32 s28, vcc_lo, exec_lo
	s_delay_alu instid0(SALU_CYCLE_1)
	s_or_b32 s27, s27, s28
	s_mov_b32 s29, -1
	s_or_b32 s25, s25, exec_lo
	s_and_saveexec_b32 s28, s27
	s_cbranch_execz .LBB6_7839
.LBB6_7843:                             ;   in Loop: Header=BB6_7840 Depth=2
	s_sleep 1
	s_trap 2
	ds_load_b64 v[34:35], v0
	s_wait_dscnt 0x0
	s_and_not1_b32 s25, s25, exec_lo
	v_cmp_ge_u64_e32 vcc_lo, v[34:35], v[80:81]
	s_or_not1_b32 s29, vcc_lo, exec_lo
	s_branch .LBB6_7839
.LBB6_7844:                             ;   in Loop: Header=BB6_7739 Depth=1
	s_or_b32 exec_lo, exec_lo, s23
	s_and_saveexec_b32 s23, s24
	s_delay_alu instid0(SALU_CYCLE_1)
	s_xor_b32 s23, exec_lo, s23
	s_cbranch_execz .LBB6_7846
; %bb.7845:                             ;   in Loop: Header=BB6_7739 Depth=1
	ds_store_b32 v0, v50
	s_trap 2
.LBB6_7846:                             ;   in Loop: Header=BB6_7739 Depth=1
	s_or_b32 exec_lo, exec_lo, s22
	;;#ASMSTART
	s_wakeup
	;;#ASMEND
.LBB6_7847:                             ;   in Loop: Header=BB6_7739 Depth=1
	s_or_b32 exec_lo, exec_lo, s21
.LBB6_7848:                             ;   in Loop: Header=BB6_7739 Depth=1
	s_and_not1_saveexec_b32 s20, s20
	s_cbranch_execz .LBB6_7850
; %bb.7849:                             ;   in Loop: Header=BB6_7739 Depth=1
	global_wb scope:SCOPE_DEV
	s_wait_storecnt 0x0
	s_wait_loadcnt_dscnt 0x0
	global_inv scope:SCOPE_DEV
	s_barrier_signal -1
	s_barrier_wait -1
.LBB6_7850:                             ;   in Loop: Header=BB6_7739 Depth=1
	s_or_b32 exec_lo, exec_lo, s20
.LBB6_7851:                             ;   in Loop: Header=BB6_7739 Depth=1
	s_delay_alu instid0(SALU_CYCLE_1) | instskip(SKIP_1) | instid1(VALU_DEP_1)
	s_or_b32 exec_lo, exec_lo, s19
	v_and_b32_e32 v12, 16, v30
	v_cmp_ne_u32_e32 vcc_lo, 0, v12
	s_and_b32 s19, vcc_lo, s10
	s_delay_alu instid0(SALU_CYCLE_1)
	s_and_saveexec_b32 s10, s19
	s_cbranch_execz .LBB6_7853
; %bb.7852:                             ;   in Loop: Header=BB6_7739 Depth=1
	global_wb scope:SCOPE_SYS
	s_wait_storecnt 0x0
	s_wait_loadcnt_dscnt 0x0
	global_inv scope:SCOPE_SYS
.LBB6_7853:                             ;   in Loop: Header=BB6_7739 Depth=1
	s_or_b32 exec_lo, exec_lo, s10
	s_delay_alu instid0(SALU_CYCLE_1)
	s_mov_b32 s10, exec_lo
	v_cmpx_ne_u32_e32 0, v12
	s_cbranch_execz .LBB6_7857
; %bb.7854:                             ;   in Loop: Header=BB6_7739 Depth=1
	s_and_saveexec_b32 s19, s7
	s_cbranch_execz .LBB6_7856
; %bb.7855:                             ;   in Loop: Header=BB6_7739 Depth=1
	global_wb scope:SCOPE_SYS
	s_wait_storecnt 0x0
	s_wait_loadcnt_dscnt 0x0
	flat_store_b32 v[84:85], v50 scope:SCOPE_SYS
.LBB6_7856:                             ;   in Loop: Header=BB6_7739 Depth=1
	s_wait_xcnt 0x0
	s_or_b32 exec_lo, exec_lo, s19
	v_add_nc_u64_e32 v[8:9], 1, v[8:9]
	global_wb scope:SCOPE_SYS
	s_wait_storecnt 0x0
	s_wait_loadcnt_dscnt 0x0
	flat_store_b64 v[64:65], v[8:9] scope:SCOPE_SYS
.LBB6_7857:                             ;   in Loop: Header=BB6_7739 Depth=1
	s_wait_xcnt 0x0
	s_or_b32 exec_lo, exec_lo, s10
	v_mov_b32_e32 v12, v32
.LBB6_7858:                             ;   in Loop: Header=BB6_7739 Depth=1
	s_or_b32 exec_lo, exec_lo, s17
	s_and_saveexec_b32 s17, s16
	s_cbranch_execz .LBB6_7738
; %bb.7859:                             ;   in Loop: Header=BB6_7739 Depth=1
	s_delay_alu instid0(VALU_DEP_1) | instskip(SKIP_1) | instid1(VALU_DEP_1)
	v_dual_sub_nc_u32 v12, v28, v12 :: v_dual_bitop2_b32 v29, 8, v30 bitop3:0x40
	s_mov_b32 s16, exec_lo
	v_min_i32_e32 v28, v32, v12
	s_delay_alu instid0(VALU_DEP_2)
	v_cmpx_ne_u32_e32 0, v29
	s_cbranch_execz .LBB6_7881
; %bb.7860:                             ;   in Loop: Header=BB6_7739 Depth=1
	s_wait_loadcnt 0x0
	v_add_nc_u64_e32 v[34:35], 8, v[70:71]
	v_add_nc_u64_e32 v[32:33], 1, v[8:9]
	s_mov_b32 s19, exec_lo
	s_delay_alu instid0(VALU_DEP_1)
	v_cmpx_lt_u64_e64 v[34:35], v[32:33]
	s_cbranch_execz .LBB6_7872
; %bb.7861:                             ;   in Loop: Header=BB6_7739 Depth=1
	v_and_b32_e32 v9, 64, v30
	s_mov_b32 s20, 0
	s_mov_b32 s24, 0
                                        ; implicit-def: $sgpr21
                                        ; implicit-def: $sgpr22
                                        ; implicit-def: $sgpr23
	s_delay_alu instid0(VALU_DEP_1)
	v_cmp_eq_u32_e32 vcc_lo, 0, v9
	s_branch .LBB6_7865
.LBB6_7862:                             ;   in Loop: Header=BB6_7865 Depth=2
	s_wait_loadcnt_dscnt 0x0
	v_add_nc_u64_e32 v[34:35], 8, v[70:71]
	s_or_b32 s27, s27, exec_lo
	s_delay_alu instid0(VALU_DEP_1)
	v_cmp_ge_u64_e64 s10, v[34:35], v[32:33]
	s_or_not1_b32 s26, s10, exec_lo
.LBB6_7863:                             ;   in Loop: Header=BB6_7865 Depth=2
	s_or_b32 exec_lo, exec_lo, s29
	s_delay_alu instid0(SALU_CYCLE_1)
	s_and_not1_b32 s10, s23, exec_lo
	s_and_b32 s23, s27, exec_lo
	s_and_not1_b32 s22, s22, exec_lo
	s_and_b32 s26, s26, exec_lo
	s_or_b32 s23, s10, s23
	s_or_b32 s22, s22, s26
.LBB6_7864:                             ;   in Loop: Header=BB6_7865 Depth=2
	s_or_b32 exec_lo, exec_lo, s25
	s_delay_alu instid0(SALU_CYCLE_1) | instskip(NEXT) | instid1(SALU_CYCLE_1)
	s_and_b32 s10, exec_lo, s22
	s_or_b32 s20, s10, s20
	s_and_not1_b32 s10, s21, exec_lo
	s_and_b32 s21, s23, exec_lo
	s_delay_alu instid0(SALU_CYCLE_1)
	s_or_b32 s21, s10, s21
	s_and_not1_b32 exec_lo, exec_lo, s20
	s_cbranch_execz .LBB6_7869
.LBB6_7865:                             ;   Parent Loop BB6_7739 Depth=1
                                        ; =>  This Inner Loop Header: Depth=2
	s_sleep 1
	s_wait_loadcnt_dscnt 0x0
	flat_load_b64 v[70:71], v[64:65] scope:SCOPE_SYS
	s_or_b32 s23, s23, exec_lo
	s_or_b32 s22, s22, exec_lo
                                        ; implicit-def: $vgpr9
	s_wait_xcnt 0x0
	s_and_saveexec_b32 s25, vcc_lo
	s_cbranch_execz .LBB6_7864
; %bb.7866:                             ;   in Loop: Header=BB6_7865 Depth=2
	s_cmp_lt_i32 s24, 0x270f
	s_mov_b32 s26, -1
	s_cselect_b32 s28, -1, 0
	s_cmp_gt_i32 s24, 0x270e
	s_cbranch_scc0 .LBB6_7868
; %bb.7867:                             ;   in Loop: Header=BB6_7865 Depth=2
	s_trap 2
	ds_load_b64 v[34:35], v0
	s_and_not1_b32 s24, s28, exec_lo
	s_mov_b32 s27, 0
	s_wait_storecnt 0x0
	s_wait_loadcnt_dscnt 0x0
	flat_load_b32 v9, v[34:35] scope:SCOPE_SYS
	s_wait_loadcnt_dscnt 0x0
	global_inv scope:SCOPE_SYS
	v_cmp_eq_u32_e64 s10, 0, v9
	s_and_b32 s10, s10, exec_lo
	s_delay_alu instid0(SALU_CYCLE_1)
	s_or_b32 s28, s24, s10
	s_mov_b32 s24, 0
	s_and_saveexec_b32 s29, s28
	s_cbranch_execz .LBB6_7863
	s_branch .LBB6_7862
.LBB6_7868:                             ;   in Loop: Header=BB6_7865 Depth=2
	s_add_co_i32 s24, s24, 1
	s_mov_b32 s27, -1
                                        ; implicit-def: $vgpr9
	s_and_saveexec_b32 s29, s28
	s_cbranch_execz .LBB6_7863
	s_branch .LBB6_7862
.LBB6_7869:                             ;   in Loop: Header=BB6_7739 Depth=1
	s_or_b32 exec_lo, exec_lo, s20
	s_xor_b32 s10, s21, -1
	s_delay_alu instid0(SALU_CYCLE_1) | instskip(NEXT) | instid1(SALU_CYCLE_1)
	s_and_saveexec_b32 s20, s10
	s_xor_b32 s10, exec_lo, s20
	s_cbranch_execz .LBB6_7871
; %bb.7870:                             ;   in Loop: Header=BB6_7739 Depth=1
	v_or_b32_e32 v30, 64, v30
	s_wait_storecnt 0x0
	s_wait_loadcnt_dscnt 0x0
	ds_store_b32 v0, v9
	s_trap 2
.LBB6_7871:                             ;   in Loop: Header=BB6_7739 Depth=1
	s_or_b32 exec_lo, exec_lo, s10
.LBB6_7872:                             ;   in Loop: Header=BB6_7739 Depth=1
	s_delay_alu instid0(SALU_CYCLE_1) | instskip(SKIP_4) | instid1(VALU_DEP_2)
	s_or_b32 exec_lo, exec_lo, s19
	v_and_b32_e32 v9, 0x100, v30
	v_and_b32_e32 v12, 7, v8
	s_mov_b32 s10, -1
	;;#ASMSTART
	s_wakeup
	;;#ASMEND
	v_cmp_ne_u32_e32 vcc_lo, 0, v9
                                        ; implicit-def: $vgpr8_vgpr9
	s_and_saveexec_b32 s19, vcc_lo
	s_cbranch_execz .LBB6_7876
; %bb.7873:                             ;   in Loop: Header=BB6_7739 Depth=1
	v_mad_nc_u64_u32 v[34:35], v12, 24, v[6:7]
	v_ashrrev_i32_e32 v29, 31, v28
	s_clause 0x1
	flat_load_b32 v8, v[34:35]
	flat_store_b64 v[34:35], v[28:29] offset:8
	s_wait_loadcnt_dscnt 0x1
	v_cmp_eq_u32_e64 s10, 1, v8
	v_cmp_ne_u32_e32 vcc_lo, 1, v8
                                        ; implicit-def: $vgpr8_vgpr9
	s_wait_xcnt 0x0
	s_and_saveexec_b32 s20, s10
	s_cbranch_execz .LBB6_7875
; %bb.7874:                             ;   in Loop: Header=BB6_7739 Depth=1
	flat_load_b32 v8, v[34:35] offset:4 scope:SCOPE_SYS
	s_wait_loadcnt_dscnt 0x0
	v_ashrrev_i32_e32 v9, 31, v8
.LBB6_7875:                             ;   in Loop: Header=BB6_7739 Depth=1
	s_wait_xcnt 0x0
	s_or_b32 exec_lo, exec_lo, s20
	s_delay_alu instid0(SALU_CYCLE_1)
	s_or_not1_b32 s10, vcc_lo, exec_lo
.LBB6_7876:                             ;   in Loop: Header=BB6_7739 Depth=1
	s_or_b32 exec_lo, exec_lo, s19
	s_and_saveexec_b32 s19, s10
	s_cbranch_execz .LBB6_7878
; %bb.7877:                             ;   in Loop: Header=BB6_7739 Depth=1
	scratch_load_b64 v[8:9], off, s33 offset:188 ; 8-byte Folded Reload
	s_wait_loadcnt 0x0
	v_mul_u64_e32 v[8:9], v[12:13], v[8:9]
.LBB6_7878:                             ;   in Loop: Header=BB6_7739 Depth=1
	s_wait_xcnt 0x0
	s_or_b32 exec_lo, exec_lo, s19
	s_delay_alu instid0(VALU_DEP_1)
	v_add_nc_u64_e32 v[8:9], v[68:69], v[8:9]
	v_and_b32_e32 v12, 0x2000, v30
	s_mov_b32 s10, exec_lo
	ds_store_b64 v0, v[8:9] offset:784
	v_cmpx_ne_u32_e32 0, v12
	s_cbranch_execz .LBB6_7880
; %bb.7879:                             ;   in Loop: Header=BB6_7739 Depth=1
	ds_load_b64 v[8:9], v0 offset:872
	s_wait_dscnt 0x0
	v_add_nc_u64_e32 v[8:9], 1, v[8:9]
	ds_store_b64 v0, v[8:9] offset:872
.LBB6_7880:                             ;   in Loop: Header=BB6_7739 Depth=1
	s_or_b32 exec_lo, exec_lo, s10
	v_mov_b64_e32 v[8:9], v[32:33]
.LBB6_7881:                             ;   in Loop: Header=BB6_7739 Depth=1
	s_or_b32 exec_lo, exec_lo, s16
	s_and_saveexec_b32 s10, s2
	s_cbranch_execz .LBB6_7900
; %bb.7882:                             ;   in Loop: Header=BB6_7739 Depth=1
	s_and_saveexec_b32 s16, s3
	s_delay_alu instid0(SALU_CYCLE_1)
	s_xor_b32 s16, exec_lo, s16
	s_cbranch_execz .LBB6_7897
; %bb.7883:                             ;   in Loop: Header=BB6_7739 Depth=1
	s_and_saveexec_b32 s19, s4
	s_cbranch_execz .LBB6_7896
; %bb.7884:                             ;   in Loop: Header=BB6_7739 Depth=1
	s_mov_b32 s21, exec_lo
	s_mov_b32 s20, exec_lo
	v_mbcnt_lo_u32_b32 v12, s21, 0
	global_wb scope:SCOPE_DEV
	s_wait_storecnt 0x0
	s_wait_loadcnt_dscnt 0x0
	global_inv scope:SCOPE_DEV
	v_cmpx_eq_u32_e32 0, v12
	s_cbranch_execz .LBB6_7886
; %bb.7885:                             ;   in Loop: Header=BB6_7739 Depth=1
	s_bcnt1_i32_b32 s21, s21
	s_delay_alu instid0(SALU_CYCLE_1)
	v_mov_b32_e32 v12, s21
	s_wait_loadcnt 0x0
	ds_add_u64 v0, v[12:13]
	s_trap 2
.LBB6_7886:                             ;   in Loop: Header=BB6_7739 Depth=1
	s_or_b32 exec_lo, exec_lo, s20
	s_trap 2
	ds_load_b64 v[32:33], v0
	s_wait_dscnt 0x0
	v_add_nc_u64_e32 v[80:81], v[80:81], v[10:11]
	s_mov_b32 s20, exec_lo
	s_delay_alu instid0(VALU_DEP_1)
	v_cmpx_lt_u64_e64 v[32:33], v[80:81]
	s_cbranch_execz .LBB6_7895
; %bb.7887:                             ;   in Loop: Header=BB6_7739 Depth=1
	s_mov_b32 s21, 0
	s_mov_b32 s24, 0
                                        ; implicit-def: $sgpr22
                                        ; implicit-def: $sgpr23
	s_branch .LBB6_7889
.LBB6_7888:                             ;   in Loop: Header=BB6_7889 Depth=2
	s_or_b32 exec_lo, exec_lo, s26
	s_delay_alu instid0(SALU_CYCLE_1) | instskip(NEXT) | instid1(SALU_CYCLE_1)
	s_and_b32 s25, exec_lo, s27
	s_or_b32 s21, s25, s21
	s_and_not1_b32 s22, s22, exec_lo
	s_and_b32 s25, s23, exec_lo
	s_delay_alu instid0(SALU_CYCLE_1)
	s_or_b32 s22, s22, s25
	s_and_not1_b32 exec_lo, exec_lo, s21
	s_cbranch_execz .LBB6_7893
.LBB6_7889:                             ;   Parent Loop BB6_7739 Depth=1
                                        ; =>  This Inner Loop Header: Depth=2
	s_add_co_i32 s24, s24, 1
	s_delay_alu instid0(SALU_CYCLE_1) | instskip(SKIP_1) | instid1(SALU_CYCLE_1)
	s_cmp_lg_u32 s24, 0x2710
	s_cselect_b32 s25, -1, 0
	s_and_b32 vcc_lo, exec_lo, s25
	s_cbranch_vccz .LBB6_7891
; %bb.7890:                             ;   in Loop: Header=BB6_7889 Depth=2
	s_mov_b32 s27, -1
	s_or_b32 s23, s23, exec_lo
	s_and_saveexec_b32 s26, s25
	s_cbranch_execz .LBB6_7888
	s_branch .LBB6_7892
.LBB6_7891:                             ;   in Loop: Header=BB6_7889 Depth=2
	s_trap 2
	ds_load_b64 v[32:33], v0
	s_and_not1_b32 s25, s25, exec_lo
	s_mov_b32 s24, 0
	s_wait_loadcnt_dscnt 0x0
	flat_load_b32 v12, v[32:33] scope:SCOPE_SYS
	s_wait_loadcnt_dscnt 0x0
	global_inv scope:SCOPE_SYS
	v_cmp_eq_u32_e32 vcc_lo, 0, v12
	s_and_b32 s26, vcc_lo, exec_lo
	s_delay_alu instid0(SALU_CYCLE_1)
	s_or_b32 s25, s25, s26
	s_mov_b32 s27, -1
	s_or_b32 s23, s23, exec_lo
	s_and_saveexec_b32 s26, s25
	s_cbranch_execz .LBB6_7888
.LBB6_7892:                             ;   in Loop: Header=BB6_7889 Depth=2
	s_sleep 1
	s_trap 2
	ds_load_b64 v[32:33], v0
	s_wait_dscnt 0x0
	s_and_not1_b32 s23, s23, exec_lo
	v_cmp_ge_u64_e32 vcc_lo, v[32:33], v[80:81]
	s_or_not1_b32 s27, vcc_lo, exec_lo
	s_branch .LBB6_7888
.LBB6_7893:                             ;   in Loop: Header=BB6_7739 Depth=1
	s_or_b32 exec_lo, exec_lo, s21
	s_and_saveexec_b32 s21, s22
	s_delay_alu instid0(SALU_CYCLE_1)
	s_xor_b32 s21, exec_lo, s21
	s_cbranch_execz .LBB6_7895
; %bb.7894:                             ;   in Loop: Header=BB6_7739 Depth=1
	ds_store_b32 v0, v50
	s_trap 2
.LBB6_7895:                             ;   in Loop: Header=BB6_7739 Depth=1
	s_or_b32 exec_lo, exec_lo, s20
	;;#ASMSTART
	s_wakeup
	;;#ASMEND
.LBB6_7896:                             ;   in Loop: Header=BB6_7739 Depth=1
	s_or_b32 exec_lo, exec_lo, s19
.LBB6_7897:                             ;   in Loop: Header=BB6_7739 Depth=1
	s_and_not1_saveexec_b32 s16, s16
	s_cbranch_execz .LBB6_7899
; %bb.7898:                             ;   in Loop: Header=BB6_7739 Depth=1
	global_wb scope:SCOPE_DEV
	s_wait_storecnt 0x0
	s_wait_loadcnt_dscnt 0x0
	global_inv scope:SCOPE_DEV
	s_barrier_signal -1
	s_barrier_wait -1
.LBB6_7899:                             ;   in Loop: Header=BB6_7739 Depth=1
	s_or_b32 exec_lo, exec_lo, s16
.LBB6_7900:                             ;   in Loop: Header=BB6_7739 Depth=1
	s_delay_alu instid0(SALU_CYCLE_1)
	s_or_b32 exec_lo, exec_lo, s10
	s_trap 2
	ds_load_b32 v12, v0
	v_cmp_lt_i32_e32 vcc_lo, 0, v28
	s_wait_dscnt 0x0
	v_readfirstlane_b32 s10, v12
	v_and_b32_e32 v12, 16, v30
	s_cmp_eq_u32 s10, 0
	s_delay_alu instid0(VALU_DEP_1) | instskip(SKIP_1) | instid1(SALU_CYCLE_1)
	v_cmp_ne_u32_e64 s10, 0, v12
	s_cselect_b32 s16, -1, 0
	s_and_b32 s16, vcc_lo, s16
	s_delay_alu instid0(SALU_CYCLE_1) | instskip(NEXT) | instid1(SALU_CYCLE_1)
	s_and_b32 s16, s10, s16
	s_and_saveexec_b32 s10, s16
	s_cbranch_execz .LBB6_7902
; %bb.7901:                             ;   in Loop: Header=BB6_7739 Depth=1
	global_wb scope:SCOPE_SYS
	s_wait_loadcnt 0x0
	s_wait_storecnt 0x0
	global_inv scope:SCOPE_SYS
.LBB6_7902:                             ;   in Loop: Header=BB6_7739 Depth=1
	s_or_b32 exec_lo, exec_lo, s10
	s_delay_alu instid0(SALU_CYCLE_1)
	s_mov_b32 s10, exec_lo
	v_cmpx_ne_u32_e32 0, v12
	s_cbranch_execz .LBB6_7737
; %bb.7903:                             ;   in Loop: Header=BB6_7739 Depth=1
	s_and_saveexec_b32 s16, s7
	s_cbranch_execz .LBB6_7736
; %bb.7904:                             ;   in Loop: Header=BB6_7739 Depth=1
	global_wb scope:SCOPE_SYS
	s_wait_loadcnt 0x0
	s_wait_storecnt 0x0
	flat_store_b32 v[84:85], v50 scope:SCOPE_SYS
	s_branch .LBB6_7736
.LBB6_7905:
	s_or_b32 exec_lo, exec_lo, s13
	v_mov_b32_e32 v10, v72
.LBB6_7906:
	s_or_b32 exec_lo, exec_lo, s12
.LBB6_7907:
	s_delay_alu instid0(SALU_CYCLE_1) | instskip(SKIP_2) | instid1(VALU_DEP_1)
	s_or_b32 exec_lo, exec_lo, s11
	v_and_b32_e32 v0, 0x800, v30
	s_mov_b32 s1, exec_lo
	v_cmpx_eq_u32_e32 0, v0
	s_cbranch_execz .LBB6_7940
; %bb.7908:
	v_and_b32_e32 v0, 48, v30
	s_mov_b32 s0, exec_lo
	s_delay_alu instid0(VALU_DEP_1)
	v_cmpx_ne_u32_e32 0, v0
	s_cbranch_execz .LBB6_7910
; %bb.7909:
	s_wait_loadcnt 0x1
	flat_store_b64 v[86:87], v[8:9] offset:104
.LBB6_7910:
	s_wait_xcnt 0x0
	s_or_b32 exec_lo, exec_lo, s0
	v_and_b32_e32 v0, 0x88, v30
	s_mov_b32 s2, exec_lo
	s_delay_alu instid0(VALU_DEP_1)
	v_cmpx_eq_u32_e32 0x88, v0
	s_cbranch_execz .LBB6_7920
; %bb.7911:
	v_add_nc_u32_e32 v0, -1, v8
	s_mov_b32 s3, 0
	s_delay_alu instid0(VALU_DEP_1) | instskip(NEXT) | instid1(VALU_DEP_1)
	v_and_b32_e32 v0, 7, v0
	v_mad_nc_u64_u32 v[4:5], v0, 24, v[6:7]
	v_and_b32_e32 v0, 64, v30
	s_delay_alu instid0(VALU_DEP_1)
	v_cmp_eq_u32_e64 s0, 0, v0
	flat_load_b64 v[2:3], v[4:5] offset:8 scope:SCOPE_SYS
	s_wait_loadcnt_dscnt 0x0
	v_cmp_ne_u64_e32 vcc_lo, -1, v[2:3]
	s_and_b32 s0, vcc_lo, s0
	s_wait_xcnt 0x0
	s_and_b32 exec_lo, exec_lo, s0
	s_cbranch_execz .LBB6_7920
; %bb.7912:
	s_mov_b32 s5, 0
                                        ; implicit-def: $sgpr0
                                        ; implicit-def: $sgpr4
	s_branch .LBB6_7915
.LBB6_7913:                             ;   in Loop: Header=BB6_7915 Depth=1
	flat_load_b64 v[2:3], v[4:5] offset:8 scope:SCOPE_SYS
	s_wait_loadcnt 0x0
	s_and_not1_b32 s4, s4, exec_lo
	s_wait_dscnt 0x0
	v_cmp_eq_u64_e32 vcc_lo, -1, v[2:3]
	s_or_not1_b32 s7, vcc_lo, exec_lo
.LBB6_7914:                             ;   in Loop: Header=BB6_7915 Depth=1
	s_wait_xcnt 0x0
	s_or_b32 exec_lo, exec_lo, s10
	s_delay_alu instid0(SALU_CYCLE_1) | instskip(NEXT) | instid1(SALU_CYCLE_1)
	s_and_b32 s6, exec_lo, s7
	s_or_b32 s3, s6, s3
	s_and_not1_b32 s0, s0, exec_lo
	s_and_b32 s6, s4, exec_lo
	s_delay_alu instid0(SALU_CYCLE_1)
	s_or_b32 s0, s0, s6
	s_and_not1_b32 exec_lo, exec_lo, s3
	s_cbranch_execz .LBB6_7918
.LBB6_7915:                             ; =>This Inner Loop Header: Depth=1
	s_cmp_lt_i32 s5, 0x270f
	s_cselect_b32 s6, -1, 0
	s_delay_alu instid0(SALU_CYCLE_1)
	s_and_b32 vcc_lo, exec_lo, s6
	s_cbranch_vccnz .LBB6_7917
; %bb.7916:                             ;   in Loop: Header=BB6_7915 Depth=1
	s_trap 2
	ds_load_b64 v[2:3], v0
	s_and_not1_b32 s6, s6, exec_lo
	s_mov_b32 s5, 0
	s_wait_storecnt_dscnt 0x0
	flat_load_b32 v0, v[2:3] scope:SCOPE_SYS
	s_wait_loadcnt_dscnt 0x0
	global_inv scope:SCOPE_SYS
	v_cmp_eq_u32_e32 vcc_lo, 0, v0
	s_and_b32 s7, vcc_lo, exec_lo
	s_delay_alu instid0(SALU_CYCLE_1)
	s_or_b32 s6, s6, s7
	s_mov_b32 s7, -1
	s_or_b32 s4, s4, exec_lo
	s_wait_xcnt 0x0
	s_and_saveexec_b32 s10, s6
	s_cbranch_execz .LBB6_7914
	s_branch .LBB6_7913
.LBB6_7917:                             ;   in Loop: Header=BB6_7915 Depth=1
	s_add_co_i32 s5, s5, 1
                                        ; implicit-def: $vgpr0
	s_mov_b32 s7, -1
	s_or_b32 s4, s4, exec_lo
	s_and_saveexec_b32 s10, s6
	s_cbranch_execz .LBB6_7914
	s_branch .LBB6_7913
.LBB6_7918:
	s_or_b32 exec_lo, exec_lo, s3
	s_and_saveexec_b32 s3, s0
	s_delay_alu instid0(SALU_CYCLE_1)
	s_xor_b32 s3, exec_lo, s3
	s_cbranch_execz .LBB6_7920
; %bb.7919:
	s_wait_loadcnt 0x0
	s_wait_storecnt 0x0
	ds_store_b32 v0, v0
	s_trap 2
.LBB6_7920:
	s_or_b32 exec_lo, exec_lo, s2
	v_and_b32_e32 v0, 0x2000, v30
	s_mov_b32 s0, exec_lo
	s_delay_alu instid0(VALU_DEP_1)
	v_cmpx_ne_u32_e32 0, v0
	s_cbranch_execz .LBB6_7922
; %bb.7921:
	s_trap 2
	scratch_load_b64 v[4:5], off, s33 offset:200 th:TH_LOAD_LU ; 8-byte Folded Reload
	ds_load_b64 v[2:3], v0
	s_wait_loadcnt_dscnt 0x0
	flat_store_b64 v[4:5], v[2:3] offset:16
.LBB6_7922:
	s_wait_xcnt 0x0
	s_or_b32 exec_lo, exec_lo, s0
	v_cmp_ne_u32_e32 vcc_lo, 32, v1
	s_and_b32 exec_lo, exec_lo, vcc_lo
	s_cbranch_execz .LBB6_7940
; %bb.7923:
	s_mov_b32 s0, exec_lo
	s_wait_loadcnt 0x0
	v_cmpx_ne_u32_e64 v1, v10
	s_xor_b32 s0, exec_lo, s0
	s_cbranch_execz .LBB6_7938
; %bb.7924:
	v_and_b32_e32 v0, 31, v66
	s_mov_b32 s2, exec_lo
	s_delay_alu instid0(VALU_DEP_1)
	v_cmpx_eq_u32_e32 0, v0
	s_cbranch_execz .LBB6_7937
; %bb.7925:
	s_mov_b32 s4, exec_lo
	s_mov_b32 s3, exec_lo
	v_mbcnt_lo_u32_b32 v0, s4, 0
	global_wb scope:SCOPE_DEV
	s_wait_storecnt_dscnt 0x0
	global_inv scope:SCOPE_DEV
	v_cmpx_eq_u32_e32 0, v0
	s_cbranch_execz .LBB6_7927
; %bb.7926:
	s_bcnt1_i32_b32 s4, s4
	s_delay_alu instid0(SALU_CYCLE_1)
	v_dual_mov_b32 v3, 0 :: v_dual_mov_b32 v2, s4
	s_wait_loadcnt 0x0
	ds_add_u64 v0, v[2:3]
	s_trap 2
.LBB6_7927:
	s_or_b32 exec_lo, exec_lo, s3
	s_trap 2
	ds_load_b64 v[2:3], v0
	s_wait_dscnt 0x0
	v_dual_mov_b32 v1, 0 :: v_dual_lshrrev_b32 v0, 5, v1
	s_mov_b32 s3, exec_lo
	s_delay_alu instid0(VALU_DEP_1) | instskip(NEXT) | instid1(VALU_DEP_1)
	v_add_nc_u64_e32 v[0:1], v[80:81], v[0:1]
	v_cmpx_lt_u64_e64 v[2:3], v[0:1]
	s_cbranch_execz .LBB6_7936
; %bb.7928:
	s_mov_b32 s4, 0
	s_mov_b32 s7, 0
                                        ; implicit-def: $sgpr5
                                        ; implicit-def: $sgpr6
	s_branch .LBB6_7930
.LBB6_7929:                             ;   in Loop: Header=BB6_7930 Depth=1
	s_or_b32 exec_lo, exec_lo, s11
	s_delay_alu instid0(SALU_CYCLE_1) | instskip(NEXT) | instid1(SALU_CYCLE_1)
	s_and_b32 s10, exec_lo, s12
	s_or_b32 s4, s10, s4
	s_and_not1_b32 s5, s5, exec_lo
	s_and_b32 s10, s6, exec_lo
	s_delay_alu instid0(SALU_CYCLE_1)
	s_or_b32 s5, s5, s10
	s_and_not1_b32 exec_lo, exec_lo, s4
	s_cbranch_execz .LBB6_7934
.LBB6_7930:                             ; =>This Inner Loop Header: Depth=1
	s_add_co_i32 s7, s7, 1
	s_delay_alu instid0(SALU_CYCLE_1) | instskip(SKIP_1) | instid1(SALU_CYCLE_1)
	s_cmp_lg_u32 s7, 0x2710
	s_cselect_b32 s10, -1, 0
	s_and_b32 vcc_lo, exec_lo, s10
	s_cbranch_vccz .LBB6_7932
; %bb.7931:                             ;   in Loop: Header=BB6_7930 Depth=1
	s_mov_b32 s12, -1
	s_or_b32 s6, s6, exec_lo
	s_and_saveexec_b32 s11, s10
	s_cbranch_execz .LBB6_7929
	s_branch .LBB6_7933
.LBB6_7932:                             ;   in Loop: Header=BB6_7930 Depth=1
	s_trap 2
	ds_load_b64 v[2:3], v0
	s_and_not1_b32 s10, s10, exec_lo
	s_mov_b32 s7, 0
	s_wait_loadcnt_dscnt 0x0
	flat_load_b32 v2, v[2:3] scope:SCOPE_SYS
	s_wait_loadcnt_dscnt 0x0
	global_inv scope:SCOPE_SYS
	v_cmp_eq_u32_e32 vcc_lo, 0, v2
	s_and_b32 s11, vcc_lo, exec_lo
	s_delay_alu instid0(SALU_CYCLE_1)
	s_or_b32 s10, s10, s11
	s_mov_b32 s12, -1
	s_or_b32 s6, s6, exec_lo
	s_and_saveexec_b32 s11, s10
	s_cbranch_execz .LBB6_7929
.LBB6_7933:                             ;   in Loop: Header=BB6_7930 Depth=1
	s_sleep 1
	s_trap 2
	ds_load_b64 v[2:3], v0
	s_wait_dscnt 0x0
	s_and_not1_b32 s6, s6, exec_lo
	v_cmp_ge_u64_e32 vcc_lo, v[2:3], v[0:1]
	s_or_not1_b32 s12, vcc_lo, exec_lo
	s_branch .LBB6_7929
.LBB6_7934:
	s_or_b32 exec_lo, exec_lo, s4
	s_and_saveexec_b32 s4, s5
	s_delay_alu instid0(SALU_CYCLE_1)
	s_xor_b32 s4, exec_lo, s4
	s_cbranch_execz .LBB6_7936
; %bb.7935:
	v_mov_b32_e32 v0, 1
	ds_store_b32 v0, v0
	s_trap 2
.LBB6_7936:
	s_or_b32 exec_lo, exec_lo, s3
	;;#ASMSTART
	s_wakeup
	;;#ASMEND
.LBB6_7937:
	s_or_b32 exec_lo, exec_lo, s2
.LBB6_7938:
	s_and_not1_saveexec_b32 s0, s0
	s_cbranch_execz .LBB6_7940
; %bb.7939:
	global_wb scope:SCOPE_DEV
	s_wait_storecnt 0x0
	s_wait_loadcnt_dscnt 0x0
	global_inv scope:SCOPE_DEV
	s_barrier_signal -1
	s_barrier_wait -1
.LBB6_7940:
	s_or_b32 exec_lo, exec_lo, s1
.LBB6_7941:
	s_and_not1_saveexec_b32 s21, s18
	s_cbranch_execz .LBB6_7943
; %bb.7942:
	s_get_pc_i64 s[0:1]
	s_add_nc_u64 s[0:1], s[0:1], __PRETTY_FUNCTION__._ZN10PrimitivesI14__hip_fp8_e4m38FuncProdIS0_E12FanSymmetricILi1EELi0E11ProtoSimpleILi1ELi1ELi0ELi4ELi0ELi0EELi0ELb0ELi0ELi0ELi0EEC2EiiPKiS9_PKvPvmhhhP15ncclDevWorkCollP14ncclDevWorkP2pii@rel64+4
	s_get_pc_i64 s[2:3]
	s_add_nc_u64 s[2:3], s[2:3], __assert_fail@rel64+4
	v_dual_mov_b32 v0, s0 :: v_dual_mov_b32 v1, s1
	s_swap_pc_i64 s[30:31], s[2:3]
	; divergent unreachable
.LBB6_7943:
	s_or_b32 exec_lo, exec_lo, s21
	s_clause 0x2e
	scratch_load_b32 v126, off, s33
	scratch_load_b32 v125, off, s33 offset:4
	scratch_load_b32 v124, off, s33 offset:8
	;; [unrolled: 1-line block ×46, first 2 shown]
	v_readlane_b32 s30, v127, 0
	v_readlane_b32 s31, v127, 1
	s_mov_b32 s32, s33
	s_wait_xcnt 0x0
	s_or_saveexec_b32 s0, -1
	scratch_load_b32 v127, off, s33 offset:240 ; 4-byte Folded Reload
	s_wait_xcnt 0x0
	s_mov_b32 exec_lo, s0
	s_mov_b32 s33, s47
	s_wait_loadcnt_dscnt 0x0
	s_set_pc_i64 s[30:31]
.Lfunc_end6:
	.size	_ZN12_GLOBAL__N_17runRingI14__hip_fp8_e4m38FuncProdIS1_E11ProtoSimpleILi1ELi1ELi0ELi4ELi0ELi0EELi0ELi4ELi0EEEviiP15ncclDevWorkColl, .Lfunc_end6-_ZN12_GLOBAL__N_17runRingI14__hip_fp8_e4m38FuncProdIS1_E11ProtoSimpleILi1ELi1ELi0ELi4ELi0ELi0EELi0ELi4ELi0EEEviiP15ncclDevWorkColl
                                        ; -- End function
	.set .L_ZN12_GLOBAL__N_17runRingI14__hip_fp8_e4m38FuncProdIS1_E11ProtoSimpleILi1ELi1ELi0ELi4ELi0ELi0EELi0ELi4ELi0EEEviiP15ncclDevWorkColl.num_vgpr, max(128, .L__assert_fail.num_vgpr)
	.set .L_ZN12_GLOBAL__N_17runRingI14__hip_fp8_e4m38FuncProdIS1_E11ProtoSimpleILi1ELi1ELi0ELi4ELi0ELi0EELi0ELi4ELi0EEEviiP15ncclDevWorkColl.num_agpr, max(0, .L__assert_fail.num_agpr)
	.set .L_ZN12_GLOBAL__N_17runRingI14__hip_fp8_e4m38FuncProdIS1_E11ProtoSimpleILi1ELi1ELi0ELi4ELi0ELi0EELi0ELi4ELi0EEEviiP15ncclDevWorkColl.numbered_sgpr, max(48, .L__assert_fail.numbered_sgpr)
	.set .L_ZN12_GLOBAL__N_17runRingI14__hip_fp8_e4m38FuncProdIS1_E11ProtoSimpleILi1ELi1ELi0ELi4ELi0ELi0EELi0ELi4ELi0EEEviiP15ncclDevWorkColl.num_named_barrier, max(0, .L__assert_fail.num_named_barrier)
	.set .L_ZN12_GLOBAL__N_17runRingI14__hip_fp8_e4m38FuncProdIS1_E11ProtoSimpleILi1ELi1ELi0ELi4ELi0ELi0EELi0ELi4ELi0EEEviiP15ncclDevWorkColl.private_seg_size, 256+max(.L__assert_fail.private_seg_size)
	.set .L_ZN12_GLOBAL__N_17runRingI14__hip_fp8_e4m38FuncProdIS1_E11ProtoSimpleILi1ELi1ELi0ELi4ELi0ELi0EELi0ELi4ELi0EEEviiP15ncclDevWorkColl.uses_vcc, or(1, .L__assert_fail.uses_vcc)
	.set .L_ZN12_GLOBAL__N_17runRingI14__hip_fp8_e4m38FuncProdIS1_E11ProtoSimpleILi1ELi1ELi0ELi4ELi0ELi0EELi0ELi4ELi0EEEviiP15ncclDevWorkColl.uses_flat_scratch, or(1, .L__assert_fail.uses_flat_scratch)
	.set .L_ZN12_GLOBAL__N_17runRingI14__hip_fp8_e4m38FuncProdIS1_E11ProtoSimpleILi1ELi1ELi0ELi4ELi0ELi0EELi0ELi4ELi0EEEviiP15ncclDevWorkColl.has_dyn_sized_stack, or(0, .L__assert_fail.has_dyn_sized_stack)
	.set .L_ZN12_GLOBAL__N_17runRingI14__hip_fp8_e4m38FuncProdIS1_E11ProtoSimpleILi1ELi1ELi0ELi4ELi0ELi0EELi0ELi4ELi0EEEviiP15ncclDevWorkColl.has_recursion, or(1, .L__assert_fail.has_recursion)
	.set .L_ZN12_GLOBAL__N_17runRingI14__hip_fp8_e4m38FuncProdIS1_E11ProtoSimpleILi1ELi1ELi0ELi4ELi0ELi0EELi0ELi4ELi0EEEviiP15ncclDevWorkColl.has_indirect_call, or(0, .L__assert_fail.has_indirect_call)
	.section	.AMDGPU.csdata,"",@progbits
; Function info:
; codeLenInByte = 250752
; TotalNumSgprs: 50
; NumVgprs: 128
; ScratchSize: 320
; MemoryBound: 1
	.text
	.p2align	2                               ; -- Begin function _Z48ncclDevFunc_Reduce_RING_SIMPLE_Prod_f8e4m3_0_0_4v
	.type	_Z48ncclDevFunc_Reduce_RING_SIMPLE_Prod_f8e4m3_0_0_4v,@function
_Z48ncclDevFunc_Reduce_RING_SIMPLE_Prod_f8e4m3_0_0_4v: ; @_Z48ncclDevFunc_Reduce_RING_SIMPLE_Prod_f8e4m3_0_0_4v
; %bb.0:
	s_wait_loadcnt_dscnt 0x0
	s_wait_kmcnt 0x0
	s_mov_b32 s63, s33
	s_mov_b32 s33, s32
	s_or_saveexec_b32 s0, -1
	scratch_store_b32 off, v42, s33 offset:12 ; 4-byte Folded Spill
	s_wait_xcnt 0x0
	s_mov_b32 exec_lo, s0
	s_add_co_i32 s32, s32, 32
	s_clause 0x2
	scratch_store_b32 off, v40, s33 offset:8
	; meta instruction
	scratch_store_b32 off, v41, s33 offset:4
	; meta instruction
	scratch_store_b32 off, v127, s33
	v_writelane_b32 v42, s30, 0
	v_writelane_b32 v42, s31, 1
	s_trap 2
	ds_load_b32 v0, v0
	s_wait_xcnt 0x2
	v_mov_b32_e32 v40, v31
	s_wait_dscnt 0x0
	v_cmp_gt_i32_e32 vcc_lo, 1, v0
	s_cbranch_vccnz .LBB7_8
; %bb.1:
	s_wait_xcnt 0x1
	v_and_b32_e32 v41, 0x3ff, v40
	s_mov_b32 s58, s12
	s_mov_b64 s[56:57], s[8:9]
	s_mov_b32 s59, 0
	s_get_pc_i64 s[60:61]
	s_add_nc_u64 s[60:61], s[60:61], _ZN12_GLOBAL__N_17runRingI14__hip_fp8_e4m38FuncProdIS1_E11ProtoSimpleILi1ELi1ELi0ELi4ELi0ELi0EELi0ELi4ELi0EEEviiP15ncclDevWorkColl@rel64+4
	s_branch .LBB7_3
.LBB7_2:                                ;   in Loop: Header=BB7_3 Depth=1
	s_or_b32 exec_lo, exec_lo, s62
	s_trap 2
	ds_load_b32 v0, v0
	s_add_co_i32 s59, s59, 1
	s_wait_dscnt 0x0
	v_cmp_lt_i32_e32 vcc_lo, s59, v0
	s_cbranch_vccz .LBB7_8
.LBB7_3:                                ; =>This Inner Loop Header: Depth=1
	s_trap 2
	ds_load_b32 v0, v0
	s_cmp_eq_u32 s59, 0
	s_cbranch_scc1 .LBB7_6
; %bb.4:                                ;   in Loop: Header=BB7_3 Depth=1
	s_trap 2
	s_wait_dscnt 0x0
	ds_load_b32 v1, v0
	s_wait_dscnt 0x0
	v_xor_b32_e32 v1, v1, v0
	s_delay_alu instid0(VALU_DEP_1) | instskip(NEXT) | instid1(VALU_DEP_1)
	v_and_b32_e32 v1, 0xff0000, v1
	v_cmp_eq_u32_e32 vcc_lo, 0, v1
	s_cbranch_vccnz .LBB7_6
; %bb.5:                                ;   in Loop: Header=BB7_3 Depth=1
	s_wait_storecnt 0x0
	s_barrier_signal -1
	s_barrier_wait -1
	ds_load_b32 v0, v0
.LBB7_6:                                ;   in Loop: Header=BB7_3 Depth=1
	s_wait_dscnt 0x0
	v_lshrrev_b32_e32 v0, 11, v0
	s_mov_b32 s62, exec_lo
	s_delay_alu instid0(VALU_DEP_1) | instskip(SKIP_1) | instid1(VALU_DEP_1)
	v_and_b32_e32 v1, 0x1fe0, v0
	s_wait_xcnt 0x0
	v_cmpx_lt_u32_e64 v41, v1
	s_cbranch_execz .LBB7_2
; %bb.7:                                ;   in Loop: Header=BB7_3 Depth=1
	s_mov_b64 s[0:1], src_shared_base
	v_dual_mov_b32 v31, v40 :: v_dual_mov_b32 v0, v41
	v_mov_b32_e32 v3, s1
	s_mov_b64 s[8:9], s[56:57]
	s_mov_b32 s12, s58
	s_swap_pc_i64 s[30:31], s[60:61]
	s_branch .LBB7_2
.LBB7_8:
	s_clause 0x2
	scratch_load_b32 v127, off, s33
	scratch_load_b32 v41, off, s33 offset:4
	scratch_load_b32 v40, off, s33 offset:8
	v_readlane_b32 s30, v42, 0
	v_readlane_b32 s31, v42, 1
	s_mov_b32 s32, s33
	s_wait_xcnt 0x0
	s_or_saveexec_b32 s0, -1
	scratch_load_b32 v42, off, s33 offset:12 ; 4-byte Folded Reload
	s_wait_xcnt 0x0
	s_mov_b32 exec_lo, s0
	s_mov_b32 s33, s63
	s_wait_loadcnt 0x0
	s_set_pc_i64 s[30:31]
.Lfunc_end7:
	.size	_Z48ncclDevFunc_Reduce_RING_SIMPLE_Prod_f8e4m3_0_0_4v, .Lfunc_end7-_Z48ncclDevFunc_Reduce_RING_SIMPLE_Prod_f8e4m3_0_0_4v
                                        ; -- End function
	.set .L_Z48ncclDevFunc_Reduce_RING_SIMPLE_Prod_f8e4m3_0_0_4v.num_vgpr, max(128, .L_ZN12_GLOBAL__N_17runRingI14__hip_fp8_e4m38FuncProdIS1_E11ProtoSimpleILi1ELi1ELi0ELi4ELi0ELi0EELi0ELi4ELi0EEEviiP15ncclDevWorkColl.num_vgpr)
	.set .L_Z48ncclDevFunc_Reduce_RING_SIMPLE_Prod_f8e4m3_0_0_4v.num_agpr, max(0, .L_ZN12_GLOBAL__N_17runRingI14__hip_fp8_e4m38FuncProdIS1_E11ProtoSimpleILi1ELi1ELi0ELi4ELi0ELi0EELi0ELi4ELi0EEEviiP15ncclDevWorkColl.num_agpr)
	.set .L_Z48ncclDevFunc_Reduce_RING_SIMPLE_Prod_f8e4m3_0_0_4v.numbered_sgpr, max(64, .L_ZN12_GLOBAL__N_17runRingI14__hip_fp8_e4m38FuncProdIS1_E11ProtoSimpleILi1ELi1ELi0ELi4ELi0ELi0EELi0ELi4ELi0EEEviiP15ncclDevWorkColl.numbered_sgpr)
	.set .L_Z48ncclDevFunc_Reduce_RING_SIMPLE_Prod_f8e4m3_0_0_4v.num_named_barrier, max(0, .L_ZN12_GLOBAL__N_17runRingI14__hip_fp8_e4m38FuncProdIS1_E11ProtoSimpleILi1ELi1ELi0ELi4ELi0ELi0EELi0ELi4ELi0EEEviiP15ncclDevWorkColl.num_named_barrier)
	.set .L_Z48ncclDevFunc_Reduce_RING_SIMPLE_Prod_f8e4m3_0_0_4v.private_seg_size, 32+max(.L_ZN12_GLOBAL__N_17runRingI14__hip_fp8_e4m38FuncProdIS1_E11ProtoSimpleILi1ELi1ELi0ELi4ELi0ELi0EELi0ELi4ELi0EEEviiP15ncclDevWorkColl.private_seg_size)
	.set .L_Z48ncclDevFunc_Reduce_RING_SIMPLE_Prod_f8e4m3_0_0_4v.uses_vcc, or(1, .L_ZN12_GLOBAL__N_17runRingI14__hip_fp8_e4m38FuncProdIS1_E11ProtoSimpleILi1ELi1ELi0ELi4ELi0ELi0EELi0ELi4ELi0EEEviiP15ncclDevWorkColl.uses_vcc)
	.set .L_Z48ncclDevFunc_Reduce_RING_SIMPLE_Prod_f8e4m3_0_0_4v.uses_flat_scratch, or(1, .L_ZN12_GLOBAL__N_17runRingI14__hip_fp8_e4m38FuncProdIS1_E11ProtoSimpleILi1ELi1ELi0ELi4ELi0ELi0EELi0ELi4ELi0EEEviiP15ncclDevWorkColl.uses_flat_scratch)
	.set .L_Z48ncclDevFunc_Reduce_RING_SIMPLE_Prod_f8e4m3_0_0_4v.has_dyn_sized_stack, or(0, .L_ZN12_GLOBAL__N_17runRingI14__hip_fp8_e4m38FuncProdIS1_E11ProtoSimpleILi1ELi1ELi0ELi4ELi0ELi0EELi0ELi4ELi0EEEviiP15ncclDevWorkColl.has_dyn_sized_stack)
	.set .L_Z48ncclDevFunc_Reduce_RING_SIMPLE_Prod_f8e4m3_0_0_4v.has_recursion, or(1, .L_ZN12_GLOBAL__N_17runRingI14__hip_fp8_e4m38FuncProdIS1_E11ProtoSimpleILi1ELi1ELi0ELi4ELi0ELi0EELi0ELi4ELi0EEEviiP15ncclDevWorkColl.has_recursion)
	.set .L_Z48ncclDevFunc_Reduce_RING_SIMPLE_Prod_f8e4m3_0_0_4v.has_indirect_call, or(0, .L_ZN12_GLOBAL__N_17runRingI14__hip_fp8_e4m38FuncProdIS1_E11ProtoSimpleILi1ELi1ELi0ELi4ELi0ELi0EELi0ELi4ELi0EEEviiP15ncclDevWorkColl.has_indirect_call)
	.section	.AMDGPU.csdata,"",@progbits
; Function info:
; codeLenInByte = 464
; TotalNumSgprs: 66
; NumVgprs: 128
; ScratchSize: 352
; MemoryBound: 0
	.text
	.p2alignl 7, 3214868480
	.fill 96, 4, 3214868480
	.section	.AMDGPU.gpr_maximums,"",@progbits
	.set amdgpu.max_num_vgpr, 128
	.set amdgpu.max_num_agpr, 0
	.set amdgpu.max_num_sgpr, 64
	.text
	.type	__const.__assert_fail.fmt,@object ; @__const.__assert_fail.fmt
	.section	.rodata.str1.16,"aMS",@progbits,1
	.p2align	4, 0x0
__const.__assert_fail.fmt:
	.asciz	"%s:%u: %s: Device-side assertion `%s' failed.\n"
	.size	__const.__assert_fail.fmt, 47

	.type	.str.3,@object                  ; @.str.3
	.section	.rodata.str1.1,"aMS",@progbits,1
.str.3:
	.asciz	"2*(nrecv+nsend) <= nthreads"
	.size	.str.3, 28

	.type	.str.4,@object                  ; @.str.4
.str.4:
	.asciz	"/root/src/amdgpu-assembly/repos/ROCm__rccl/hipify/src/device/prims_simple.h"
	.size	.str.4, 76

	.type	__PRETTY_FUNCTION__._ZN10PrimitivesI14__hip_fp8_e4m38FuncProdIS0_E12FanSymmetricILi1EELi0E11ProtoSimpleILi1ELi1ELi0ELi1ELi0ELi0EELi0ELb0ELi0ELi0ELi0EEC2EiiPKiS9_PKvPvmhhhP15ncclDevWorkCollP14ncclDevWorkP2pii,@object ; @__PRETTY_FUNCTION__._ZN10PrimitivesI14__hip_fp8_e4m38FuncProdIS0_E12FanSymmetricILi1EELi0E11ProtoSimpleILi1ELi1ELi0ELi1ELi0ELi0EELi0ELb0ELi0ELi0ELi0EEC2EiiPKiS9_PKvPvmhhhP15ncclDevWorkCollP14ncclDevWorkP2pii
__PRETTY_FUNCTION__._ZN10PrimitivesI14__hip_fp8_e4m38FuncProdIS0_E12FanSymmetricILi1EELi0E11ProtoSimpleILi1ELi1ELi0ELi1ELi0ELi0EELi0ELb0ELi0ELi0ELi0EEC2EiiPKiS9_PKvPvmhhhP15ncclDevWorkCollP14ncclDevWorkP2pii:
	.asciz	"Primitives<__hip_fp8_e4m3, FuncProd<__hip_fp8_e4m3>, FanSymmetric<1>, 0, ProtoSimple<1, 1, 0, 1>, 0>::Primitives(int, int, const int *, const int *, const void *, void *, uint64_t, uint8_t, uint8_t, uint8_t, struct ncclDevWorkColl *, struct ncclDevWorkP2p *, int, int) [T = __hip_fp8_e4m3, RedOp = FuncProd<__hip_fp8_e4m3>, Fan = FanSymmetric<1>, Direct = 0, Proto = ProtoSimple<1, 1, 0, 1>, P2p = 0, isNetOffload = false, Metadata = 0, Pipeline = 0, useAcc = 0]"
	.size	__PRETTY_FUNCTION__._ZN10PrimitivesI14__hip_fp8_e4m38FuncProdIS0_E12FanSymmetricILi1EELi0E11ProtoSimpleILi1ELi1ELi0ELi1ELi0ELi0EELi0ELb0ELi0ELi0ELi0EEC2EiiPKiS9_PKvPvmhhhP15ncclDevWorkCollP14ncclDevWorkP2pii, 463

	.type	__PRETTY_FUNCTION__._ZN10PrimitivesI14__hip_fp8_e4m38FuncProdIS0_E12FanSymmetricILi1EELi0E11ProtoSimpleILi1ELi1ELi0ELi2ELi0ELi0EELi0ELb0ELi0ELi0ELi0EEC2EiiPKiS9_PKvPvmhhhP15ncclDevWorkCollP14ncclDevWorkP2pii,@object ; @__PRETTY_FUNCTION__._ZN10PrimitivesI14__hip_fp8_e4m38FuncProdIS0_E12FanSymmetricILi1EELi0E11ProtoSimpleILi1ELi1ELi0ELi2ELi0ELi0EELi0ELb0ELi0ELi0ELi0EEC2EiiPKiS9_PKvPvmhhhP15ncclDevWorkCollP14ncclDevWorkP2pii
__PRETTY_FUNCTION__._ZN10PrimitivesI14__hip_fp8_e4m38FuncProdIS0_E12FanSymmetricILi1EELi0E11ProtoSimpleILi1ELi1ELi0ELi2ELi0ELi0EELi0ELb0ELi0ELi0ELi0EEC2EiiPKiS9_PKvPvmhhhP15ncclDevWorkCollP14ncclDevWorkP2pii:
	.asciz	"Primitives<__hip_fp8_e4m3, FuncProd<__hip_fp8_e4m3>, FanSymmetric<1>, 0, ProtoSimple<1, 1, 0, 2>, 0>::Primitives(int, int, const int *, const int *, const void *, void *, uint64_t, uint8_t, uint8_t, uint8_t, struct ncclDevWorkColl *, struct ncclDevWorkP2p *, int, int) [T = __hip_fp8_e4m3, RedOp = FuncProd<__hip_fp8_e4m3>, Fan = FanSymmetric<1>, Direct = 0, Proto = ProtoSimple<1, 1, 0, 2>, P2p = 0, isNetOffload = false, Metadata = 0, Pipeline = 0, useAcc = 0]"
	.size	__PRETTY_FUNCTION__._ZN10PrimitivesI14__hip_fp8_e4m38FuncProdIS0_E12FanSymmetricILi1EELi0E11ProtoSimpleILi1ELi1ELi0ELi2ELi0ELi0EELi0ELb0ELi0ELi0ELi0EEC2EiiPKiS9_PKvPvmhhhP15ncclDevWorkCollP14ncclDevWorkP2pii, 463

	.type	__PRETTY_FUNCTION__._ZN10PrimitivesI14__hip_fp8_e4m38FuncProdIS0_E12FanSymmetricILi1EELi0E11ProtoSimpleILi1ELi1ELi0ELi4ELi0ELi0EELi0ELb0ELi0ELi0ELi0EEC2EiiPKiS9_PKvPvmhhhP15ncclDevWorkCollP14ncclDevWorkP2pii,@object ; @__PRETTY_FUNCTION__._ZN10PrimitivesI14__hip_fp8_e4m38FuncProdIS0_E12FanSymmetricILi1EELi0E11ProtoSimpleILi1ELi1ELi0ELi4ELi0ELi0EELi0ELb0ELi0ELi0ELi0EEC2EiiPKiS9_PKvPvmhhhP15ncclDevWorkCollP14ncclDevWorkP2pii
__PRETTY_FUNCTION__._ZN10PrimitivesI14__hip_fp8_e4m38FuncProdIS0_E12FanSymmetricILi1EELi0E11ProtoSimpleILi1ELi1ELi0ELi4ELi0ELi0EELi0ELb0ELi0ELi0ELi0EEC2EiiPKiS9_PKvPvmhhhP15ncclDevWorkCollP14ncclDevWorkP2pii:
	.asciz	"Primitives<__hip_fp8_e4m3, FuncProd<__hip_fp8_e4m3>, FanSymmetric<1>, 0, ProtoSimple<1, 1, 0, 4>, 0>::Primitives(int, int, const int *, const int *, const void *, void *, uint64_t, uint8_t, uint8_t, uint8_t, struct ncclDevWorkColl *, struct ncclDevWorkP2p *, int, int) [T = __hip_fp8_e4m3, RedOp = FuncProd<__hip_fp8_e4m3>, Fan = FanSymmetric<1>, Direct = 0, Proto = ProtoSimple<1, 1, 0, 4>, P2p = 0, isNetOffload = false, Metadata = 0, Pipeline = 0, useAcc = 0]"
	.size	__PRETTY_FUNCTION__._ZN10PrimitivesI14__hip_fp8_e4m38FuncProdIS0_E12FanSymmetricILi1EELi0E11ProtoSimpleILi1ELi1ELi0ELi4ELi0ELi0EELi0ELb0ELi0ELi0ELi0EEC2EiiPKiS9_PKvPvmhhhP15ncclDevWorkCollP14ncclDevWorkP2pii, 463

	.type	__hip_cuid_516f386eb5281a3e,@object ; @__hip_cuid_516f386eb5281a3e
	.section	.bss,"aw",@nobits
	.globl	__hip_cuid_516f386eb5281a3e
__hip_cuid_516f386eb5281a3e:
	.byte	0                               ; 0x0
	.size	__hip_cuid_516f386eb5281a3e, 1

	.ident	"AMD clang version 22.0.0git (https://github.com/RadeonOpenCompute/llvm-project roc-7.2.4 26084 f58b06dce1f9c15707c5f808fd002e18c2accf7e)"
	.section	".note.GNU-stack","",@progbits
	.addrsig
	.addrsig_sym _Z48ncclDevFunc_Reduce_RING_SIMPLE_Prod_f8e4m3_0_0_1v
	.addrsig_sym _Z48ncclDevFunc_Reduce_RING_SIMPLE_Prod_f8e4m3_0_0_2v
	.addrsig_sym _Z48ncclDevFunc_Reduce_RING_SIMPLE_Prod_f8e4m3_0_0_4v
	.addrsig_sym ncclShmem
	.addrsig_sym __hip_cuid_516f386eb5281a3e
	.amdgpu_metadata
---
amdhsa.kernels:  []
amdhsa.target:   amdgcn-amd-amdhsa--gfx1250
amdhsa.version:
  - 1
  - 2
...

	.end_amdgpu_metadata
